;; amdgpu-corpus repo=ROCm/rocThrust kind=compiled arch=gfx1201 opt=O3
	.amdgcn_target "amdgcn-amd-amdhsa--gfx1201"
	.amdhsa_code_object_version 6
	.section	.text._ZN6thrust23THRUST_200600_302600_NS11hip_rocprim14__parallel_for6kernelILj256ENS1_20__uninitialized_fill7functorINS0_10device_ptrIiEEiEEmLj1EEEvT0_T1_SA_,"axG",@progbits,_ZN6thrust23THRUST_200600_302600_NS11hip_rocprim14__parallel_for6kernelILj256ENS1_20__uninitialized_fill7functorINS0_10device_ptrIiEEiEEmLj1EEEvT0_T1_SA_,comdat
	.protected	_ZN6thrust23THRUST_200600_302600_NS11hip_rocprim14__parallel_for6kernelILj256ENS1_20__uninitialized_fill7functorINS0_10device_ptrIiEEiEEmLj1EEEvT0_T1_SA_ ; -- Begin function _ZN6thrust23THRUST_200600_302600_NS11hip_rocprim14__parallel_for6kernelILj256ENS1_20__uninitialized_fill7functorINS0_10device_ptrIiEEiEEmLj1EEEvT0_T1_SA_
	.globl	_ZN6thrust23THRUST_200600_302600_NS11hip_rocprim14__parallel_for6kernelILj256ENS1_20__uninitialized_fill7functorINS0_10device_ptrIiEEiEEmLj1EEEvT0_T1_SA_
	.p2align	8
	.type	_ZN6thrust23THRUST_200600_302600_NS11hip_rocprim14__parallel_for6kernelILj256ENS1_20__uninitialized_fill7functorINS0_10device_ptrIiEEiEEmLj1EEEvT0_T1_SA_,@function
_ZN6thrust23THRUST_200600_302600_NS11hip_rocprim14__parallel_for6kernelILj256ENS1_20__uninitialized_fill7functorINS0_10device_ptrIiEEiEEmLj1EEEvT0_T1_SA_: ; @_ZN6thrust23THRUST_200600_302600_NS11hip_rocprim14__parallel_for6kernelILj256ENS1_20__uninitialized_fill7functorINS0_10device_ptrIiEEiEEmLj1EEEvT0_T1_SA_
; %bb.0:
	s_clause 0x1
	s_load_b128 s[8:11], s[0:1], 0x10
	s_load_b96 s[0:2], s[0:1], 0x0
	s_lshl_b32 s4, ttmp9, 8
	s_mov_b32 s5, 0
	s_wait_kmcnt 0x0
	s_add_nc_u64 s[4:5], s[10:11], s[4:5]
	s_delay_alu instid0(SALU_CYCLE_1) | instskip(NEXT) | instid1(SALU_CYCLE_1)
	s_sub_nc_u64 s[6:7], s[8:9], s[4:5]
	v_cmp_lt_u64_e64 s3, 0xff, s[6:7]
	s_and_b32 vcc_lo, exec_lo, s3
	s_mov_b32 s3, -1
	s_cbranch_vccz .LBB0_3
; %bb.1:
	s_and_not1_b32 vcc_lo, exec_lo, s3
	s_cbranch_vccz .LBB0_6
.LBB0_2:
	s_endpgm
.LBB0_3:
	s_mov_b32 s3, exec_lo
	v_cmpx_gt_u32_e64 s6, v0
	s_cbranch_execz .LBB0_5
; %bb.4:
	v_lshlrev_b32_e32 v1, 2, v0
	s_lshl_b64 s[6:7], s[4:5], 2
	v_mov_b32_e32 v3, s2
	s_wait_alu 0xfffe
	s_add_nc_u64 s[6:7], s[0:1], s[6:7]
	s_wait_alu 0xfffe
	v_add_co_u32 v1, s6, s6, v1
	s_wait_alu 0xf1ff
	v_add_co_ci_u32_e64 v2, null, s7, 0, s6
	flat_store_b32 v[1:2], v3
.LBB0_5:
	s_or_b32 exec_lo, exec_lo, s3
	s_cbranch_execnz .LBB0_2
.LBB0_6:
	v_lshlrev_b32_e32 v0, 2, v0
	s_lshl_b64 s[4:5], s[4:5], 2
	v_mov_b32_e32 v2, s2
	s_add_nc_u64 s[0:1], s[0:1], s[4:5]
	s_delay_alu instid0(VALU_DEP_2) | instid1(SALU_CYCLE_1)
	v_add_co_u32 v0, s0, s0, v0
	s_wait_alu 0xf1ff
	v_add_co_ci_u32_e64 v1, null, s1, 0, s0
	flat_store_b32 v[0:1], v2
	s_endpgm
	.section	.rodata,"a",@progbits
	.p2align	6, 0x0
	.amdhsa_kernel _ZN6thrust23THRUST_200600_302600_NS11hip_rocprim14__parallel_for6kernelILj256ENS1_20__uninitialized_fill7functorINS0_10device_ptrIiEEiEEmLj1EEEvT0_T1_SA_
		.amdhsa_group_segment_fixed_size 0
		.amdhsa_private_segment_fixed_size 0
		.amdhsa_kernarg_size 32
		.amdhsa_user_sgpr_count 2
		.amdhsa_user_sgpr_dispatch_ptr 0
		.amdhsa_user_sgpr_queue_ptr 0
		.amdhsa_user_sgpr_kernarg_segment_ptr 1
		.amdhsa_user_sgpr_dispatch_id 0
		.amdhsa_user_sgpr_private_segment_size 0
		.amdhsa_wavefront_size32 1
		.amdhsa_uses_dynamic_stack 0
		.amdhsa_enable_private_segment 0
		.amdhsa_system_sgpr_workgroup_id_x 1
		.amdhsa_system_sgpr_workgroup_id_y 0
		.amdhsa_system_sgpr_workgroup_id_z 0
		.amdhsa_system_sgpr_workgroup_info 0
		.amdhsa_system_vgpr_workitem_id 0
		.amdhsa_next_free_vgpr 4
		.amdhsa_next_free_sgpr 12
		.amdhsa_reserve_vcc 1
		.amdhsa_float_round_mode_32 0
		.amdhsa_float_round_mode_16_64 0
		.amdhsa_float_denorm_mode_32 3
		.amdhsa_float_denorm_mode_16_64 3
		.amdhsa_fp16_overflow 0
		.amdhsa_workgroup_processor_mode 1
		.amdhsa_memory_ordered 1
		.amdhsa_forward_progress 1
		.amdhsa_inst_pref_size 2
		.amdhsa_round_robin_scheduling 0
		.amdhsa_exception_fp_ieee_invalid_op 0
		.amdhsa_exception_fp_denorm_src 0
		.amdhsa_exception_fp_ieee_div_zero 0
		.amdhsa_exception_fp_ieee_overflow 0
		.amdhsa_exception_fp_ieee_underflow 0
		.amdhsa_exception_fp_ieee_inexact 0
		.amdhsa_exception_int_div_zero 0
	.end_amdhsa_kernel
	.section	.text._ZN6thrust23THRUST_200600_302600_NS11hip_rocprim14__parallel_for6kernelILj256ENS1_20__uninitialized_fill7functorINS0_10device_ptrIiEEiEEmLj1EEEvT0_T1_SA_,"axG",@progbits,_ZN6thrust23THRUST_200600_302600_NS11hip_rocprim14__parallel_for6kernelILj256ENS1_20__uninitialized_fill7functorINS0_10device_ptrIiEEiEEmLj1EEEvT0_T1_SA_,comdat
.Lfunc_end0:
	.size	_ZN6thrust23THRUST_200600_302600_NS11hip_rocprim14__parallel_for6kernelILj256ENS1_20__uninitialized_fill7functorINS0_10device_ptrIiEEiEEmLj1EEEvT0_T1_SA_, .Lfunc_end0-_ZN6thrust23THRUST_200600_302600_NS11hip_rocprim14__parallel_for6kernelILj256ENS1_20__uninitialized_fill7functorINS0_10device_ptrIiEEiEEmLj1EEEvT0_T1_SA_
                                        ; -- End function
	.set _ZN6thrust23THRUST_200600_302600_NS11hip_rocprim14__parallel_for6kernelILj256ENS1_20__uninitialized_fill7functorINS0_10device_ptrIiEEiEEmLj1EEEvT0_T1_SA_.num_vgpr, 4
	.set _ZN6thrust23THRUST_200600_302600_NS11hip_rocprim14__parallel_for6kernelILj256ENS1_20__uninitialized_fill7functorINS0_10device_ptrIiEEiEEmLj1EEEvT0_T1_SA_.num_agpr, 0
	.set _ZN6thrust23THRUST_200600_302600_NS11hip_rocprim14__parallel_for6kernelILj256ENS1_20__uninitialized_fill7functorINS0_10device_ptrIiEEiEEmLj1EEEvT0_T1_SA_.numbered_sgpr, 12
	.set _ZN6thrust23THRUST_200600_302600_NS11hip_rocprim14__parallel_for6kernelILj256ENS1_20__uninitialized_fill7functorINS0_10device_ptrIiEEiEEmLj1EEEvT0_T1_SA_.num_named_barrier, 0
	.set _ZN6thrust23THRUST_200600_302600_NS11hip_rocprim14__parallel_for6kernelILj256ENS1_20__uninitialized_fill7functorINS0_10device_ptrIiEEiEEmLj1EEEvT0_T1_SA_.private_seg_size, 0
	.set _ZN6thrust23THRUST_200600_302600_NS11hip_rocprim14__parallel_for6kernelILj256ENS1_20__uninitialized_fill7functorINS0_10device_ptrIiEEiEEmLj1EEEvT0_T1_SA_.uses_vcc, 1
	.set _ZN6thrust23THRUST_200600_302600_NS11hip_rocprim14__parallel_for6kernelILj256ENS1_20__uninitialized_fill7functorINS0_10device_ptrIiEEiEEmLj1EEEvT0_T1_SA_.uses_flat_scratch, 0
	.set _ZN6thrust23THRUST_200600_302600_NS11hip_rocprim14__parallel_for6kernelILj256ENS1_20__uninitialized_fill7functorINS0_10device_ptrIiEEiEEmLj1EEEvT0_T1_SA_.has_dyn_sized_stack, 0
	.set _ZN6thrust23THRUST_200600_302600_NS11hip_rocprim14__parallel_for6kernelILj256ENS1_20__uninitialized_fill7functorINS0_10device_ptrIiEEiEEmLj1EEEvT0_T1_SA_.has_recursion, 0
	.set _ZN6thrust23THRUST_200600_302600_NS11hip_rocprim14__parallel_for6kernelILj256ENS1_20__uninitialized_fill7functorINS0_10device_ptrIiEEiEEmLj1EEEvT0_T1_SA_.has_indirect_call, 0
	.section	.AMDGPU.csdata,"",@progbits
; Kernel info:
; codeLenInByte = 216
; TotalNumSgprs: 14
; NumVgprs: 4
; ScratchSize: 0
; MemoryBound: 0
; FloatMode: 240
; IeeeMode: 1
; LDSByteSize: 0 bytes/workgroup (compile time only)
; SGPRBlocks: 0
; VGPRBlocks: 0
; NumSGPRsForWavesPerEU: 14
; NumVGPRsForWavesPerEU: 4
; Occupancy: 16
; WaveLimiterHint : 0
; COMPUTE_PGM_RSRC2:SCRATCH_EN: 0
; COMPUTE_PGM_RSRC2:USER_SGPR: 2
; COMPUTE_PGM_RSRC2:TRAP_HANDLER: 0
; COMPUTE_PGM_RSRC2:TGID_X_EN: 1
; COMPUTE_PGM_RSRC2:TGID_Y_EN: 0
; COMPUTE_PGM_RSRC2:TGID_Z_EN: 0
; COMPUTE_PGM_RSRC2:TIDIG_COMP_CNT: 0
	.section	.text._ZN6thrust23THRUST_200600_302600_NS11hip_rocprim14__parallel_for6kernelILj256ENS1_10__tabulate7functorINS0_6detail15normal_iteratorINS0_10device_ptrIiEEEENS0_6system6detail7generic6detail22compute_sequence_valueIivEElEElLj1EEEvT0_T1_SJ_,"axG",@progbits,_ZN6thrust23THRUST_200600_302600_NS11hip_rocprim14__parallel_for6kernelILj256ENS1_10__tabulate7functorINS0_6detail15normal_iteratorINS0_10device_ptrIiEEEENS0_6system6detail7generic6detail22compute_sequence_valueIivEElEElLj1EEEvT0_T1_SJ_,comdat
	.protected	_ZN6thrust23THRUST_200600_302600_NS11hip_rocprim14__parallel_for6kernelILj256ENS1_10__tabulate7functorINS0_6detail15normal_iteratorINS0_10device_ptrIiEEEENS0_6system6detail7generic6detail22compute_sequence_valueIivEElEElLj1EEEvT0_T1_SJ_ ; -- Begin function _ZN6thrust23THRUST_200600_302600_NS11hip_rocprim14__parallel_for6kernelILj256ENS1_10__tabulate7functorINS0_6detail15normal_iteratorINS0_10device_ptrIiEEEENS0_6system6detail7generic6detail22compute_sequence_valueIivEElEElLj1EEEvT0_T1_SJ_
	.globl	_ZN6thrust23THRUST_200600_302600_NS11hip_rocprim14__parallel_for6kernelILj256ENS1_10__tabulate7functorINS0_6detail15normal_iteratorINS0_10device_ptrIiEEEENS0_6system6detail7generic6detail22compute_sequence_valueIivEElEElLj1EEEvT0_T1_SJ_
	.p2align	8
	.type	_ZN6thrust23THRUST_200600_302600_NS11hip_rocprim14__parallel_for6kernelILj256ENS1_10__tabulate7functorINS0_6detail15normal_iteratorINS0_10device_ptrIiEEEENS0_6system6detail7generic6detail22compute_sequence_valueIivEElEElLj1EEEvT0_T1_SJ_,@function
_ZN6thrust23THRUST_200600_302600_NS11hip_rocprim14__parallel_for6kernelILj256ENS1_10__tabulate7functorINS0_6detail15normal_iteratorINS0_10device_ptrIiEEEENS0_6system6detail7generic6detail22compute_sequence_valueIivEElEElLj1EEEvT0_T1_SJ_: ; @_ZN6thrust23THRUST_200600_302600_NS11hip_rocprim14__parallel_for6kernelILj256ENS1_10__tabulate7functorINS0_6detail15normal_iteratorINS0_10device_ptrIiEEEENS0_6system6detail7generic6detail22compute_sequence_valueIivEElEElLj1EEEvT0_T1_SJ_
; %bb.0:
	s_load_b256 s[0:7], s[0:1], 0x0
	s_lshl_b32 s8, ttmp9, 8
	s_mov_b32 s9, 0
	s_wait_kmcnt 0x0
	s_add_nc_u64 s[6:7], s[6:7], s[8:9]
	s_delay_alu instid0(SALU_CYCLE_1) | instskip(NEXT) | instid1(SALU_CYCLE_1)
	s_sub_nc_u64 s[4:5], s[4:5], s[6:7]
	v_cmp_gt_i64_e64 s5, 0x100, s[4:5]
	s_and_b32 s5, s5, exec_lo
	s_cselect_b32 s5, s4, 0x100
	s_mov_b32 s4, -1
	s_wait_alu 0xfffe
	s_cmp_eq_u32 s5, 0x100
	s_cbranch_scc0 .LBB1_3
; %bb.1:
	s_and_not1_b32 vcc_lo, exec_lo, s4
	s_cbranch_vccz .LBB1_6
.LBB1_2:
	s_endpgm
.LBB1_3:
	s_mov_b32 s4, exec_lo
	v_cmpx_gt_u32_e64 s5, v0
	s_cbranch_execz .LBB1_5
; %bb.4:
	v_add_co_u32 v1, s5, s6, v0
	s_wait_alu 0xf1ff
	v_add_co_ci_u32_e64 v2, null, s7, 0, s5
	s_delay_alu instid0(VALU_DEP_2) | instskip(NEXT) | instid1(VALU_DEP_2)
	v_mad_co_u64_u32 v[4:5], null, s3, v1, s[2:3]
	v_lshlrev_b64_e32 v[2:3], 2, v[1:2]
	s_delay_alu instid0(VALU_DEP_1) | instskip(NEXT) | instid1(VALU_DEP_1)
	v_add_co_u32 v1, vcc_lo, s0, v2
	v_add_co_ci_u32_e64 v2, null, s1, v3, vcc_lo
	flat_store_b32 v[1:2], v4
.LBB1_5:
	s_wait_alu 0xfffe
	s_or_b32 exec_lo, exec_lo, s4
	s_cbranch_execnz .LBB1_2
.LBB1_6:
	v_add_co_u32 v0, s4, s6, v0
	s_wait_alu 0xf1ff
	v_add_co_ci_u32_e64 v1, null, s7, 0, s4
	s_delay_alu instid0(VALU_DEP_2) | instskip(NEXT) | instid1(VALU_DEP_2)
	v_mad_co_u64_u32 v[3:4], null, s3, v0, s[2:3]
	v_lshlrev_b64_e32 v[1:2], 2, v[0:1]
	s_delay_alu instid0(VALU_DEP_1) | instskip(SKIP_1) | instid1(VALU_DEP_2)
	v_add_co_u32 v0, vcc_lo, s0, v1
	s_wait_alu 0xfffd
	v_add_co_ci_u32_e64 v1, null, s1, v2, vcc_lo
	flat_store_b32 v[0:1], v3
	s_endpgm
	.section	.rodata,"a",@progbits
	.p2align	6, 0x0
	.amdhsa_kernel _ZN6thrust23THRUST_200600_302600_NS11hip_rocprim14__parallel_for6kernelILj256ENS1_10__tabulate7functorINS0_6detail15normal_iteratorINS0_10device_ptrIiEEEENS0_6system6detail7generic6detail22compute_sequence_valueIivEElEElLj1EEEvT0_T1_SJ_
		.amdhsa_group_segment_fixed_size 0
		.amdhsa_private_segment_fixed_size 0
		.amdhsa_kernarg_size 32
		.amdhsa_user_sgpr_count 2
		.amdhsa_user_sgpr_dispatch_ptr 0
		.amdhsa_user_sgpr_queue_ptr 0
		.amdhsa_user_sgpr_kernarg_segment_ptr 1
		.amdhsa_user_sgpr_dispatch_id 0
		.amdhsa_user_sgpr_private_segment_size 0
		.amdhsa_wavefront_size32 1
		.amdhsa_uses_dynamic_stack 0
		.amdhsa_enable_private_segment 0
		.amdhsa_system_sgpr_workgroup_id_x 1
		.amdhsa_system_sgpr_workgroup_id_y 0
		.amdhsa_system_sgpr_workgroup_id_z 0
		.amdhsa_system_sgpr_workgroup_info 0
		.amdhsa_system_vgpr_workitem_id 0
		.amdhsa_next_free_vgpr 6
		.amdhsa_next_free_sgpr 10
		.amdhsa_reserve_vcc 1
		.amdhsa_float_round_mode_32 0
		.amdhsa_float_round_mode_16_64 0
		.amdhsa_float_denorm_mode_32 3
		.amdhsa_float_denorm_mode_16_64 3
		.amdhsa_fp16_overflow 0
		.amdhsa_workgroup_processor_mode 1
		.amdhsa_memory_ordered 1
		.amdhsa_forward_progress 1
		.amdhsa_inst_pref_size 3
		.amdhsa_round_robin_scheduling 0
		.amdhsa_exception_fp_ieee_invalid_op 0
		.amdhsa_exception_fp_denorm_src 0
		.amdhsa_exception_fp_ieee_div_zero 0
		.amdhsa_exception_fp_ieee_overflow 0
		.amdhsa_exception_fp_ieee_underflow 0
		.amdhsa_exception_fp_ieee_inexact 0
		.amdhsa_exception_int_div_zero 0
	.end_amdhsa_kernel
	.section	.text._ZN6thrust23THRUST_200600_302600_NS11hip_rocprim14__parallel_for6kernelILj256ENS1_10__tabulate7functorINS0_6detail15normal_iteratorINS0_10device_ptrIiEEEENS0_6system6detail7generic6detail22compute_sequence_valueIivEElEElLj1EEEvT0_T1_SJ_,"axG",@progbits,_ZN6thrust23THRUST_200600_302600_NS11hip_rocprim14__parallel_for6kernelILj256ENS1_10__tabulate7functorINS0_6detail15normal_iteratorINS0_10device_ptrIiEEEENS0_6system6detail7generic6detail22compute_sequence_valueIivEElEElLj1EEEvT0_T1_SJ_,comdat
.Lfunc_end1:
	.size	_ZN6thrust23THRUST_200600_302600_NS11hip_rocprim14__parallel_for6kernelILj256ENS1_10__tabulate7functorINS0_6detail15normal_iteratorINS0_10device_ptrIiEEEENS0_6system6detail7generic6detail22compute_sequence_valueIivEElEElLj1EEEvT0_T1_SJ_, .Lfunc_end1-_ZN6thrust23THRUST_200600_302600_NS11hip_rocprim14__parallel_for6kernelILj256ENS1_10__tabulate7functorINS0_6detail15normal_iteratorINS0_10device_ptrIiEEEENS0_6system6detail7generic6detail22compute_sequence_valueIivEElEElLj1EEEvT0_T1_SJ_
                                        ; -- End function
	.set _ZN6thrust23THRUST_200600_302600_NS11hip_rocprim14__parallel_for6kernelILj256ENS1_10__tabulate7functorINS0_6detail15normal_iteratorINS0_10device_ptrIiEEEENS0_6system6detail7generic6detail22compute_sequence_valueIivEElEElLj1EEEvT0_T1_SJ_.num_vgpr, 6
	.set _ZN6thrust23THRUST_200600_302600_NS11hip_rocprim14__parallel_for6kernelILj256ENS1_10__tabulate7functorINS0_6detail15normal_iteratorINS0_10device_ptrIiEEEENS0_6system6detail7generic6detail22compute_sequence_valueIivEElEElLj1EEEvT0_T1_SJ_.num_agpr, 0
	.set _ZN6thrust23THRUST_200600_302600_NS11hip_rocprim14__parallel_for6kernelILj256ENS1_10__tabulate7functorINS0_6detail15normal_iteratorINS0_10device_ptrIiEEEENS0_6system6detail7generic6detail22compute_sequence_valueIivEElEElLj1EEEvT0_T1_SJ_.numbered_sgpr, 10
	.set _ZN6thrust23THRUST_200600_302600_NS11hip_rocprim14__parallel_for6kernelILj256ENS1_10__tabulate7functorINS0_6detail15normal_iteratorINS0_10device_ptrIiEEEENS0_6system6detail7generic6detail22compute_sequence_valueIivEElEElLj1EEEvT0_T1_SJ_.num_named_barrier, 0
	.set _ZN6thrust23THRUST_200600_302600_NS11hip_rocprim14__parallel_for6kernelILj256ENS1_10__tabulate7functorINS0_6detail15normal_iteratorINS0_10device_ptrIiEEEENS0_6system6detail7generic6detail22compute_sequence_valueIivEElEElLj1EEEvT0_T1_SJ_.private_seg_size, 0
	.set _ZN6thrust23THRUST_200600_302600_NS11hip_rocprim14__parallel_for6kernelILj256ENS1_10__tabulate7functorINS0_6detail15normal_iteratorINS0_10device_ptrIiEEEENS0_6system6detail7generic6detail22compute_sequence_valueIivEElEElLj1EEEvT0_T1_SJ_.uses_vcc, 1
	.set _ZN6thrust23THRUST_200600_302600_NS11hip_rocprim14__parallel_for6kernelILj256ENS1_10__tabulate7functorINS0_6detail15normal_iteratorINS0_10device_ptrIiEEEENS0_6system6detail7generic6detail22compute_sequence_valueIivEElEElLj1EEEvT0_T1_SJ_.uses_flat_scratch, 0
	.set _ZN6thrust23THRUST_200600_302600_NS11hip_rocprim14__parallel_for6kernelILj256ENS1_10__tabulate7functorINS0_6detail15normal_iteratorINS0_10device_ptrIiEEEENS0_6system6detail7generic6detail22compute_sequence_valueIivEElEElLj1EEEvT0_T1_SJ_.has_dyn_sized_stack, 0
	.set _ZN6thrust23THRUST_200600_302600_NS11hip_rocprim14__parallel_for6kernelILj256ENS1_10__tabulate7functorINS0_6detail15normal_iteratorINS0_10device_ptrIiEEEENS0_6system6detail7generic6detail22compute_sequence_valueIivEElEElLj1EEEvT0_T1_SJ_.has_recursion, 0
	.set _ZN6thrust23THRUST_200600_302600_NS11hip_rocprim14__parallel_for6kernelILj256ENS1_10__tabulate7functorINS0_6detail15normal_iteratorINS0_10device_ptrIiEEEENS0_6system6detail7generic6detail22compute_sequence_valueIivEElEElLj1EEEvT0_T1_SJ_.has_indirect_call, 0
	.section	.AMDGPU.csdata,"",@progbits
; Kernel info:
; codeLenInByte = 260
; TotalNumSgprs: 12
; NumVgprs: 6
; ScratchSize: 0
; MemoryBound: 0
; FloatMode: 240
; IeeeMode: 1
; LDSByteSize: 0 bytes/workgroup (compile time only)
; SGPRBlocks: 0
; VGPRBlocks: 0
; NumSGPRsForWavesPerEU: 12
; NumVGPRsForWavesPerEU: 6
; Occupancy: 16
; WaveLimiterHint : 0
; COMPUTE_PGM_RSRC2:SCRATCH_EN: 0
; COMPUTE_PGM_RSRC2:USER_SGPR: 2
; COMPUTE_PGM_RSRC2:TRAP_HANDLER: 0
; COMPUTE_PGM_RSRC2:TGID_X_EN: 1
; COMPUTE_PGM_RSRC2:TGID_Y_EN: 0
; COMPUTE_PGM_RSRC2:TGID_Z_EN: 0
; COMPUTE_PGM_RSRC2:TIDIG_COMP_CNT: 0
	.section	.text._ZN6thrust23THRUST_200600_302600_NS11hip_rocprim14__parallel_for6kernelILj256ENS1_20__uninitialized_copy7functorINS0_6detail15normal_iteratorINS0_10device_ptrIiEEEENS0_7pointerIiNS1_3tagENS0_11use_defaultESD_EEEEmLj1EEEvT0_T1_SH_,"axG",@progbits,_ZN6thrust23THRUST_200600_302600_NS11hip_rocprim14__parallel_for6kernelILj256ENS1_20__uninitialized_copy7functorINS0_6detail15normal_iteratorINS0_10device_ptrIiEEEENS0_7pointerIiNS1_3tagENS0_11use_defaultESD_EEEEmLj1EEEvT0_T1_SH_,comdat
	.protected	_ZN6thrust23THRUST_200600_302600_NS11hip_rocprim14__parallel_for6kernelILj256ENS1_20__uninitialized_copy7functorINS0_6detail15normal_iteratorINS0_10device_ptrIiEEEENS0_7pointerIiNS1_3tagENS0_11use_defaultESD_EEEEmLj1EEEvT0_T1_SH_ ; -- Begin function _ZN6thrust23THRUST_200600_302600_NS11hip_rocprim14__parallel_for6kernelILj256ENS1_20__uninitialized_copy7functorINS0_6detail15normal_iteratorINS0_10device_ptrIiEEEENS0_7pointerIiNS1_3tagENS0_11use_defaultESD_EEEEmLj1EEEvT0_T1_SH_
	.globl	_ZN6thrust23THRUST_200600_302600_NS11hip_rocprim14__parallel_for6kernelILj256ENS1_20__uninitialized_copy7functorINS0_6detail15normal_iteratorINS0_10device_ptrIiEEEENS0_7pointerIiNS1_3tagENS0_11use_defaultESD_EEEEmLj1EEEvT0_T1_SH_
	.p2align	8
	.type	_ZN6thrust23THRUST_200600_302600_NS11hip_rocprim14__parallel_for6kernelILj256ENS1_20__uninitialized_copy7functorINS0_6detail15normal_iteratorINS0_10device_ptrIiEEEENS0_7pointerIiNS1_3tagENS0_11use_defaultESD_EEEEmLj1EEEvT0_T1_SH_,@function
_ZN6thrust23THRUST_200600_302600_NS11hip_rocprim14__parallel_for6kernelILj256ENS1_20__uninitialized_copy7functorINS0_6detail15normal_iteratorINS0_10device_ptrIiEEEENS0_7pointerIiNS1_3tagENS0_11use_defaultESD_EEEEmLj1EEEvT0_T1_SH_: ; @_ZN6thrust23THRUST_200600_302600_NS11hip_rocprim14__parallel_for6kernelILj256ENS1_20__uninitialized_copy7functorINS0_6detail15normal_iteratorINS0_10device_ptrIiEEEENS0_7pointerIiNS1_3tagENS0_11use_defaultESD_EEEEmLj1EEEvT0_T1_SH_
; %bb.0:
	s_load_b256 s[0:7], s[0:1], 0x0
	s_lshl_b32 s8, ttmp9, 8
	s_mov_b32 s9, 0
	s_wait_kmcnt 0x0
	s_add_nc_u64 s[6:7], s[6:7], s[8:9]
	s_delay_alu instid0(SALU_CYCLE_1) | instskip(NEXT) | instid1(SALU_CYCLE_1)
	s_sub_nc_u64 s[4:5], s[4:5], s[6:7]
	v_cmp_lt_u64_e64 s5, 0xff, s[4:5]
	s_and_b32 vcc_lo, exec_lo, s5
	s_mov_b32 s5, -1
	s_cbranch_vccz .LBB2_3
; %bb.1:
	s_wait_alu 0xfffe
	s_and_not1_b32 vcc_lo, exec_lo, s5
	s_cbranch_vccz .LBB2_6
.LBB2_2:
	s_endpgm
.LBB2_3:
	v_cmp_gt_u32_e32 vcc_lo, s4, v0
	s_and_saveexec_b32 s4, vcc_lo
	s_cbranch_execz .LBB2_5
; %bb.4:
	v_add_co_u32 v1, s5, s6, v0
	s_wait_alu 0xf1fe
	v_add_co_ci_u32_e64 v2, null, s7, 0, s5
	s_delay_alu instid0(VALU_DEP_1) | instskip(NEXT) | instid1(VALU_DEP_1)
	v_lshlrev_b64_e32 v[1:2], 2, v[1:2]
	v_add_co_u32 v3, vcc_lo, s0, v1
	s_delay_alu instid0(VALU_DEP_1)
	v_add_co_ci_u32_e64 v4, null, s1, v2, vcc_lo
	v_add_co_u32 v1, vcc_lo, s2, v1
	s_wait_alu 0xfffd
	v_add_co_ci_u32_e64 v2, null, s3, v2, vcc_lo
	flat_load_b32 v3, v[3:4]
	s_wait_loadcnt_dscnt 0x0
	flat_store_b32 v[1:2], v3
.LBB2_5:
	s_wait_alu 0xfffe
	s_or_b32 exec_lo, exec_lo, s4
	s_cbranch_execnz .LBB2_2
.LBB2_6:
	v_add_co_u32 v0, s4, s6, v0
	s_wait_alu 0xf1ff
	v_add_co_ci_u32_e64 v1, null, s7, 0, s4
	s_delay_alu instid0(VALU_DEP_1) | instskip(NEXT) | instid1(VALU_DEP_1)
	v_lshlrev_b64_e32 v[0:1], 2, v[0:1]
	v_add_co_u32 v2, vcc_lo, s0, v0
	s_wait_alu 0xfffd
	s_delay_alu instid0(VALU_DEP_2)
	v_add_co_ci_u32_e64 v3, null, s1, v1, vcc_lo
	v_add_co_u32 v0, vcc_lo, s2, v0
	s_wait_alu 0xfffd
	v_add_co_ci_u32_e64 v1, null, s3, v1, vcc_lo
	flat_load_b32 v2, v[2:3]
	s_wait_loadcnt_dscnt 0x0
	flat_store_b32 v[0:1], v2
	s_endpgm
	.section	.rodata,"a",@progbits
	.p2align	6, 0x0
	.amdhsa_kernel _ZN6thrust23THRUST_200600_302600_NS11hip_rocprim14__parallel_for6kernelILj256ENS1_20__uninitialized_copy7functorINS0_6detail15normal_iteratorINS0_10device_ptrIiEEEENS0_7pointerIiNS1_3tagENS0_11use_defaultESD_EEEEmLj1EEEvT0_T1_SH_
		.amdhsa_group_segment_fixed_size 0
		.amdhsa_private_segment_fixed_size 0
		.amdhsa_kernarg_size 32
		.amdhsa_user_sgpr_count 2
		.amdhsa_user_sgpr_dispatch_ptr 0
		.amdhsa_user_sgpr_queue_ptr 0
		.amdhsa_user_sgpr_kernarg_segment_ptr 1
		.amdhsa_user_sgpr_dispatch_id 0
		.amdhsa_user_sgpr_private_segment_size 0
		.amdhsa_wavefront_size32 1
		.amdhsa_uses_dynamic_stack 0
		.amdhsa_enable_private_segment 0
		.amdhsa_system_sgpr_workgroup_id_x 1
		.amdhsa_system_sgpr_workgroup_id_y 0
		.amdhsa_system_sgpr_workgroup_id_z 0
		.amdhsa_system_sgpr_workgroup_info 0
		.amdhsa_system_vgpr_workitem_id 0
		.amdhsa_next_free_vgpr 5
		.amdhsa_next_free_sgpr 10
		.amdhsa_reserve_vcc 1
		.amdhsa_float_round_mode_32 0
		.amdhsa_float_round_mode_16_64 0
		.amdhsa_float_denorm_mode_32 3
		.amdhsa_float_denorm_mode_16_64 3
		.amdhsa_fp16_overflow 0
		.amdhsa_workgroup_processor_mode 1
		.amdhsa_memory_ordered 1
		.amdhsa_forward_progress 1
		.amdhsa_inst_pref_size 3
		.amdhsa_round_robin_scheduling 0
		.amdhsa_exception_fp_ieee_invalid_op 0
		.amdhsa_exception_fp_denorm_src 0
		.amdhsa_exception_fp_ieee_div_zero 0
		.amdhsa_exception_fp_ieee_overflow 0
		.amdhsa_exception_fp_ieee_underflow 0
		.amdhsa_exception_fp_ieee_inexact 0
		.amdhsa_exception_int_div_zero 0
	.end_amdhsa_kernel
	.section	.text._ZN6thrust23THRUST_200600_302600_NS11hip_rocprim14__parallel_for6kernelILj256ENS1_20__uninitialized_copy7functorINS0_6detail15normal_iteratorINS0_10device_ptrIiEEEENS0_7pointerIiNS1_3tagENS0_11use_defaultESD_EEEEmLj1EEEvT0_T1_SH_,"axG",@progbits,_ZN6thrust23THRUST_200600_302600_NS11hip_rocprim14__parallel_for6kernelILj256ENS1_20__uninitialized_copy7functorINS0_6detail15normal_iteratorINS0_10device_ptrIiEEEENS0_7pointerIiNS1_3tagENS0_11use_defaultESD_EEEEmLj1EEEvT0_T1_SH_,comdat
.Lfunc_end2:
	.size	_ZN6thrust23THRUST_200600_302600_NS11hip_rocprim14__parallel_for6kernelILj256ENS1_20__uninitialized_copy7functorINS0_6detail15normal_iteratorINS0_10device_ptrIiEEEENS0_7pointerIiNS1_3tagENS0_11use_defaultESD_EEEEmLj1EEEvT0_T1_SH_, .Lfunc_end2-_ZN6thrust23THRUST_200600_302600_NS11hip_rocprim14__parallel_for6kernelILj256ENS1_20__uninitialized_copy7functorINS0_6detail15normal_iteratorINS0_10device_ptrIiEEEENS0_7pointerIiNS1_3tagENS0_11use_defaultESD_EEEEmLj1EEEvT0_T1_SH_
                                        ; -- End function
	.set _ZN6thrust23THRUST_200600_302600_NS11hip_rocprim14__parallel_for6kernelILj256ENS1_20__uninitialized_copy7functorINS0_6detail15normal_iteratorINS0_10device_ptrIiEEEENS0_7pointerIiNS1_3tagENS0_11use_defaultESD_EEEEmLj1EEEvT0_T1_SH_.num_vgpr, 5
	.set _ZN6thrust23THRUST_200600_302600_NS11hip_rocprim14__parallel_for6kernelILj256ENS1_20__uninitialized_copy7functorINS0_6detail15normal_iteratorINS0_10device_ptrIiEEEENS0_7pointerIiNS1_3tagENS0_11use_defaultESD_EEEEmLj1EEEvT0_T1_SH_.num_agpr, 0
	.set _ZN6thrust23THRUST_200600_302600_NS11hip_rocprim14__parallel_for6kernelILj256ENS1_20__uninitialized_copy7functorINS0_6detail15normal_iteratorINS0_10device_ptrIiEEEENS0_7pointerIiNS1_3tagENS0_11use_defaultESD_EEEEmLj1EEEvT0_T1_SH_.numbered_sgpr, 10
	.set _ZN6thrust23THRUST_200600_302600_NS11hip_rocprim14__parallel_for6kernelILj256ENS1_20__uninitialized_copy7functorINS0_6detail15normal_iteratorINS0_10device_ptrIiEEEENS0_7pointerIiNS1_3tagENS0_11use_defaultESD_EEEEmLj1EEEvT0_T1_SH_.num_named_barrier, 0
	.set _ZN6thrust23THRUST_200600_302600_NS11hip_rocprim14__parallel_for6kernelILj256ENS1_20__uninitialized_copy7functorINS0_6detail15normal_iteratorINS0_10device_ptrIiEEEENS0_7pointerIiNS1_3tagENS0_11use_defaultESD_EEEEmLj1EEEvT0_T1_SH_.private_seg_size, 0
	.set _ZN6thrust23THRUST_200600_302600_NS11hip_rocprim14__parallel_for6kernelILj256ENS1_20__uninitialized_copy7functorINS0_6detail15normal_iteratorINS0_10device_ptrIiEEEENS0_7pointerIiNS1_3tagENS0_11use_defaultESD_EEEEmLj1EEEvT0_T1_SH_.uses_vcc, 1
	.set _ZN6thrust23THRUST_200600_302600_NS11hip_rocprim14__parallel_for6kernelILj256ENS1_20__uninitialized_copy7functorINS0_6detail15normal_iteratorINS0_10device_ptrIiEEEENS0_7pointerIiNS1_3tagENS0_11use_defaultESD_EEEEmLj1EEEvT0_T1_SH_.uses_flat_scratch, 0
	.set _ZN6thrust23THRUST_200600_302600_NS11hip_rocprim14__parallel_for6kernelILj256ENS1_20__uninitialized_copy7functorINS0_6detail15normal_iteratorINS0_10device_ptrIiEEEENS0_7pointerIiNS1_3tagENS0_11use_defaultESD_EEEEmLj1EEEvT0_T1_SH_.has_dyn_sized_stack, 0
	.set _ZN6thrust23THRUST_200600_302600_NS11hip_rocprim14__parallel_for6kernelILj256ENS1_20__uninitialized_copy7functorINS0_6detail15normal_iteratorINS0_10device_ptrIiEEEENS0_7pointerIiNS1_3tagENS0_11use_defaultESD_EEEEmLj1EEEvT0_T1_SH_.has_recursion, 0
	.set _ZN6thrust23THRUST_200600_302600_NS11hip_rocprim14__parallel_for6kernelILj256ENS1_20__uninitialized_copy7functorINS0_6detail15normal_iteratorINS0_10device_ptrIiEEEENS0_7pointerIiNS1_3tagENS0_11use_defaultESD_EEEEmLj1EEEvT0_T1_SH_.has_indirect_call, 0
	.section	.AMDGPU.csdata,"",@progbits
; Kernel info:
; codeLenInByte = 296
; TotalNumSgprs: 12
; NumVgprs: 5
; ScratchSize: 0
; MemoryBound: 0
; FloatMode: 240
; IeeeMode: 1
; LDSByteSize: 0 bytes/workgroup (compile time only)
; SGPRBlocks: 0
; VGPRBlocks: 0
; NumSGPRsForWavesPerEU: 12
; NumVGPRsForWavesPerEU: 5
; Occupancy: 16
; WaveLimiterHint : 0
; COMPUTE_PGM_RSRC2:SCRATCH_EN: 0
; COMPUTE_PGM_RSRC2:USER_SGPR: 2
; COMPUTE_PGM_RSRC2:TRAP_HANDLER: 0
; COMPUTE_PGM_RSRC2:TGID_X_EN: 1
; COMPUTE_PGM_RSRC2:TGID_Y_EN: 0
; COMPUTE_PGM_RSRC2:TGID_Z_EN: 0
; COMPUTE_PGM_RSRC2:TIDIG_COMP_CNT: 0
	.section	.text._ZN7rocprim17ROCPRIM_400000_NS6detail31init_lookback_scan_state_kernelINS1_19lookback_scan_stateImLb0ELb1EEENS1_16block_id_wrapperIjLb0EEEEEvT_jT0_jPNS7_10value_typeE,"axG",@progbits,_ZN7rocprim17ROCPRIM_400000_NS6detail31init_lookback_scan_state_kernelINS1_19lookback_scan_stateImLb0ELb1EEENS1_16block_id_wrapperIjLb0EEEEEvT_jT0_jPNS7_10value_typeE,comdat
	.protected	_ZN7rocprim17ROCPRIM_400000_NS6detail31init_lookback_scan_state_kernelINS1_19lookback_scan_stateImLb0ELb1EEENS1_16block_id_wrapperIjLb0EEEEEvT_jT0_jPNS7_10value_typeE ; -- Begin function _ZN7rocprim17ROCPRIM_400000_NS6detail31init_lookback_scan_state_kernelINS1_19lookback_scan_stateImLb0ELb1EEENS1_16block_id_wrapperIjLb0EEEEEvT_jT0_jPNS7_10value_typeE
	.globl	_ZN7rocprim17ROCPRIM_400000_NS6detail31init_lookback_scan_state_kernelINS1_19lookback_scan_stateImLb0ELb1EEENS1_16block_id_wrapperIjLb0EEEEEvT_jT0_jPNS7_10value_typeE
	.p2align	8
	.type	_ZN7rocprim17ROCPRIM_400000_NS6detail31init_lookback_scan_state_kernelINS1_19lookback_scan_stateImLb0ELb1EEENS1_16block_id_wrapperIjLb0EEEEEvT_jT0_jPNS7_10value_typeE,@function
_ZN7rocprim17ROCPRIM_400000_NS6detail31init_lookback_scan_state_kernelINS1_19lookback_scan_stateImLb0ELb1EEENS1_16block_id_wrapperIjLb0EEEEEvT_jT0_jPNS7_10value_typeE: ; @_ZN7rocprim17ROCPRIM_400000_NS6detail31init_lookback_scan_state_kernelINS1_19lookback_scan_stateImLb0ELb1EEENS1_16block_id_wrapperIjLb0EEEEEvT_jT0_jPNS7_10value_typeE
; %bb.0:
	s_clause 0x2
	s_load_b32 s7, s[0:1], 0x2c
	s_load_b64 s[2:3], s[0:1], 0x18
	s_load_b96 s[4:6], s[0:1], 0x0
	s_wait_kmcnt 0x0
	s_and_b32 s7, s7, 0xffff
	s_cmp_eq_u64 s[2:3], 0
	v_mad_co_u64_u32 v[0:1], null, ttmp9, s7, v[0:1]
	s_cbranch_scc1 .LBB3_8
; %bb.1:
	s_load_b32 s0, s[0:1], 0x10
	s_wait_kmcnt 0x0
	s_cmp_lt_u32 s0, s6
	s_cselect_b32 s1, s0, 0
	s_wait_alu 0xfffe
	v_cmp_eq_u32_e32 vcc_lo, s1, v0
	s_mov_b32 s1, 0
	s_and_saveexec_b32 s7, vcc_lo
	s_cbranch_execz .LBB3_7
; %bb.2:
	s_add_co_i32 s0, s0, 32
	s_mov_b32 s8, exec_lo
	s_wait_alu 0xfffe
	s_lshl_b64 s[0:1], s[0:1], 4
	v_mov_b32_e32 v5, 0
	s_wait_alu 0xfffe
	s_add_nc_u64 s[0:1], s[4:5], s[0:1]
	s_wait_alu 0xfffe
	v_dual_mov_b32 v2, s1 :: v_dual_mov_b32 v1, s0
	;;#ASMSTART
	global_load_b128 v[1:4], v[1:2] off scope:SCOPE_DEV	
s_wait_loadcnt 0x0
	;;#ASMEND
	v_and_b32_e32 v4, 0xff, v3
	s_delay_alu instid0(VALU_DEP_1)
	v_cmpx_eq_u64_e32 0, v[4:5]
	s_cbranch_execz .LBB3_6
; %bb.3:
	v_dual_mov_b32 v7, s1 :: v_dual_mov_b32 v6, s0
	s_mov_b32 s0, 0
.LBB3_4:                                ; =>This Inner Loop Header: Depth=1
	;;#ASMSTART
	global_load_b128 v[1:4], v[6:7] off scope:SCOPE_DEV	
s_wait_loadcnt 0x0
	;;#ASMEND
	v_and_b32_e32 v4, 0xff, v3
	s_delay_alu instid0(VALU_DEP_1)
	v_cmp_ne_u64_e32 vcc_lo, 0, v[4:5]
	s_wait_alu 0xfffe
	s_or_b32 s0, vcc_lo, s0
	s_wait_alu 0xfffe
	s_and_not1_b32 exec_lo, exec_lo, s0
	s_cbranch_execnz .LBB3_4
; %bb.5:
	s_or_b32 exec_lo, exec_lo, s0
.LBB3_6:
	s_delay_alu instid0(SALU_CYCLE_1)
	s_or_b32 exec_lo, exec_lo, s8
	v_mov_b32_e32 v3, 0
	global_store_b64 v3, v[1:2], s[2:3]
.LBB3_7:
	s_wait_alu 0xfffe
	s_or_b32 exec_lo, exec_lo, s7
.LBB3_8:
	s_delay_alu instid0(SALU_CYCLE_1)
	s_mov_b32 s0, exec_lo
	v_cmpx_gt_u32_e64 s6, v0
	s_cbranch_execz .LBB3_10
; %bb.9:
	v_dual_mov_b32 v2, 0 :: v_dual_add_nc_u32 v1, 32, v0
	s_delay_alu instid0(VALU_DEP_1) | instskip(SKIP_2) | instid1(VALU_DEP_3)
	v_lshlrev_b64_e32 v[4:5], 4, v[1:2]
	v_mov_b32_e32 v1, v2
	v_mov_b32_e32 v3, v2
	v_add_co_u32 v6, vcc_lo, s4, v4
	s_delay_alu instid0(VALU_DEP_1)
	v_add_co_ci_u32_e64 v7, null, s5, v5, vcc_lo
	v_mov_b32_e32 v4, v2
	global_store_b128 v[6:7], v[1:4], off
.LBB3_10:
	s_wait_alu 0xfffe
	s_or_b32 exec_lo, exec_lo, s0
	s_delay_alu instid0(SALU_CYCLE_1)
	s_mov_b32 s0, exec_lo
	v_cmpx_gt_u32_e32 32, v0
	s_cbranch_execz .LBB3_12
; %bb.11:
	v_dual_mov_b32 v1, 0 :: v_dual_mov_b32 v2, 0xff
	s_delay_alu instid0(VALU_DEP_1) | instskip(SKIP_1) | instid1(VALU_DEP_2)
	v_lshlrev_b64_e32 v[3:4], 4, v[0:1]
	v_mov_b32_e32 v0, v1
	v_add_co_u32 v5, vcc_lo, s4, v3
	s_wait_alu 0xfffd
	s_delay_alu instid0(VALU_DEP_3)
	v_add_co_ci_u32_e64 v6, null, s5, v4, vcc_lo
	v_mov_b32_e32 v3, v1
	global_store_b128 v[5:6], v[0:3], off
.LBB3_12:
	s_endpgm
	.section	.rodata,"a",@progbits
	.p2align	6, 0x0
	.amdhsa_kernel _ZN7rocprim17ROCPRIM_400000_NS6detail31init_lookback_scan_state_kernelINS1_19lookback_scan_stateImLb0ELb1EEENS1_16block_id_wrapperIjLb0EEEEEvT_jT0_jPNS7_10value_typeE
		.amdhsa_group_segment_fixed_size 0
		.amdhsa_private_segment_fixed_size 0
		.amdhsa_kernarg_size 288
		.amdhsa_user_sgpr_count 2
		.amdhsa_user_sgpr_dispatch_ptr 0
		.amdhsa_user_sgpr_queue_ptr 0
		.amdhsa_user_sgpr_kernarg_segment_ptr 1
		.amdhsa_user_sgpr_dispatch_id 0
		.amdhsa_user_sgpr_private_segment_size 0
		.amdhsa_wavefront_size32 1
		.amdhsa_uses_dynamic_stack 0
		.amdhsa_enable_private_segment 0
		.amdhsa_system_sgpr_workgroup_id_x 1
		.amdhsa_system_sgpr_workgroup_id_y 0
		.amdhsa_system_sgpr_workgroup_id_z 0
		.amdhsa_system_sgpr_workgroup_info 0
		.amdhsa_system_vgpr_workitem_id 0
		.amdhsa_next_free_vgpr 8
		.amdhsa_next_free_sgpr 9
		.amdhsa_reserve_vcc 1
		.amdhsa_float_round_mode_32 0
		.amdhsa_float_round_mode_16_64 0
		.amdhsa_float_denorm_mode_32 3
		.amdhsa_float_denorm_mode_16_64 3
		.amdhsa_fp16_overflow 0
		.amdhsa_workgroup_processor_mode 1
		.amdhsa_memory_ordered 1
		.amdhsa_forward_progress 1
		.amdhsa_inst_pref_size 4
		.amdhsa_round_robin_scheduling 0
		.amdhsa_exception_fp_ieee_invalid_op 0
		.amdhsa_exception_fp_denorm_src 0
		.amdhsa_exception_fp_ieee_div_zero 0
		.amdhsa_exception_fp_ieee_overflow 0
		.amdhsa_exception_fp_ieee_underflow 0
		.amdhsa_exception_fp_ieee_inexact 0
		.amdhsa_exception_int_div_zero 0
	.end_amdhsa_kernel
	.section	.text._ZN7rocprim17ROCPRIM_400000_NS6detail31init_lookback_scan_state_kernelINS1_19lookback_scan_stateImLb0ELb1EEENS1_16block_id_wrapperIjLb0EEEEEvT_jT0_jPNS7_10value_typeE,"axG",@progbits,_ZN7rocprim17ROCPRIM_400000_NS6detail31init_lookback_scan_state_kernelINS1_19lookback_scan_stateImLb0ELb1EEENS1_16block_id_wrapperIjLb0EEEEEvT_jT0_jPNS7_10value_typeE,comdat
.Lfunc_end3:
	.size	_ZN7rocprim17ROCPRIM_400000_NS6detail31init_lookback_scan_state_kernelINS1_19lookback_scan_stateImLb0ELb1EEENS1_16block_id_wrapperIjLb0EEEEEvT_jT0_jPNS7_10value_typeE, .Lfunc_end3-_ZN7rocprim17ROCPRIM_400000_NS6detail31init_lookback_scan_state_kernelINS1_19lookback_scan_stateImLb0ELb1EEENS1_16block_id_wrapperIjLb0EEEEEvT_jT0_jPNS7_10value_typeE
                                        ; -- End function
	.set _ZN7rocprim17ROCPRIM_400000_NS6detail31init_lookback_scan_state_kernelINS1_19lookback_scan_stateImLb0ELb1EEENS1_16block_id_wrapperIjLb0EEEEEvT_jT0_jPNS7_10value_typeE.num_vgpr, 8
	.set _ZN7rocprim17ROCPRIM_400000_NS6detail31init_lookback_scan_state_kernelINS1_19lookback_scan_stateImLb0ELb1EEENS1_16block_id_wrapperIjLb0EEEEEvT_jT0_jPNS7_10value_typeE.num_agpr, 0
	.set _ZN7rocprim17ROCPRIM_400000_NS6detail31init_lookback_scan_state_kernelINS1_19lookback_scan_stateImLb0ELb1EEENS1_16block_id_wrapperIjLb0EEEEEvT_jT0_jPNS7_10value_typeE.numbered_sgpr, 9
	.set _ZN7rocprim17ROCPRIM_400000_NS6detail31init_lookback_scan_state_kernelINS1_19lookback_scan_stateImLb0ELb1EEENS1_16block_id_wrapperIjLb0EEEEEvT_jT0_jPNS7_10value_typeE.num_named_barrier, 0
	.set _ZN7rocprim17ROCPRIM_400000_NS6detail31init_lookback_scan_state_kernelINS1_19lookback_scan_stateImLb0ELb1EEENS1_16block_id_wrapperIjLb0EEEEEvT_jT0_jPNS7_10value_typeE.private_seg_size, 0
	.set _ZN7rocprim17ROCPRIM_400000_NS6detail31init_lookback_scan_state_kernelINS1_19lookback_scan_stateImLb0ELb1EEENS1_16block_id_wrapperIjLb0EEEEEvT_jT0_jPNS7_10value_typeE.uses_vcc, 1
	.set _ZN7rocprim17ROCPRIM_400000_NS6detail31init_lookback_scan_state_kernelINS1_19lookback_scan_stateImLb0ELb1EEENS1_16block_id_wrapperIjLb0EEEEEvT_jT0_jPNS7_10value_typeE.uses_flat_scratch, 0
	.set _ZN7rocprim17ROCPRIM_400000_NS6detail31init_lookback_scan_state_kernelINS1_19lookback_scan_stateImLb0ELb1EEENS1_16block_id_wrapperIjLb0EEEEEvT_jT0_jPNS7_10value_typeE.has_dyn_sized_stack, 0
	.set _ZN7rocprim17ROCPRIM_400000_NS6detail31init_lookback_scan_state_kernelINS1_19lookback_scan_stateImLb0ELb1EEENS1_16block_id_wrapperIjLb0EEEEEvT_jT0_jPNS7_10value_typeE.has_recursion, 0
	.set _ZN7rocprim17ROCPRIM_400000_NS6detail31init_lookback_scan_state_kernelINS1_19lookback_scan_stateImLb0ELb1EEENS1_16block_id_wrapperIjLb0EEEEEvT_jT0_jPNS7_10value_typeE.has_indirect_call, 0
	.section	.AMDGPU.csdata,"",@progbits
; Kernel info:
; codeLenInByte = 412
; TotalNumSgprs: 11
; NumVgprs: 8
; ScratchSize: 0
; MemoryBound: 0
; FloatMode: 240
; IeeeMode: 1
; LDSByteSize: 0 bytes/workgroup (compile time only)
; SGPRBlocks: 0
; VGPRBlocks: 0
; NumSGPRsForWavesPerEU: 11
; NumVGPRsForWavesPerEU: 8
; Occupancy: 16
; WaveLimiterHint : 0
; COMPUTE_PGM_RSRC2:SCRATCH_EN: 0
; COMPUTE_PGM_RSRC2:USER_SGPR: 2
; COMPUTE_PGM_RSRC2:TRAP_HANDLER: 0
; COMPUTE_PGM_RSRC2:TGID_X_EN: 1
; COMPUTE_PGM_RSRC2:TGID_Y_EN: 0
; COMPUTE_PGM_RSRC2:TGID_Z_EN: 0
; COMPUTE_PGM_RSRC2:TIDIG_COMP_CNT: 0
	.section	.text._ZN7rocprim17ROCPRIM_400000_NS6detail17trampoline_kernelINS0_14default_configENS1_25partition_config_selectorILNS1_17partition_subalgoE6EiNS0_10empty_typeEbEEZZNS1_14partition_implILS5_6ELb0ES3_mN6thrust23THRUST_200600_302600_NS6detail15normal_iteratorINSA_10device_ptrIiEEEEPS6_SG_NS0_5tupleIJSF_S6_EEENSH_IJSG_SG_EEES6_PlJ6is_oddIiEEEE10hipError_tPvRmT3_T4_T5_T6_T7_T9_mT8_P12ihipStream_tbDpT10_ENKUlT_T0_E_clISt17integral_constantIbLb0EES16_EEDaS11_S12_EUlS11_E_NS1_11comp_targetILNS1_3genE0ELNS1_11target_archE4294967295ELNS1_3gpuE0ELNS1_3repE0EEENS1_30default_config_static_selectorELNS0_4arch9wavefront6targetE0EEEvT1_,"axG",@progbits,_ZN7rocprim17ROCPRIM_400000_NS6detail17trampoline_kernelINS0_14default_configENS1_25partition_config_selectorILNS1_17partition_subalgoE6EiNS0_10empty_typeEbEEZZNS1_14partition_implILS5_6ELb0ES3_mN6thrust23THRUST_200600_302600_NS6detail15normal_iteratorINSA_10device_ptrIiEEEEPS6_SG_NS0_5tupleIJSF_S6_EEENSH_IJSG_SG_EEES6_PlJ6is_oddIiEEEE10hipError_tPvRmT3_T4_T5_T6_T7_T9_mT8_P12ihipStream_tbDpT10_ENKUlT_T0_E_clISt17integral_constantIbLb0EES16_EEDaS11_S12_EUlS11_E_NS1_11comp_targetILNS1_3genE0ELNS1_11target_archE4294967295ELNS1_3gpuE0ELNS1_3repE0EEENS1_30default_config_static_selectorELNS0_4arch9wavefront6targetE0EEEvT1_,comdat
	.protected	_ZN7rocprim17ROCPRIM_400000_NS6detail17trampoline_kernelINS0_14default_configENS1_25partition_config_selectorILNS1_17partition_subalgoE6EiNS0_10empty_typeEbEEZZNS1_14partition_implILS5_6ELb0ES3_mN6thrust23THRUST_200600_302600_NS6detail15normal_iteratorINSA_10device_ptrIiEEEEPS6_SG_NS0_5tupleIJSF_S6_EEENSH_IJSG_SG_EEES6_PlJ6is_oddIiEEEE10hipError_tPvRmT3_T4_T5_T6_T7_T9_mT8_P12ihipStream_tbDpT10_ENKUlT_T0_E_clISt17integral_constantIbLb0EES16_EEDaS11_S12_EUlS11_E_NS1_11comp_targetILNS1_3genE0ELNS1_11target_archE4294967295ELNS1_3gpuE0ELNS1_3repE0EEENS1_30default_config_static_selectorELNS0_4arch9wavefront6targetE0EEEvT1_ ; -- Begin function _ZN7rocprim17ROCPRIM_400000_NS6detail17trampoline_kernelINS0_14default_configENS1_25partition_config_selectorILNS1_17partition_subalgoE6EiNS0_10empty_typeEbEEZZNS1_14partition_implILS5_6ELb0ES3_mN6thrust23THRUST_200600_302600_NS6detail15normal_iteratorINSA_10device_ptrIiEEEEPS6_SG_NS0_5tupleIJSF_S6_EEENSH_IJSG_SG_EEES6_PlJ6is_oddIiEEEE10hipError_tPvRmT3_T4_T5_T6_T7_T9_mT8_P12ihipStream_tbDpT10_ENKUlT_T0_E_clISt17integral_constantIbLb0EES16_EEDaS11_S12_EUlS11_E_NS1_11comp_targetILNS1_3genE0ELNS1_11target_archE4294967295ELNS1_3gpuE0ELNS1_3repE0EEENS1_30default_config_static_selectorELNS0_4arch9wavefront6targetE0EEEvT1_
	.globl	_ZN7rocprim17ROCPRIM_400000_NS6detail17trampoline_kernelINS0_14default_configENS1_25partition_config_selectorILNS1_17partition_subalgoE6EiNS0_10empty_typeEbEEZZNS1_14partition_implILS5_6ELb0ES3_mN6thrust23THRUST_200600_302600_NS6detail15normal_iteratorINSA_10device_ptrIiEEEEPS6_SG_NS0_5tupleIJSF_S6_EEENSH_IJSG_SG_EEES6_PlJ6is_oddIiEEEE10hipError_tPvRmT3_T4_T5_T6_T7_T9_mT8_P12ihipStream_tbDpT10_ENKUlT_T0_E_clISt17integral_constantIbLb0EES16_EEDaS11_S12_EUlS11_E_NS1_11comp_targetILNS1_3genE0ELNS1_11target_archE4294967295ELNS1_3gpuE0ELNS1_3repE0EEENS1_30default_config_static_selectorELNS0_4arch9wavefront6targetE0EEEvT1_
	.p2align	8
	.type	_ZN7rocprim17ROCPRIM_400000_NS6detail17trampoline_kernelINS0_14default_configENS1_25partition_config_selectorILNS1_17partition_subalgoE6EiNS0_10empty_typeEbEEZZNS1_14partition_implILS5_6ELb0ES3_mN6thrust23THRUST_200600_302600_NS6detail15normal_iteratorINSA_10device_ptrIiEEEEPS6_SG_NS0_5tupleIJSF_S6_EEENSH_IJSG_SG_EEES6_PlJ6is_oddIiEEEE10hipError_tPvRmT3_T4_T5_T6_T7_T9_mT8_P12ihipStream_tbDpT10_ENKUlT_T0_E_clISt17integral_constantIbLb0EES16_EEDaS11_S12_EUlS11_E_NS1_11comp_targetILNS1_3genE0ELNS1_11target_archE4294967295ELNS1_3gpuE0ELNS1_3repE0EEENS1_30default_config_static_selectorELNS0_4arch9wavefront6targetE0EEEvT1_,@function
_ZN7rocprim17ROCPRIM_400000_NS6detail17trampoline_kernelINS0_14default_configENS1_25partition_config_selectorILNS1_17partition_subalgoE6EiNS0_10empty_typeEbEEZZNS1_14partition_implILS5_6ELb0ES3_mN6thrust23THRUST_200600_302600_NS6detail15normal_iteratorINSA_10device_ptrIiEEEEPS6_SG_NS0_5tupleIJSF_S6_EEENSH_IJSG_SG_EEES6_PlJ6is_oddIiEEEE10hipError_tPvRmT3_T4_T5_T6_T7_T9_mT8_P12ihipStream_tbDpT10_ENKUlT_T0_E_clISt17integral_constantIbLb0EES16_EEDaS11_S12_EUlS11_E_NS1_11comp_targetILNS1_3genE0ELNS1_11target_archE4294967295ELNS1_3gpuE0ELNS1_3repE0EEENS1_30default_config_static_selectorELNS0_4arch9wavefront6targetE0EEEvT1_: ; @_ZN7rocprim17ROCPRIM_400000_NS6detail17trampoline_kernelINS0_14default_configENS1_25partition_config_selectorILNS1_17partition_subalgoE6EiNS0_10empty_typeEbEEZZNS1_14partition_implILS5_6ELb0ES3_mN6thrust23THRUST_200600_302600_NS6detail15normal_iteratorINSA_10device_ptrIiEEEEPS6_SG_NS0_5tupleIJSF_S6_EEENSH_IJSG_SG_EEES6_PlJ6is_oddIiEEEE10hipError_tPvRmT3_T4_T5_T6_T7_T9_mT8_P12ihipStream_tbDpT10_ENKUlT_T0_E_clISt17integral_constantIbLb0EES16_EEDaS11_S12_EUlS11_E_NS1_11comp_targetILNS1_3genE0ELNS1_11target_archE4294967295ELNS1_3gpuE0ELNS1_3repE0EEENS1_30default_config_static_selectorELNS0_4arch9wavefront6targetE0EEEvT1_
; %bb.0:
	.section	.rodata,"a",@progbits
	.p2align	6, 0x0
	.amdhsa_kernel _ZN7rocprim17ROCPRIM_400000_NS6detail17trampoline_kernelINS0_14default_configENS1_25partition_config_selectorILNS1_17partition_subalgoE6EiNS0_10empty_typeEbEEZZNS1_14partition_implILS5_6ELb0ES3_mN6thrust23THRUST_200600_302600_NS6detail15normal_iteratorINSA_10device_ptrIiEEEEPS6_SG_NS0_5tupleIJSF_S6_EEENSH_IJSG_SG_EEES6_PlJ6is_oddIiEEEE10hipError_tPvRmT3_T4_T5_T6_T7_T9_mT8_P12ihipStream_tbDpT10_ENKUlT_T0_E_clISt17integral_constantIbLb0EES16_EEDaS11_S12_EUlS11_E_NS1_11comp_targetILNS1_3genE0ELNS1_11target_archE4294967295ELNS1_3gpuE0ELNS1_3repE0EEENS1_30default_config_static_selectorELNS0_4arch9wavefront6targetE0EEEvT1_
		.amdhsa_group_segment_fixed_size 0
		.amdhsa_private_segment_fixed_size 0
		.amdhsa_kernarg_size 112
		.amdhsa_user_sgpr_count 2
		.amdhsa_user_sgpr_dispatch_ptr 0
		.amdhsa_user_sgpr_queue_ptr 0
		.amdhsa_user_sgpr_kernarg_segment_ptr 1
		.amdhsa_user_sgpr_dispatch_id 0
		.amdhsa_user_sgpr_private_segment_size 0
		.amdhsa_wavefront_size32 1
		.amdhsa_uses_dynamic_stack 0
		.amdhsa_enable_private_segment 0
		.amdhsa_system_sgpr_workgroup_id_x 1
		.amdhsa_system_sgpr_workgroup_id_y 0
		.amdhsa_system_sgpr_workgroup_id_z 0
		.amdhsa_system_sgpr_workgroup_info 0
		.amdhsa_system_vgpr_workitem_id 0
		.amdhsa_next_free_vgpr 1
		.amdhsa_next_free_sgpr 1
		.amdhsa_reserve_vcc 0
		.amdhsa_float_round_mode_32 0
		.amdhsa_float_round_mode_16_64 0
		.amdhsa_float_denorm_mode_32 3
		.amdhsa_float_denorm_mode_16_64 3
		.amdhsa_fp16_overflow 0
		.amdhsa_workgroup_processor_mode 1
		.amdhsa_memory_ordered 1
		.amdhsa_forward_progress 1
		.amdhsa_inst_pref_size 0
		.amdhsa_round_robin_scheduling 0
		.amdhsa_exception_fp_ieee_invalid_op 0
		.amdhsa_exception_fp_denorm_src 0
		.amdhsa_exception_fp_ieee_div_zero 0
		.amdhsa_exception_fp_ieee_overflow 0
		.amdhsa_exception_fp_ieee_underflow 0
		.amdhsa_exception_fp_ieee_inexact 0
		.amdhsa_exception_int_div_zero 0
	.end_amdhsa_kernel
	.section	.text._ZN7rocprim17ROCPRIM_400000_NS6detail17trampoline_kernelINS0_14default_configENS1_25partition_config_selectorILNS1_17partition_subalgoE6EiNS0_10empty_typeEbEEZZNS1_14partition_implILS5_6ELb0ES3_mN6thrust23THRUST_200600_302600_NS6detail15normal_iteratorINSA_10device_ptrIiEEEEPS6_SG_NS0_5tupleIJSF_S6_EEENSH_IJSG_SG_EEES6_PlJ6is_oddIiEEEE10hipError_tPvRmT3_T4_T5_T6_T7_T9_mT8_P12ihipStream_tbDpT10_ENKUlT_T0_E_clISt17integral_constantIbLb0EES16_EEDaS11_S12_EUlS11_E_NS1_11comp_targetILNS1_3genE0ELNS1_11target_archE4294967295ELNS1_3gpuE0ELNS1_3repE0EEENS1_30default_config_static_selectorELNS0_4arch9wavefront6targetE0EEEvT1_,"axG",@progbits,_ZN7rocprim17ROCPRIM_400000_NS6detail17trampoline_kernelINS0_14default_configENS1_25partition_config_selectorILNS1_17partition_subalgoE6EiNS0_10empty_typeEbEEZZNS1_14partition_implILS5_6ELb0ES3_mN6thrust23THRUST_200600_302600_NS6detail15normal_iteratorINSA_10device_ptrIiEEEEPS6_SG_NS0_5tupleIJSF_S6_EEENSH_IJSG_SG_EEES6_PlJ6is_oddIiEEEE10hipError_tPvRmT3_T4_T5_T6_T7_T9_mT8_P12ihipStream_tbDpT10_ENKUlT_T0_E_clISt17integral_constantIbLb0EES16_EEDaS11_S12_EUlS11_E_NS1_11comp_targetILNS1_3genE0ELNS1_11target_archE4294967295ELNS1_3gpuE0ELNS1_3repE0EEENS1_30default_config_static_selectorELNS0_4arch9wavefront6targetE0EEEvT1_,comdat
.Lfunc_end4:
	.size	_ZN7rocprim17ROCPRIM_400000_NS6detail17trampoline_kernelINS0_14default_configENS1_25partition_config_selectorILNS1_17partition_subalgoE6EiNS0_10empty_typeEbEEZZNS1_14partition_implILS5_6ELb0ES3_mN6thrust23THRUST_200600_302600_NS6detail15normal_iteratorINSA_10device_ptrIiEEEEPS6_SG_NS0_5tupleIJSF_S6_EEENSH_IJSG_SG_EEES6_PlJ6is_oddIiEEEE10hipError_tPvRmT3_T4_T5_T6_T7_T9_mT8_P12ihipStream_tbDpT10_ENKUlT_T0_E_clISt17integral_constantIbLb0EES16_EEDaS11_S12_EUlS11_E_NS1_11comp_targetILNS1_3genE0ELNS1_11target_archE4294967295ELNS1_3gpuE0ELNS1_3repE0EEENS1_30default_config_static_selectorELNS0_4arch9wavefront6targetE0EEEvT1_, .Lfunc_end4-_ZN7rocprim17ROCPRIM_400000_NS6detail17trampoline_kernelINS0_14default_configENS1_25partition_config_selectorILNS1_17partition_subalgoE6EiNS0_10empty_typeEbEEZZNS1_14partition_implILS5_6ELb0ES3_mN6thrust23THRUST_200600_302600_NS6detail15normal_iteratorINSA_10device_ptrIiEEEEPS6_SG_NS0_5tupleIJSF_S6_EEENSH_IJSG_SG_EEES6_PlJ6is_oddIiEEEE10hipError_tPvRmT3_T4_T5_T6_T7_T9_mT8_P12ihipStream_tbDpT10_ENKUlT_T0_E_clISt17integral_constantIbLb0EES16_EEDaS11_S12_EUlS11_E_NS1_11comp_targetILNS1_3genE0ELNS1_11target_archE4294967295ELNS1_3gpuE0ELNS1_3repE0EEENS1_30default_config_static_selectorELNS0_4arch9wavefront6targetE0EEEvT1_
                                        ; -- End function
	.set _ZN7rocprim17ROCPRIM_400000_NS6detail17trampoline_kernelINS0_14default_configENS1_25partition_config_selectorILNS1_17partition_subalgoE6EiNS0_10empty_typeEbEEZZNS1_14partition_implILS5_6ELb0ES3_mN6thrust23THRUST_200600_302600_NS6detail15normal_iteratorINSA_10device_ptrIiEEEEPS6_SG_NS0_5tupleIJSF_S6_EEENSH_IJSG_SG_EEES6_PlJ6is_oddIiEEEE10hipError_tPvRmT3_T4_T5_T6_T7_T9_mT8_P12ihipStream_tbDpT10_ENKUlT_T0_E_clISt17integral_constantIbLb0EES16_EEDaS11_S12_EUlS11_E_NS1_11comp_targetILNS1_3genE0ELNS1_11target_archE4294967295ELNS1_3gpuE0ELNS1_3repE0EEENS1_30default_config_static_selectorELNS0_4arch9wavefront6targetE0EEEvT1_.num_vgpr, 0
	.set _ZN7rocprim17ROCPRIM_400000_NS6detail17trampoline_kernelINS0_14default_configENS1_25partition_config_selectorILNS1_17partition_subalgoE6EiNS0_10empty_typeEbEEZZNS1_14partition_implILS5_6ELb0ES3_mN6thrust23THRUST_200600_302600_NS6detail15normal_iteratorINSA_10device_ptrIiEEEEPS6_SG_NS0_5tupleIJSF_S6_EEENSH_IJSG_SG_EEES6_PlJ6is_oddIiEEEE10hipError_tPvRmT3_T4_T5_T6_T7_T9_mT8_P12ihipStream_tbDpT10_ENKUlT_T0_E_clISt17integral_constantIbLb0EES16_EEDaS11_S12_EUlS11_E_NS1_11comp_targetILNS1_3genE0ELNS1_11target_archE4294967295ELNS1_3gpuE0ELNS1_3repE0EEENS1_30default_config_static_selectorELNS0_4arch9wavefront6targetE0EEEvT1_.num_agpr, 0
	.set _ZN7rocprim17ROCPRIM_400000_NS6detail17trampoline_kernelINS0_14default_configENS1_25partition_config_selectorILNS1_17partition_subalgoE6EiNS0_10empty_typeEbEEZZNS1_14partition_implILS5_6ELb0ES3_mN6thrust23THRUST_200600_302600_NS6detail15normal_iteratorINSA_10device_ptrIiEEEEPS6_SG_NS0_5tupleIJSF_S6_EEENSH_IJSG_SG_EEES6_PlJ6is_oddIiEEEE10hipError_tPvRmT3_T4_T5_T6_T7_T9_mT8_P12ihipStream_tbDpT10_ENKUlT_T0_E_clISt17integral_constantIbLb0EES16_EEDaS11_S12_EUlS11_E_NS1_11comp_targetILNS1_3genE0ELNS1_11target_archE4294967295ELNS1_3gpuE0ELNS1_3repE0EEENS1_30default_config_static_selectorELNS0_4arch9wavefront6targetE0EEEvT1_.numbered_sgpr, 0
	.set _ZN7rocprim17ROCPRIM_400000_NS6detail17trampoline_kernelINS0_14default_configENS1_25partition_config_selectorILNS1_17partition_subalgoE6EiNS0_10empty_typeEbEEZZNS1_14partition_implILS5_6ELb0ES3_mN6thrust23THRUST_200600_302600_NS6detail15normal_iteratorINSA_10device_ptrIiEEEEPS6_SG_NS0_5tupleIJSF_S6_EEENSH_IJSG_SG_EEES6_PlJ6is_oddIiEEEE10hipError_tPvRmT3_T4_T5_T6_T7_T9_mT8_P12ihipStream_tbDpT10_ENKUlT_T0_E_clISt17integral_constantIbLb0EES16_EEDaS11_S12_EUlS11_E_NS1_11comp_targetILNS1_3genE0ELNS1_11target_archE4294967295ELNS1_3gpuE0ELNS1_3repE0EEENS1_30default_config_static_selectorELNS0_4arch9wavefront6targetE0EEEvT1_.num_named_barrier, 0
	.set _ZN7rocprim17ROCPRIM_400000_NS6detail17trampoline_kernelINS0_14default_configENS1_25partition_config_selectorILNS1_17partition_subalgoE6EiNS0_10empty_typeEbEEZZNS1_14partition_implILS5_6ELb0ES3_mN6thrust23THRUST_200600_302600_NS6detail15normal_iteratorINSA_10device_ptrIiEEEEPS6_SG_NS0_5tupleIJSF_S6_EEENSH_IJSG_SG_EEES6_PlJ6is_oddIiEEEE10hipError_tPvRmT3_T4_T5_T6_T7_T9_mT8_P12ihipStream_tbDpT10_ENKUlT_T0_E_clISt17integral_constantIbLb0EES16_EEDaS11_S12_EUlS11_E_NS1_11comp_targetILNS1_3genE0ELNS1_11target_archE4294967295ELNS1_3gpuE0ELNS1_3repE0EEENS1_30default_config_static_selectorELNS0_4arch9wavefront6targetE0EEEvT1_.private_seg_size, 0
	.set _ZN7rocprim17ROCPRIM_400000_NS6detail17trampoline_kernelINS0_14default_configENS1_25partition_config_selectorILNS1_17partition_subalgoE6EiNS0_10empty_typeEbEEZZNS1_14partition_implILS5_6ELb0ES3_mN6thrust23THRUST_200600_302600_NS6detail15normal_iteratorINSA_10device_ptrIiEEEEPS6_SG_NS0_5tupleIJSF_S6_EEENSH_IJSG_SG_EEES6_PlJ6is_oddIiEEEE10hipError_tPvRmT3_T4_T5_T6_T7_T9_mT8_P12ihipStream_tbDpT10_ENKUlT_T0_E_clISt17integral_constantIbLb0EES16_EEDaS11_S12_EUlS11_E_NS1_11comp_targetILNS1_3genE0ELNS1_11target_archE4294967295ELNS1_3gpuE0ELNS1_3repE0EEENS1_30default_config_static_selectorELNS0_4arch9wavefront6targetE0EEEvT1_.uses_vcc, 0
	.set _ZN7rocprim17ROCPRIM_400000_NS6detail17trampoline_kernelINS0_14default_configENS1_25partition_config_selectorILNS1_17partition_subalgoE6EiNS0_10empty_typeEbEEZZNS1_14partition_implILS5_6ELb0ES3_mN6thrust23THRUST_200600_302600_NS6detail15normal_iteratorINSA_10device_ptrIiEEEEPS6_SG_NS0_5tupleIJSF_S6_EEENSH_IJSG_SG_EEES6_PlJ6is_oddIiEEEE10hipError_tPvRmT3_T4_T5_T6_T7_T9_mT8_P12ihipStream_tbDpT10_ENKUlT_T0_E_clISt17integral_constantIbLb0EES16_EEDaS11_S12_EUlS11_E_NS1_11comp_targetILNS1_3genE0ELNS1_11target_archE4294967295ELNS1_3gpuE0ELNS1_3repE0EEENS1_30default_config_static_selectorELNS0_4arch9wavefront6targetE0EEEvT1_.uses_flat_scratch, 0
	.set _ZN7rocprim17ROCPRIM_400000_NS6detail17trampoline_kernelINS0_14default_configENS1_25partition_config_selectorILNS1_17partition_subalgoE6EiNS0_10empty_typeEbEEZZNS1_14partition_implILS5_6ELb0ES3_mN6thrust23THRUST_200600_302600_NS6detail15normal_iteratorINSA_10device_ptrIiEEEEPS6_SG_NS0_5tupleIJSF_S6_EEENSH_IJSG_SG_EEES6_PlJ6is_oddIiEEEE10hipError_tPvRmT3_T4_T5_T6_T7_T9_mT8_P12ihipStream_tbDpT10_ENKUlT_T0_E_clISt17integral_constantIbLb0EES16_EEDaS11_S12_EUlS11_E_NS1_11comp_targetILNS1_3genE0ELNS1_11target_archE4294967295ELNS1_3gpuE0ELNS1_3repE0EEENS1_30default_config_static_selectorELNS0_4arch9wavefront6targetE0EEEvT1_.has_dyn_sized_stack, 0
	.set _ZN7rocprim17ROCPRIM_400000_NS6detail17trampoline_kernelINS0_14default_configENS1_25partition_config_selectorILNS1_17partition_subalgoE6EiNS0_10empty_typeEbEEZZNS1_14partition_implILS5_6ELb0ES3_mN6thrust23THRUST_200600_302600_NS6detail15normal_iteratorINSA_10device_ptrIiEEEEPS6_SG_NS0_5tupleIJSF_S6_EEENSH_IJSG_SG_EEES6_PlJ6is_oddIiEEEE10hipError_tPvRmT3_T4_T5_T6_T7_T9_mT8_P12ihipStream_tbDpT10_ENKUlT_T0_E_clISt17integral_constantIbLb0EES16_EEDaS11_S12_EUlS11_E_NS1_11comp_targetILNS1_3genE0ELNS1_11target_archE4294967295ELNS1_3gpuE0ELNS1_3repE0EEENS1_30default_config_static_selectorELNS0_4arch9wavefront6targetE0EEEvT1_.has_recursion, 0
	.set _ZN7rocprim17ROCPRIM_400000_NS6detail17trampoline_kernelINS0_14default_configENS1_25partition_config_selectorILNS1_17partition_subalgoE6EiNS0_10empty_typeEbEEZZNS1_14partition_implILS5_6ELb0ES3_mN6thrust23THRUST_200600_302600_NS6detail15normal_iteratorINSA_10device_ptrIiEEEEPS6_SG_NS0_5tupleIJSF_S6_EEENSH_IJSG_SG_EEES6_PlJ6is_oddIiEEEE10hipError_tPvRmT3_T4_T5_T6_T7_T9_mT8_P12ihipStream_tbDpT10_ENKUlT_T0_E_clISt17integral_constantIbLb0EES16_EEDaS11_S12_EUlS11_E_NS1_11comp_targetILNS1_3genE0ELNS1_11target_archE4294967295ELNS1_3gpuE0ELNS1_3repE0EEENS1_30default_config_static_selectorELNS0_4arch9wavefront6targetE0EEEvT1_.has_indirect_call, 0
	.section	.AMDGPU.csdata,"",@progbits
; Kernel info:
; codeLenInByte = 0
; TotalNumSgprs: 0
; NumVgprs: 0
; ScratchSize: 0
; MemoryBound: 0
; FloatMode: 240
; IeeeMode: 1
; LDSByteSize: 0 bytes/workgroup (compile time only)
; SGPRBlocks: 0
; VGPRBlocks: 0
; NumSGPRsForWavesPerEU: 1
; NumVGPRsForWavesPerEU: 1
; Occupancy: 16
; WaveLimiterHint : 0
; COMPUTE_PGM_RSRC2:SCRATCH_EN: 0
; COMPUTE_PGM_RSRC2:USER_SGPR: 2
; COMPUTE_PGM_RSRC2:TRAP_HANDLER: 0
; COMPUTE_PGM_RSRC2:TGID_X_EN: 1
; COMPUTE_PGM_RSRC2:TGID_Y_EN: 0
; COMPUTE_PGM_RSRC2:TGID_Z_EN: 0
; COMPUTE_PGM_RSRC2:TIDIG_COMP_CNT: 0
	.section	.text._ZN7rocprim17ROCPRIM_400000_NS6detail17trampoline_kernelINS0_14default_configENS1_25partition_config_selectorILNS1_17partition_subalgoE6EiNS0_10empty_typeEbEEZZNS1_14partition_implILS5_6ELb0ES3_mN6thrust23THRUST_200600_302600_NS6detail15normal_iteratorINSA_10device_ptrIiEEEEPS6_SG_NS0_5tupleIJSF_S6_EEENSH_IJSG_SG_EEES6_PlJ6is_oddIiEEEE10hipError_tPvRmT3_T4_T5_T6_T7_T9_mT8_P12ihipStream_tbDpT10_ENKUlT_T0_E_clISt17integral_constantIbLb0EES16_EEDaS11_S12_EUlS11_E_NS1_11comp_targetILNS1_3genE5ELNS1_11target_archE942ELNS1_3gpuE9ELNS1_3repE0EEENS1_30default_config_static_selectorELNS0_4arch9wavefront6targetE0EEEvT1_,"axG",@progbits,_ZN7rocprim17ROCPRIM_400000_NS6detail17trampoline_kernelINS0_14default_configENS1_25partition_config_selectorILNS1_17partition_subalgoE6EiNS0_10empty_typeEbEEZZNS1_14partition_implILS5_6ELb0ES3_mN6thrust23THRUST_200600_302600_NS6detail15normal_iteratorINSA_10device_ptrIiEEEEPS6_SG_NS0_5tupleIJSF_S6_EEENSH_IJSG_SG_EEES6_PlJ6is_oddIiEEEE10hipError_tPvRmT3_T4_T5_T6_T7_T9_mT8_P12ihipStream_tbDpT10_ENKUlT_T0_E_clISt17integral_constantIbLb0EES16_EEDaS11_S12_EUlS11_E_NS1_11comp_targetILNS1_3genE5ELNS1_11target_archE942ELNS1_3gpuE9ELNS1_3repE0EEENS1_30default_config_static_selectorELNS0_4arch9wavefront6targetE0EEEvT1_,comdat
	.protected	_ZN7rocprim17ROCPRIM_400000_NS6detail17trampoline_kernelINS0_14default_configENS1_25partition_config_selectorILNS1_17partition_subalgoE6EiNS0_10empty_typeEbEEZZNS1_14partition_implILS5_6ELb0ES3_mN6thrust23THRUST_200600_302600_NS6detail15normal_iteratorINSA_10device_ptrIiEEEEPS6_SG_NS0_5tupleIJSF_S6_EEENSH_IJSG_SG_EEES6_PlJ6is_oddIiEEEE10hipError_tPvRmT3_T4_T5_T6_T7_T9_mT8_P12ihipStream_tbDpT10_ENKUlT_T0_E_clISt17integral_constantIbLb0EES16_EEDaS11_S12_EUlS11_E_NS1_11comp_targetILNS1_3genE5ELNS1_11target_archE942ELNS1_3gpuE9ELNS1_3repE0EEENS1_30default_config_static_selectorELNS0_4arch9wavefront6targetE0EEEvT1_ ; -- Begin function _ZN7rocprim17ROCPRIM_400000_NS6detail17trampoline_kernelINS0_14default_configENS1_25partition_config_selectorILNS1_17partition_subalgoE6EiNS0_10empty_typeEbEEZZNS1_14partition_implILS5_6ELb0ES3_mN6thrust23THRUST_200600_302600_NS6detail15normal_iteratorINSA_10device_ptrIiEEEEPS6_SG_NS0_5tupleIJSF_S6_EEENSH_IJSG_SG_EEES6_PlJ6is_oddIiEEEE10hipError_tPvRmT3_T4_T5_T6_T7_T9_mT8_P12ihipStream_tbDpT10_ENKUlT_T0_E_clISt17integral_constantIbLb0EES16_EEDaS11_S12_EUlS11_E_NS1_11comp_targetILNS1_3genE5ELNS1_11target_archE942ELNS1_3gpuE9ELNS1_3repE0EEENS1_30default_config_static_selectorELNS0_4arch9wavefront6targetE0EEEvT1_
	.globl	_ZN7rocprim17ROCPRIM_400000_NS6detail17trampoline_kernelINS0_14default_configENS1_25partition_config_selectorILNS1_17partition_subalgoE6EiNS0_10empty_typeEbEEZZNS1_14partition_implILS5_6ELb0ES3_mN6thrust23THRUST_200600_302600_NS6detail15normal_iteratorINSA_10device_ptrIiEEEEPS6_SG_NS0_5tupleIJSF_S6_EEENSH_IJSG_SG_EEES6_PlJ6is_oddIiEEEE10hipError_tPvRmT3_T4_T5_T6_T7_T9_mT8_P12ihipStream_tbDpT10_ENKUlT_T0_E_clISt17integral_constantIbLb0EES16_EEDaS11_S12_EUlS11_E_NS1_11comp_targetILNS1_3genE5ELNS1_11target_archE942ELNS1_3gpuE9ELNS1_3repE0EEENS1_30default_config_static_selectorELNS0_4arch9wavefront6targetE0EEEvT1_
	.p2align	8
	.type	_ZN7rocprim17ROCPRIM_400000_NS6detail17trampoline_kernelINS0_14default_configENS1_25partition_config_selectorILNS1_17partition_subalgoE6EiNS0_10empty_typeEbEEZZNS1_14partition_implILS5_6ELb0ES3_mN6thrust23THRUST_200600_302600_NS6detail15normal_iteratorINSA_10device_ptrIiEEEEPS6_SG_NS0_5tupleIJSF_S6_EEENSH_IJSG_SG_EEES6_PlJ6is_oddIiEEEE10hipError_tPvRmT3_T4_T5_T6_T7_T9_mT8_P12ihipStream_tbDpT10_ENKUlT_T0_E_clISt17integral_constantIbLb0EES16_EEDaS11_S12_EUlS11_E_NS1_11comp_targetILNS1_3genE5ELNS1_11target_archE942ELNS1_3gpuE9ELNS1_3repE0EEENS1_30default_config_static_selectorELNS0_4arch9wavefront6targetE0EEEvT1_,@function
_ZN7rocprim17ROCPRIM_400000_NS6detail17trampoline_kernelINS0_14default_configENS1_25partition_config_selectorILNS1_17partition_subalgoE6EiNS0_10empty_typeEbEEZZNS1_14partition_implILS5_6ELb0ES3_mN6thrust23THRUST_200600_302600_NS6detail15normal_iteratorINSA_10device_ptrIiEEEEPS6_SG_NS0_5tupleIJSF_S6_EEENSH_IJSG_SG_EEES6_PlJ6is_oddIiEEEE10hipError_tPvRmT3_T4_T5_T6_T7_T9_mT8_P12ihipStream_tbDpT10_ENKUlT_T0_E_clISt17integral_constantIbLb0EES16_EEDaS11_S12_EUlS11_E_NS1_11comp_targetILNS1_3genE5ELNS1_11target_archE942ELNS1_3gpuE9ELNS1_3repE0EEENS1_30default_config_static_selectorELNS0_4arch9wavefront6targetE0EEEvT1_: ; @_ZN7rocprim17ROCPRIM_400000_NS6detail17trampoline_kernelINS0_14default_configENS1_25partition_config_selectorILNS1_17partition_subalgoE6EiNS0_10empty_typeEbEEZZNS1_14partition_implILS5_6ELb0ES3_mN6thrust23THRUST_200600_302600_NS6detail15normal_iteratorINSA_10device_ptrIiEEEEPS6_SG_NS0_5tupleIJSF_S6_EEENSH_IJSG_SG_EEES6_PlJ6is_oddIiEEEE10hipError_tPvRmT3_T4_T5_T6_T7_T9_mT8_P12ihipStream_tbDpT10_ENKUlT_T0_E_clISt17integral_constantIbLb0EES16_EEDaS11_S12_EUlS11_E_NS1_11comp_targetILNS1_3genE5ELNS1_11target_archE942ELNS1_3gpuE9ELNS1_3repE0EEENS1_30default_config_static_selectorELNS0_4arch9wavefront6targetE0EEEvT1_
; %bb.0:
	.section	.rodata,"a",@progbits
	.p2align	6, 0x0
	.amdhsa_kernel _ZN7rocprim17ROCPRIM_400000_NS6detail17trampoline_kernelINS0_14default_configENS1_25partition_config_selectorILNS1_17partition_subalgoE6EiNS0_10empty_typeEbEEZZNS1_14partition_implILS5_6ELb0ES3_mN6thrust23THRUST_200600_302600_NS6detail15normal_iteratorINSA_10device_ptrIiEEEEPS6_SG_NS0_5tupleIJSF_S6_EEENSH_IJSG_SG_EEES6_PlJ6is_oddIiEEEE10hipError_tPvRmT3_T4_T5_T6_T7_T9_mT8_P12ihipStream_tbDpT10_ENKUlT_T0_E_clISt17integral_constantIbLb0EES16_EEDaS11_S12_EUlS11_E_NS1_11comp_targetILNS1_3genE5ELNS1_11target_archE942ELNS1_3gpuE9ELNS1_3repE0EEENS1_30default_config_static_selectorELNS0_4arch9wavefront6targetE0EEEvT1_
		.amdhsa_group_segment_fixed_size 0
		.amdhsa_private_segment_fixed_size 0
		.amdhsa_kernarg_size 112
		.amdhsa_user_sgpr_count 2
		.amdhsa_user_sgpr_dispatch_ptr 0
		.amdhsa_user_sgpr_queue_ptr 0
		.amdhsa_user_sgpr_kernarg_segment_ptr 1
		.amdhsa_user_sgpr_dispatch_id 0
		.amdhsa_user_sgpr_private_segment_size 0
		.amdhsa_wavefront_size32 1
		.amdhsa_uses_dynamic_stack 0
		.amdhsa_enable_private_segment 0
		.amdhsa_system_sgpr_workgroup_id_x 1
		.amdhsa_system_sgpr_workgroup_id_y 0
		.amdhsa_system_sgpr_workgroup_id_z 0
		.amdhsa_system_sgpr_workgroup_info 0
		.amdhsa_system_vgpr_workitem_id 0
		.amdhsa_next_free_vgpr 1
		.amdhsa_next_free_sgpr 1
		.amdhsa_reserve_vcc 0
		.amdhsa_float_round_mode_32 0
		.amdhsa_float_round_mode_16_64 0
		.amdhsa_float_denorm_mode_32 3
		.amdhsa_float_denorm_mode_16_64 3
		.amdhsa_fp16_overflow 0
		.amdhsa_workgroup_processor_mode 1
		.amdhsa_memory_ordered 1
		.amdhsa_forward_progress 1
		.amdhsa_inst_pref_size 0
		.amdhsa_round_robin_scheduling 0
		.amdhsa_exception_fp_ieee_invalid_op 0
		.amdhsa_exception_fp_denorm_src 0
		.amdhsa_exception_fp_ieee_div_zero 0
		.amdhsa_exception_fp_ieee_overflow 0
		.amdhsa_exception_fp_ieee_underflow 0
		.amdhsa_exception_fp_ieee_inexact 0
		.amdhsa_exception_int_div_zero 0
	.end_amdhsa_kernel
	.section	.text._ZN7rocprim17ROCPRIM_400000_NS6detail17trampoline_kernelINS0_14default_configENS1_25partition_config_selectorILNS1_17partition_subalgoE6EiNS0_10empty_typeEbEEZZNS1_14partition_implILS5_6ELb0ES3_mN6thrust23THRUST_200600_302600_NS6detail15normal_iteratorINSA_10device_ptrIiEEEEPS6_SG_NS0_5tupleIJSF_S6_EEENSH_IJSG_SG_EEES6_PlJ6is_oddIiEEEE10hipError_tPvRmT3_T4_T5_T6_T7_T9_mT8_P12ihipStream_tbDpT10_ENKUlT_T0_E_clISt17integral_constantIbLb0EES16_EEDaS11_S12_EUlS11_E_NS1_11comp_targetILNS1_3genE5ELNS1_11target_archE942ELNS1_3gpuE9ELNS1_3repE0EEENS1_30default_config_static_selectorELNS0_4arch9wavefront6targetE0EEEvT1_,"axG",@progbits,_ZN7rocprim17ROCPRIM_400000_NS6detail17trampoline_kernelINS0_14default_configENS1_25partition_config_selectorILNS1_17partition_subalgoE6EiNS0_10empty_typeEbEEZZNS1_14partition_implILS5_6ELb0ES3_mN6thrust23THRUST_200600_302600_NS6detail15normal_iteratorINSA_10device_ptrIiEEEEPS6_SG_NS0_5tupleIJSF_S6_EEENSH_IJSG_SG_EEES6_PlJ6is_oddIiEEEE10hipError_tPvRmT3_T4_T5_T6_T7_T9_mT8_P12ihipStream_tbDpT10_ENKUlT_T0_E_clISt17integral_constantIbLb0EES16_EEDaS11_S12_EUlS11_E_NS1_11comp_targetILNS1_3genE5ELNS1_11target_archE942ELNS1_3gpuE9ELNS1_3repE0EEENS1_30default_config_static_selectorELNS0_4arch9wavefront6targetE0EEEvT1_,comdat
.Lfunc_end5:
	.size	_ZN7rocprim17ROCPRIM_400000_NS6detail17trampoline_kernelINS0_14default_configENS1_25partition_config_selectorILNS1_17partition_subalgoE6EiNS0_10empty_typeEbEEZZNS1_14partition_implILS5_6ELb0ES3_mN6thrust23THRUST_200600_302600_NS6detail15normal_iteratorINSA_10device_ptrIiEEEEPS6_SG_NS0_5tupleIJSF_S6_EEENSH_IJSG_SG_EEES6_PlJ6is_oddIiEEEE10hipError_tPvRmT3_T4_T5_T6_T7_T9_mT8_P12ihipStream_tbDpT10_ENKUlT_T0_E_clISt17integral_constantIbLb0EES16_EEDaS11_S12_EUlS11_E_NS1_11comp_targetILNS1_3genE5ELNS1_11target_archE942ELNS1_3gpuE9ELNS1_3repE0EEENS1_30default_config_static_selectorELNS0_4arch9wavefront6targetE0EEEvT1_, .Lfunc_end5-_ZN7rocprim17ROCPRIM_400000_NS6detail17trampoline_kernelINS0_14default_configENS1_25partition_config_selectorILNS1_17partition_subalgoE6EiNS0_10empty_typeEbEEZZNS1_14partition_implILS5_6ELb0ES3_mN6thrust23THRUST_200600_302600_NS6detail15normal_iteratorINSA_10device_ptrIiEEEEPS6_SG_NS0_5tupleIJSF_S6_EEENSH_IJSG_SG_EEES6_PlJ6is_oddIiEEEE10hipError_tPvRmT3_T4_T5_T6_T7_T9_mT8_P12ihipStream_tbDpT10_ENKUlT_T0_E_clISt17integral_constantIbLb0EES16_EEDaS11_S12_EUlS11_E_NS1_11comp_targetILNS1_3genE5ELNS1_11target_archE942ELNS1_3gpuE9ELNS1_3repE0EEENS1_30default_config_static_selectorELNS0_4arch9wavefront6targetE0EEEvT1_
                                        ; -- End function
	.set _ZN7rocprim17ROCPRIM_400000_NS6detail17trampoline_kernelINS0_14default_configENS1_25partition_config_selectorILNS1_17partition_subalgoE6EiNS0_10empty_typeEbEEZZNS1_14partition_implILS5_6ELb0ES3_mN6thrust23THRUST_200600_302600_NS6detail15normal_iteratorINSA_10device_ptrIiEEEEPS6_SG_NS0_5tupleIJSF_S6_EEENSH_IJSG_SG_EEES6_PlJ6is_oddIiEEEE10hipError_tPvRmT3_T4_T5_T6_T7_T9_mT8_P12ihipStream_tbDpT10_ENKUlT_T0_E_clISt17integral_constantIbLb0EES16_EEDaS11_S12_EUlS11_E_NS1_11comp_targetILNS1_3genE5ELNS1_11target_archE942ELNS1_3gpuE9ELNS1_3repE0EEENS1_30default_config_static_selectorELNS0_4arch9wavefront6targetE0EEEvT1_.num_vgpr, 0
	.set _ZN7rocprim17ROCPRIM_400000_NS6detail17trampoline_kernelINS0_14default_configENS1_25partition_config_selectorILNS1_17partition_subalgoE6EiNS0_10empty_typeEbEEZZNS1_14partition_implILS5_6ELb0ES3_mN6thrust23THRUST_200600_302600_NS6detail15normal_iteratorINSA_10device_ptrIiEEEEPS6_SG_NS0_5tupleIJSF_S6_EEENSH_IJSG_SG_EEES6_PlJ6is_oddIiEEEE10hipError_tPvRmT3_T4_T5_T6_T7_T9_mT8_P12ihipStream_tbDpT10_ENKUlT_T0_E_clISt17integral_constantIbLb0EES16_EEDaS11_S12_EUlS11_E_NS1_11comp_targetILNS1_3genE5ELNS1_11target_archE942ELNS1_3gpuE9ELNS1_3repE0EEENS1_30default_config_static_selectorELNS0_4arch9wavefront6targetE0EEEvT1_.num_agpr, 0
	.set _ZN7rocprim17ROCPRIM_400000_NS6detail17trampoline_kernelINS0_14default_configENS1_25partition_config_selectorILNS1_17partition_subalgoE6EiNS0_10empty_typeEbEEZZNS1_14partition_implILS5_6ELb0ES3_mN6thrust23THRUST_200600_302600_NS6detail15normal_iteratorINSA_10device_ptrIiEEEEPS6_SG_NS0_5tupleIJSF_S6_EEENSH_IJSG_SG_EEES6_PlJ6is_oddIiEEEE10hipError_tPvRmT3_T4_T5_T6_T7_T9_mT8_P12ihipStream_tbDpT10_ENKUlT_T0_E_clISt17integral_constantIbLb0EES16_EEDaS11_S12_EUlS11_E_NS1_11comp_targetILNS1_3genE5ELNS1_11target_archE942ELNS1_3gpuE9ELNS1_3repE0EEENS1_30default_config_static_selectorELNS0_4arch9wavefront6targetE0EEEvT1_.numbered_sgpr, 0
	.set _ZN7rocprim17ROCPRIM_400000_NS6detail17trampoline_kernelINS0_14default_configENS1_25partition_config_selectorILNS1_17partition_subalgoE6EiNS0_10empty_typeEbEEZZNS1_14partition_implILS5_6ELb0ES3_mN6thrust23THRUST_200600_302600_NS6detail15normal_iteratorINSA_10device_ptrIiEEEEPS6_SG_NS0_5tupleIJSF_S6_EEENSH_IJSG_SG_EEES6_PlJ6is_oddIiEEEE10hipError_tPvRmT3_T4_T5_T6_T7_T9_mT8_P12ihipStream_tbDpT10_ENKUlT_T0_E_clISt17integral_constantIbLb0EES16_EEDaS11_S12_EUlS11_E_NS1_11comp_targetILNS1_3genE5ELNS1_11target_archE942ELNS1_3gpuE9ELNS1_3repE0EEENS1_30default_config_static_selectorELNS0_4arch9wavefront6targetE0EEEvT1_.num_named_barrier, 0
	.set _ZN7rocprim17ROCPRIM_400000_NS6detail17trampoline_kernelINS0_14default_configENS1_25partition_config_selectorILNS1_17partition_subalgoE6EiNS0_10empty_typeEbEEZZNS1_14partition_implILS5_6ELb0ES3_mN6thrust23THRUST_200600_302600_NS6detail15normal_iteratorINSA_10device_ptrIiEEEEPS6_SG_NS0_5tupleIJSF_S6_EEENSH_IJSG_SG_EEES6_PlJ6is_oddIiEEEE10hipError_tPvRmT3_T4_T5_T6_T7_T9_mT8_P12ihipStream_tbDpT10_ENKUlT_T0_E_clISt17integral_constantIbLb0EES16_EEDaS11_S12_EUlS11_E_NS1_11comp_targetILNS1_3genE5ELNS1_11target_archE942ELNS1_3gpuE9ELNS1_3repE0EEENS1_30default_config_static_selectorELNS0_4arch9wavefront6targetE0EEEvT1_.private_seg_size, 0
	.set _ZN7rocprim17ROCPRIM_400000_NS6detail17trampoline_kernelINS0_14default_configENS1_25partition_config_selectorILNS1_17partition_subalgoE6EiNS0_10empty_typeEbEEZZNS1_14partition_implILS5_6ELb0ES3_mN6thrust23THRUST_200600_302600_NS6detail15normal_iteratorINSA_10device_ptrIiEEEEPS6_SG_NS0_5tupleIJSF_S6_EEENSH_IJSG_SG_EEES6_PlJ6is_oddIiEEEE10hipError_tPvRmT3_T4_T5_T6_T7_T9_mT8_P12ihipStream_tbDpT10_ENKUlT_T0_E_clISt17integral_constantIbLb0EES16_EEDaS11_S12_EUlS11_E_NS1_11comp_targetILNS1_3genE5ELNS1_11target_archE942ELNS1_3gpuE9ELNS1_3repE0EEENS1_30default_config_static_selectorELNS0_4arch9wavefront6targetE0EEEvT1_.uses_vcc, 0
	.set _ZN7rocprim17ROCPRIM_400000_NS6detail17trampoline_kernelINS0_14default_configENS1_25partition_config_selectorILNS1_17partition_subalgoE6EiNS0_10empty_typeEbEEZZNS1_14partition_implILS5_6ELb0ES3_mN6thrust23THRUST_200600_302600_NS6detail15normal_iteratorINSA_10device_ptrIiEEEEPS6_SG_NS0_5tupleIJSF_S6_EEENSH_IJSG_SG_EEES6_PlJ6is_oddIiEEEE10hipError_tPvRmT3_T4_T5_T6_T7_T9_mT8_P12ihipStream_tbDpT10_ENKUlT_T0_E_clISt17integral_constantIbLb0EES16_EEDaS11_S12_EUlS11_E_NS1_11comp_targetILNS1_3genE5ELNS1_11target_archE942ELNS1_3gpuE9ELNS1_3repE0EEENS1_30default_config_static_selectorELNS0_4arch9wavefront6targetE0EEEvT1_.uses_flat_scratch, 0
	.set _ZN7rocprim17ROCPRIM_400000_NS6detail17trampoline_kernelINS0_14default_configENS1_25partition_config_selectorILNS1_17partition_subalgoE6EiNS0_10empty_typeEbEEZZNS1_14partition_implILS5_6ELb0ES3_mN6thrust23THRUST_200600_302600_NS6detail15normal_iteratorINSA_10device_ptrIiEEEEPS6_SG_NS0_5tupleIJSF_S6_EEENSH_IJSG_SG_EEES6_PlJ6is_oddIiEEEE10hipError_tPvRmT3_T4_T5_T6_T7_T9_mT8_P12ihipStream_tbDpT10_ENKUlT_T0_E_clISt17integral_constantIbLb0EES16_EEDaS11_S12_EUlS11_E_NS1_11comp_targetILNS1_3genE5ELNS1_11target_archE942ELNS1_3gpuE9ELNS1_3repE0EEENS1_30default_config_static_selectorELNS0_4arch9wavefront6targetE0EEEvT1_.has_dyn_sized_stack, 0
	.set _ZN7rocprim17ROCPRIM_400000_NS6detail17trampoline_kernelINS0_14default_configENS1_25partition_config_selectorILNS1_17partition_subalgoE6EiNS0_10empty_typeEbEEZZNS1_14partition_implILS5_6ELb0ES3_mN6thrust23THRUST_200600_302600_NS6detail15normal_iteratorINSA_10device_ptrIiEEEEPS6_SG_NS0_5tupleIJSF_S6_EEENSH_IJSG_SG_EEES6_PlJ6is_oddIiEEEE10hipError_tPvRmT3_T4_T5_T6_T7_T9_mT8_P12ihipStream_tbDpT10_ENKUlT_T0_E_clISt17integral_constantIbLb0EES16_EEDaS11_S12_EUlS11_E_NS1_11comp_targetILNS1_3genE5ELNS1_11target_archE942ELNS1_3gpuE9ELNS1_3repE0EEENS1_30default_config_static_selectorELNS0_4arch9wavefront6targetE0EEEvT1_.has_recursion, 0
	.set _ZN7rocprim17ROCPRIM_400000_NS6detail17trampoline_kernelINS0_14default_configENS1_25partition_config_selectorILNS1_17partition_subalgoE6EiNS0_10empty_typeEbEEZZNS1_14partition_implILS5_6ELb0ES3_mN6thrust23THRUST_200600_302600_NS6detail15normal_iteratorINSA_10device_ptrIiEEEEPS6_SG_NS0_5tupleIJSF_S6_EEENSH_IJSG_SG_EEES6_PlJ6is_oddIiEEEE10hipError_tPvRmT3_T4_T5_T6_T7_T9_mT8_P12ihipStream_tbDpT10_ENKUlT_T0_E_clISt17integral_constantIbLb0EES16_EEDaS11_S12_EUlS11_E_NS1_11comp_targetILNS1_3genE5ELNS1_11target_archE942ELNS1_3gpuE9ELNS1_3repE0EEENS1_30default_config_static_selectorELNS0_4arch9wavefront6targetE0EEEvT1_.has_indirect_call, 0
	.section	.AMDGPU.csdata,"",@progbits
; Kernel info:
; codeLenInByte = 0
; TotalNumSgprs: 0
; NumVgprs: 0
; ScratchSize: 0
; MemoryBound: 0
; FloatMode: 240
; IeeeMode: 1
; LDSByteSize: 0 bytes/workgroup (compile time only)
; SGPRBlocks: 0
; VGPRBlocks: 0
; NumSGPRsForWavesPerEU: 1
; NumVGPRsForWavesPerEU: 1
; Occupancy: 16
; WaveLimiterHint : 0
; COMPUTE_PGM_RSRC2:SCRATCH_EN: 0
; COMPUTE_PGM_RSRC2:USER_SGPR: 2
; COMPUTE_PGM_RSRC2:TRAP_HANDLER: 0
; COMPUTE_PGM_RSRC2:TGID_X_EN: 1
; COMPUTE_PGM_RSRC2:TGID_Y_EN: 0
; COMPUTE_PGM_RSRC2:TGID_Z_EN: 0
; COMPUTE_PGM_RSRC2:TIDIG_COMP_CNT: 0
	.section	.text._ZN7rocprim17ROCPRIM_400000_NS6detail17trampoline_kernelINS0_14default_configENS1_25partition_config_selectorILNS1_17partition_subalgoE6EiNS0_10empty_typeEbEEZZNS1_14partition_implILS5_6ELb0ES3_mN6thrust23THRUST_200600_302600_NS6detail15normal_iteratorINSA_10device_ptrIiEEEEPS6_SG_NS0_5tupleIJSF_S6_EEENSH_IJSG_SG_EEES6_PlJ6is_oddIiEEEE10hipError_tPvRmT3_T4_T5_T6_T7_T9_mT8_P12ihipStream_tbDpT10_ENKUlT_T0_E_clISt17integral_constantIbLb0EES16_EEDaS11_S12_EUlS11_E_NS1_11comp_targetILNS1_3genE4ELNS1_11target_archE910ELNS1_3gpuE8ELNS1_3repE0EEENS1_30default_config_static_selectorELNS0_4arch9wavefront6targetE0EEEvT1_,"axG",@progbits,_ZN7rocprim17ROCPRIM_400000_NS6detail17trampoline_kernelINS0_14default_configENS1_25partition_config_selectorILNS1_17partition_subalgoE6EiNS0_10empty_typeEbEEZZNS1_14partition_implILS5_6ELb0ES3_mN6thrust23THRUST_200600_302600_NS6detail15normal_iteratorINSA_10device_ptrIiEEEEPS6_SG_NS0_5tupleIJSF_S6_EEENSH_IJSG_SG_EEES6_PlJ6is_oddIiEEEE10hipError_tPvRmT3_T4_T5_T6_T7_T9_mT8_P12ihipStream_tbDpT10_ENKUlT_T0_E_clISt17integral_constantIbLb0EES16_EEDaS11_S12_EUlS11_E_NS1_11comp_targetILNS1_3genE4ELNS1_11target_archE910ELNS1_3gpuE8ELNS1_3repE0EEENS1_30default_config_static_selectorELNS0_4arch9wavefront6targetE0EEEvT1_,comdat
	.protected	_ZN7rocprim17ROCPRIM_400000_NS6detail17trampoline_kernelINS0_14default_configENS1_25partition_config_selectorILNS1_17partition_subalgoE6EiNS0_10empty_typeEbEEZZNS1_14partition_implILS5_6ELb0ES3_mN6thrust23THRUST_200600_302600_NS6detail15normal_iteratorINSA_10device_ptrIiEEEEPS6_SG_NS0_5tupleIJSF_S6_EEENSH_IJSG_SG_EEES6_PlJ6is_oddIiEEEE10hipError_tPvRmT3_T4_T5_T6_T7_T9_mT8_P12ihipStream_tbDpT10_ENKUlT_T0_E_clISt17integral_constantIbLb0EES16_EEDaS11_S12_EUlS11_E_NS1_11comp_targetILNS1_3genE4ELNS1_11target_archE910ELNS1_3gpuE8ELNS1_3repE0EEENS1_30default_config_static_selectorELNS0_4arch9wavefront6targetE0EEEvT1_ ; -- Begin function _ZN7rocprim17ROCPRIM_400000_NS6detail17trampoline_kernelINS0_14default_configENS1_25partition_config_selectorILNS1_17partition_subalgoE6EiNS0_10empty_typeEbEEZZNS1_14partition_implILS5_6ELb0ES3_mN6thrust23THRUST_200600_302600_NS6detail15normal_iteratorINSA_10device_ptrIiEEEEPS6_SG_NS0_5tupleIJSF_S6_EEENSH_IJSG_SG_EEES6_PlJ6is_oddIiEEEE10hipError_tPvRmT3_T4_T5_T6_T7_T9_mT8_P12ihipStream_tbDpT10_ENKUlT_T0_E_clISt17integral_constantIbLb0EES16_EEDaS11_S12_EUlS11_E_NS1_11comp_targetILNS1_3genE4ELNS1_11target_archE910ELNS1_3gpuE8ELNS1_3repE0EEENS1_30default_config_static_selectorELNS0_4arch9wavefront6targetE0EEEvT1_
	.globl	_ZN7rocprim17ROCPRIM_400000_NS6detail17trampoline_kernelINS0_14default_configENS1_25partition_config_selectorILNS1_17partition_subalgoE6EiNS0_10empty_typeEbEEZZNS1_14partition_implILS5_6ELb0ES3_mN6thrust23THRUST_200600_302600_NS6detail15normal_iteratorINSA_10device_ptrIiEEEEPS6_SG_NS0_5tupleIJSF_S6_EEENSH_IJSG_SG_EEES6_PlJ6is_oddIiEEEE10hipError_tPvRmT3_T4_T5_T6_T7_T9_mT8_P12ihipStream_tbDpT10_ENKUlT_T0_E_clISt17integral_constantIbLb0EES16_EEDaS11_S12_EUlS11_E_NS1_11comp_targetILNS1_3genE4ELNS1_11target_archE910ELNS1_3gpuE8ELNS1_3repE0EEENS1_30default_config_static_selectorELNS0_4arch9wavefront6targetE0EEEvT1_
	.p2align	8
	.type	_ZN7rocprim17ROCPRIM_400000_NS6detail17trampoline_kernelINS0_14default_configENS1_25partition_config_selectorILNS1_17partition_subalgoE6EiNS0_10empty_typeEbEEZZNS1_14partition_implILS5_6ELb0ES3_mN6thrust23THRUST_200600_302600_NS6detail15normal_iteratorINSA_10device_ptrIiEEEEPS6_SG_NS0_5tupleIJSF_S6_EEENSH_IJSG_SG_EEES6_PlJ6is_oddIiEEEE10hipError_tPvRmT3_T4_T5_T6_T7_T9_mT8_P12ihipStream_tbDpT10_ENKUlT_T0_E_clISt17integral_constantIbLb0EES16_EEDaS11_S12_EUlS11_E_NS1_11comp_targetILNS1_3genE4ELNS1_11target_archE910ELNS1_3gpuE8ELNS1_3repE0EEENS1_30default_config_static_selectorELNS0_4arch9wavefront6targetE0EEEvT1_,@function
_ZN7rocprim17ROCPRIM_400000_NS6detail17trampoline_kernelINS0_14default_configENS1_25partition_config_selectorILNS1_17partition_subalgoE6EiNS0_10empty_typeEbEEZZNS1_14partition_implILS5_6ELb0ES3_mN6thrust23THRUST_200600_302600_NS6detail15normal_iteratorINSA_10device_ptrIiEEEEPS6_SG_NS0_5tupleIJSF_S6_EEENSH_IJSG_SG_EEES6_PlJ6is_oddIiEEEE10hipError_tPvRmT3_T4_T5_T6_T7_T9_mT8_P12ihipStream_tbDpT10_ENKUlT_T0_E_clISt17integral_constantIbLb0EES16_EEDaS11_S12_EUlS11_E_NS1_11comp_targetILNS1_3genE4ELNS1_11target_archE910ELNS1_3gpuE8ELNS1_3repE0EEENS1_30default_config_static_selectorELNS0_4arch9wavefront6targetE0EEEvT1_: ; @_ZN7rocprim17ROCPRIM_400000_NS6detail17trampoline_kernelINS0_14default_configENS1_25partition_config_selectorILNS1_17partition_subalgoE6EiNS0_10empty_typeEbEEZZNS1_14partition_implILS5_6ELb0ES3_mN6thrust23THRUST_200600_302600_NS6detail15normal_iteratorINSA_10device_ptrIiEEEEPS6_SG_NS0_5tupleIJSF_S6_EEENSH_IJSG_SG_EEES6_PlJ6is_oddIiEEEE10hipError_tPvRmT3_T4_T5_T6_T7_T9_mT8_P12ihipStream_tbDpT10_ENKUlT_T0_E_clISt17integral_constantIbLb0EES16_EEDaS11_S12_EUlS11_E_NS1_11comp_targetILNS1_3genE4ELNS1_11target_archE910ELNS1_3gpuE8ELNS1_3repE0EEENS1_30default_config_static_selectorELNS0_4arch9wavefront6targetE0EEEvT1_
; %bb.0:
	.section	.rodata,"a",@progbits
	.p2align	6, 0x0
	.amdhsa_kernel _ZN7rocprim17ROCPRIM_400000_NS6detail17trampoline_kernelINS0_14default_configENS1_25partition_config_selectorILNS1_17partition_subalgoE6EiNS0_10empty_typeEbEEZZNS1_14partition_implILS5_6ELb0ES3_mN6thrust23THRUST_200600_302600_NS6detail15normal_iteratorINSA_10device_ptrIiEEEEPS6_SG_NS0_5tupleIJSF_S6_EEENSH_IJSG_SG_EEES6_PlJ6is_oddIiEEEE10hipError_tPvRmT3_T4_T5_T6_T7_T9_mT8_P12ihipStream_tbDpT10_ENKUlT_T0_E_clISt17integral_constantIbLb0EES16_EEDaS11_S12_EUlS11_E_NS1_11comp_targetILNS1_3genE4ELNS1_11target_archE910ELNS1_3gpuE8ELNS1_3repE0EEENS1_30default_config_static_selectorELNS0_4arch9wavefront6targetE0EEEvT1_
		.amdhsa_group_segment_fixed_size 0
		.amdhsa_private_segment_fixed_size 0
		.amdhsa_kernarg_size 112
		.amdhsa_user_sgpr_count 2
		.amdhsa_user_sgpr_dispatch_ptr 0
		.amdhsa_user_sgpr_queue_ptr 0
		.amdhsa_user_sgpr_kernarg_segment_ptr 1
		.amdhsa_user_sgpr_dispatch_id 0
		.amdhsa_user_sgpr_private_segment_size 0
		.amdhsa_wavefront_size32 1
		.amdhsa_uses_dynamic_stack 0
		.amdhsa_enable_private_segment 0
		.amdhsa_system_sgpr_workgroup_id_x 1
		.amdhsa_system_sgpr_workgroup_id_y 0
		.amdhsa_system_sgpr_workgroup_id_z 0
		.amdhsa_system_sgpr_workgroup_info 0
		.amdhsa_system_vgpr_workitem_id 0
		.amdhsa_next_free_vgpr 1
		.amdhsa_next_free_sgpr 1
		.amdhsa_reserve_vcc 0
		.amdhsa_float_round_mode_32 0
		.amdhsa_float_round_mode_16_64 0
		.amdhsa_float_denorm_mode_32 3
		.amdhsa_float_denorm_mode_16_64 3
		.amdhsa_fp16_overflow 0
		.amdhsa_workgroup_processor_mode 1
		.amdhsa_memory_ordered 1
		.amdhsa_forward_progress 1
		.amdhsa_inst_pref_size 0
		.amdhsa_round_robin_scheduling 0
		.amdhsa_exception_fp_ieee_invalid_op 0
		.amdhsa_exception_fp_denorm_src 0
		.amdhsa_exception_fp_ieee_div_zero 0
		.amdhsa_exception_fp_ieee_overflow 0
		.amdhsa_exception_fp_ieee_underflow 0
		.amdhsa_exception_fp_ieee_inexact 0
		.amdhsa_exception_int_div_zero 0
	.end_amdhsa_kernel
	.section	.text._ZN7rocprim17ROCPRIM_400000_NS6detail17trampoline_kernelINS0_14default_configENS1_25partition_config_selectorILNS1_17partition_subalgoE6EiNS0_10empty_typeEbEEZZNS1_14partition_implILS5_6ELb0ES3_mN6thrust23THRUST_200600_302600_NS6detail15normal_iteratorINSA_10device_ptrIiEEEEPS6_SG_NS0_5tupleIJSF_S6_EEENSH_IJSG_SG_EEES6_PlJ6is_oddIiEEEE10hipError_tPvRmT3_T4_T5_T6_T7_T9_mT8_P12ihipStream_tbDpT10_ENKUlT_T0_E_clISt17integral_constantIbLb0EES16_EEDaS11_S12_EUlS11_E_NS1_11comp_targetILNS1_3genE4ELNS1_11target_archE910ELNS1_3gpuE8ELNS1_3repE0EEENS1_30default_config_static_selectorELNS0_4arch9wavefront6targetE0EEEvT1_,"axG",@progbits,_ZN7rocprim17ROCPRIM_400000_NS6detail17trampoline_kernelINS0_14default_configENS1_25partition_config_selectorILNS1_17partition_subalgoE6EiNS0_10empty_typeEbEEZZNS1_14partition_implILS5_6ELb0ES3_mN6thrust23THRUST_200600_302600_NS6detail15normal_iteratorINSA_10device_ptrIiEEEEPS6_SG_NS0_5tupleIJSF_S6_EEENSH_IJSG_SG_EEES6_PlJ6is_oddIiEEEE10hipError_tPvRmT3_T4_T5_T6_T7_T9_mT8_P12ihipStream_tbDpT10_ENKUlT_T0_E_clISt17integral_constantIbLb0EES16_EEDaS11_S12_EUlS11_E_NS1_11comp_targetILNS1_3genE4ELNS1_11target_archE910ELNS1_3gpuE8ELNS1_3repE0EEENS1_30default_config_static_selectorELNS0_4arch9wavefront6targetE0EEEvT1_,comdat
.Lfunc_end6:
	.size	_ZN7rocprim17ROCPRIM_400000_NS6detail17trampoline_kernelINS0_14default_configENS1_25partition_config_selectorILNS1_17partition_subalgoE6EiNS0_10empty_typeEbEEZZNS1_14partition_implILS5_6ELb0ES3_mN6thrust23THRUST_200600_302600_NS6detail15normal_iteratorINSA_10device_ptrIiEEEEPS6_SG_NS0_5tupleIJSF_S6_EEENSH_IJSG_SG_EEES6_PlJ6is_oddIiEEEE10hipError_tPvRmT3_T4_T5_T6_T7_T9_mT8_P12ihipStream_tbDpT10_ENKUlT_T0_E_clISt17integral_constantIbLb0EES16_EEDaS11_S12_EUlS11_E_NS1_11comp_targetILNS1_3genE4ELNS1_11target_archE910ELNS1_3gpuE8ELNS1_3repE0EEENS1_30default_config_static_selectorELNS0_4arch9wavefront6targetE0EEEvT1_, .Lfunc_end6-_ZN7rocprim17ROCPRIM_400000_NS6detail17trampoline_kernelINS0_14default_configENS1_25partition_config_selectorILNS1_17partition_subalgoE6EiNS0_10empty_typeEbEEZZNS1_14partition_implILS5_6ELb0ES3_mN6thrust23THRUST_200600_302600_NS6detail15normal_iteratorINSA_10device_ptrIiEEEEPS6_SG_NS0_5tupleIJSF_S6_EEENSH_IJSG_SG_EEES6_PlJ6is_oddIiEEEE10hipError_tPvRmT3_T4_T5_T6_T7_T9_mT8_P12ihipStream_tbDpT10_ENKUlT_T0_E_clISt17integral_constantIbLb0EES16_EEDaS11_S12_EUlS11_E_NS1_11comp_targetILNS1_3genE4ELNS1_11target_archE910ELNS1_3gpuE8ELNS1_3repE0EEENS1_30default_config_static_selectorELNS0_4arch9wavefront6targetE0EEEvT1_
                                        ; -- End function
	.set _ZN7rocprim17ROCPRIM_400000_NS6detail17trampoline_kernelINS0_14default_configENS1_25partition_config_selectorILNS1_17partition_subalgoE6EiNS0_10empty_typeEbEEZZNS1_14partition_implILS5_6ELb0ES3_mN6thrust23THRUST_200600_302600_NS6detail15normal_iteratorINSA_10device_ptrIiEEEEPS6_SG_NS0_5tupleIJSF_S6_EEENSH_IJSG_SG_EEES6_PlJ6is_oddIiEEEE10hipError_tPvRmT3_T4_T5_T6_T7_T9_mT8_P12ihipStream_tbDpT10_ENKUlT_T0_E_clISt17integral_constantIbLb0EES16_EEDaS11_S12_EUlS11_E_NS1_11comp_targetILNS1_3genE4ELNS1_11target_archE910ELNS1_3gpuE8ELNS1_3repE0EEENS1_30default_config_static_selectorELNS0_4arch9wavefront6targetE0EEEvT1_.num_vgpr, 0
	.set _ZN7rocprim17ROCPRIM_400000_NS6detail17trampoline_kernelINS0_14default_configENS1_25partition_config_selectorILNS1_17partition_subalgoE6EiNS0_10empty_typeEbEEZZNS1_14partition_implILS5_6ELb0ES3_mN6thrust23THRUST_200600_302600_NS6detail15normal_iteratorINSA_10device_ptrIiEEEEPS6_SG_NS0_5tupleIJSF_S6_EEENSH_IJSG_SG_EEES6_PlJ6is_oddIiEEEE10hipError_tPvRmT3_T4_T5_T6_T7_T9_mT8_P12ihipStream_tbDpT10_ENKUlT_T0_E_clISt17integral_constantIbLb0EES16_EEDaS11_S12_EUlS11_E_NS1_11comp_targetILNS1_3genE4ELNS1_11target_archE910ELNS1_3gpuE8ELNS1_3repE0EEENS1_30default_config_static_selectorELNS0_4arch9wavefront6targetE0EEEvT1_.num_agpr, 0
	.set _ZN7rocprim17ROCPRIM_400000_NS6detail17trampoline_kernelINS0_14default_configENS1_25partition_config_selectorILNS1_17partition_subalgoE6EiNS0_10empty_typeEbEEZZNS1_14partition_implILS5_6ELb0ES3_mN6thrust23THRUST_200600_302600_NS6detail15normal_iteratorINSA_10device_ptrIiEEEEPS6_SG_NS0_5tupleIJSF_S6_EEENSH_IJSG_SG_EEES6_PlJ6is_oddIiEEEE10hipError_tPvRmT3_T4_T5_T6_T7_T9_mT8_P12ihipStream_tbDpT10_ENKUlT_T0_E_clISt17integral_constantIbLb0EES16_EEDaS11_S12_EUlS11_E_NS1_11comp_targetILNS1_3genE4ELNS1_11target_archE910ELNS1_3gpuE8ELNS1_3repE0EEENS1_30default_config_static_selectorELNS0_4arch9wavefront6targetE0EEEvT1_.numbered_sgpr, 0
	.set _ZN7rocprim17ROCPRIM_400000_NS6detail17trampoline_kernelINS0_14default_configENS1_25partition_config_selectorILNS1_17partition_subalgoE6EiNS0_10empty_typeEbEEZZNS1_14partition_implILS5_6ELb0ES3_mN6thrust23THRUST_200600_302600_NS6detail15normal_iteratorINSA_10device_ptrIiEEEEPS6_SG_NS0_5tupleIJSF_S6_EEENSH_IJSG_SG_EEES6_PlJ6is_oddIiEEEE10hipError_tPvRmT3_T4_T5_T6_T7_T9_mT8_P12ihipStream_tbDpT10_ENKUlT_T0_E_clISt17integral_constantIbLb0EES16_EEDaS11_S12_EUlS11_E_NS1_11comp_targetILNS1_3genE4ELNS1_11target_archE910ELNS1_3gpuE8ELNS1_3repE0EEENS1_30default_config_static_selectorELNS0_4arch9wavefront6targetE0EEEvT1_.num_named_barrier, 0
	.set _ZN7rocprim17ROCPRIM_400000_NS6detail17trampoline_kernelINS0_14default_configENS1_25partition_config_selectorILNS1_17partition_subalgoE6EiNS0_10empty_typeEbEEZZNS1_14partition_implILS5_6ELb0ES3_mN6thrust23THRUST_200600_302600_NS6detail15normal_iteratorINSA_10device_ptrIiEEEEPS6_SG_NS0_5tupleIJSF_S6_EEENSH_IJSG_SG_EEES6_PlJ6is_oddIiEEEE10hipError_tPvRmT3_T4_T5_T6_T7_T9_mT8_P12ihipStream_tbDpT10_ENKUlT_T0_E_clISt17integral_constantIbLb0EES16_EEDaS11_S12_EUlS11_E_NS1_11comp_targetILNS1_3genE4ELNS1_11target_archE910ELNS1_3gpuE8ELNS1_3repE0EEENS1_30default_config_static_selectorELNS0_4arch9wavefront6targetE0EEEvT1_.private_seg_size, 0
	.set _ZN7rocprim17ROCPRIM_400000_NS6detail17trampoline_kernelINS0_14default_configENS1_25partition_config_selectorILNS1_17partition_subalgoE6EiNS0_10empty_typeEbEEZZNS1_14partition_implILS5_6ELb0ES3_mN6thrust23THRUST_200600_302600_NS6detail15normal_iteratorINSA_10device_ptrIiEEEEPS6_SG_NS0_5tupleIJSF_S6_EEENSH_IJSG_SG_EEES6_PlJ6is_oddIiEEEE10hipError_tPvRmT3_T4_T5_T6_T7_T9_mT8_P12ihipStream_tbDpT10_ENKUlT_T0_E_clISt17integral_constantIbLb0EES16_EEDaS11_S12_EUlS11_E_NS1_11comp_targetILNS1_3genE4ELNS1_11target_archE910ELNS1_3gpuE8ELNS1_3repE0EEENS1_30default_config_static_selectorELNS0_4arch9wavefront6targetE0EEEvT1_.uses_vcc, 0
	.set _ZN7rocprim17ROCPRIM_400000_NS6detail17trampoline_kernelINS0_14default_configENS1_25partition_config_selectorILNS1_17partition_subalgoE6EiNS0_10empty_typeEbEEZZNS1_14partition_implILS5_6ELb0ES3_mN6thrust23THRUST_200600_302600_NS6detail15normal_iteratorINSA_10device_ptrIiEEEEPS6_SG_NS0_5tupleIJSF_S6_EEENSH_IJSG_SG_EEES6_PlJ6is_oddIiEEEE10hipError_tPvRmT3_T4_T5_T6_T7_T9_mT8_P12ihipStream_tbDpT10_ENKUlT_T0_E_clISt17integral_constantIbLb0EES16_EEDaS11_S12_EUlS11_E_NS1_11comp_targetILNS1_3genE4ELNS1_11target_archE910ELNS1_3gpuE8ELNS1_3repE0EEENS1_30default_config_static_selectorELNS0_4arch9wavefront6targetE0EEEvT1_.uses_flat_scratch, 0
	.set _ZN7rocprim17ROCPRIM_400000_NS6detail17trampoline_kernelINS0_14default_configENS1_25partition_config_selectorILNS1_17partition_subalgoE6EiNS0_10empty_typeEbEEZZNS1_14partition_implILS5_6ELb0ES3_mN6thrust23THRUST_200600_302600_NS6detail15normal_iteratorINSA_10device_ptrIiEEEEPS6_SG_NS0_5tupleIJSF_S6_EEENSH_IJSG_SG_EEES6_PlJ6is_oddIiEEEE10hipError_tPvRmT3_T4_T5_T6_T7_T9_mT8_P12ihipStream_tbDpT10_ENKUlT_T0_E_clISt17integral_constantIbLb0EES16_EEDaS11_S12_EUlS11_E_NS1_11comp_targetILNS1_3genE4ELNS1_11target_archE910ELNS1_3gpuE8ELNS1_3repE0EEENS1_30default_config_static_selectorELNS0_4arch9wavefront6targetE0EEEvT1_.has_dyn_sized_stack, 0
	.set _ZN7rocprim17ROCPRIM_400000_NS6detail17trampoline_kernelINS0_14default_configENS1_25partition_config_selectorILNS1_17partition_subalgoE6EiNS0_10empty_typeEbEEZZNS1_14partition_implILS5_6ELb0ES3_mN6thrust23THRUST_200600_302600_NS6detail15normal_iteratorINSA_10device_ptrIiEEEEPS6_SG_NS0_5tupleIJSF_S6_EEENSH_IJSG_SG_EEES6_PlJ6is_oddIiEEEE10hipError_tPvRmT3_T4_T5_T6_T7_T9_mT8_P12ihipStream_tbDpT10_ENKUlT_T0_E_clISt17integral_constantIbLb0EES16_EEDaS11_S12_EUlS11_E_NS1_11comp_targetILNS1_3genE4ELNS1_11target_archE910ELNS1_3gpuE8ELNS1_3repE0EEENS1_30default_config_static_selectorELNS0_4arch9wavefront6targetE0EEEvT1_.has_recursion, 0
	.set _ZN7rocprim17ROCPRIM_400000_NS6detail17trampoline_kernelINS0_14default_configENS1_25partition_config_selectorILNS1_17partition_subalgoE6EiNS0_10empty_typeEbEEZZNS1_14partition_implILS5_6ELb0ES3_mN6thrust23THRUST_200600_302600_NS6detail15normal_iteratorINSA_10device_ptrIiEEEEPS6_SG_NS0_5tupleIJSF_S6_EEENSH_IJSG_SG_EEES6_PlJ6is_oddIiEEEE10hipError_tPvRmT3_T4_T5_T6_T7_T9_mT8_P12ihipStream_tbDpT10_ENKUlT_T0_E_clISt17integral_constantIbLb0EES16_EEDaS11_S12_EUlS11_E_NS1_11comp_targetILNS1_3genE4ELNS1_11target_archE910ELNS1_3gpuE8ELNS1_3repE0EEENS1_30default_config_static_selectorELNS0_4arch9wavefront6targetE0EEEvT1_.has_indirect_call, 0
	.section	.AMDGPU.csdata,"",@progbits
; Kernel info:
; codeLenInByte = 0
; TotalNumSgprs: 0
; NumVgprs: 0
; ScratchSize: 0
; MemoryBound: 0
; FloatMode: 240
; IeeeMode: 1
; LDSByteSize: 0 bytes/workgroup (compile time only)
; SGPRBlocks: 0
; VGPRBlocks: 0
; NumSGPRsForWavesPerEU: 1
; NumVGPRsForWavesPerEU: 1
; Occupancy: 16
; WaveLimiterHint : 0
; COMPUTE_PGM_RSRC2:SCRATCH_EN: 0
; COMPUTE_PGM_RSRC2:USER_SGPR: 2
; COMPUTE_PGM_RSRC2:TRAP_HANDLER: 0
; COMPUTE_PGM_RSRC2:TGID_X_EN: 1
; COMPUTE_PGM_RSRC2:TGID_Y_EN: 0
; COMPUTE_PGM_RSRC2:TGID_Z_EN: 0
; COMPUTE_PGM_RSRC2:TIDIG_COMP_CNT: 0
	.section	.text._ZN7rocprim17ROCPRIM_400000_NS6detail17trampoline_kernelINS0_14default_configENS1_25partition_config_selectorILNS1_17partition_subalgoE6EiNS0_10empty_typeEbEEZZNS1_14partition_implILS5_6ELb0ES3_mN6thrust23THRUST_200600_302600_NS6detail15normal_iteratorINSA_10device_ptrIiEEEEPS6_SG_NS0_5tupleIJSF_S6_EEENSH_IJSG_SG_EEES6_PlJ6is_oddIiEEEE10hipError_tPvRmT3_T4_T5_T6_T7_T9_mT8_P12ihipStream_tbDpT10_ENKUlT_T0_E_clISt17integral_constantIbLb0EES16_EEDaS11_S12_EUlS11_E_NS1_11comp_targetILNS1_3genE3ELNS1_11target_archE908ELNS1_3gpuE7ELNS1_3repE0EEENS1_30default_config_static_selectorELNS0_4arch9wavefront6targetE0EEEvT1_,"axG",@progbits,_ZN7rocprim17ROCPRIM_400000_NS6detail17trampoline_kernelINS0_14default_configENS1_25partition_config_selectorILNS1_17partition_subalgoE6EiNS0_10empty_typeEbEEZZNS1_14partition_implILS5_6ELb0ES3_mN6thrust23THRUST_200600_302600_NS6detail15normal_iteratorINSA_10device_ptrIiEEEEPS6_SG_NS0_5tupleIJSF_S6_EEENSH_IJSG_SG_EEES6_PlJ6is_oddIiEEEE10hipError_tPvRmT3_T4_T5_T6_T7_T9_mT8_P12ihipStream_tbDpT10_ENKUlT_T0_E_clISt17integral_constantIbLb0EES16_EEDaS11_S12_EUlS11_E_NS1_11comp_targetILNS1_3genE3ELNS1_11target_archE908ELNS1_3gpuE7ELNS1_3repE0EEENS1_30default_config_static_selectorELNS0_4arch9wavefront6targetE0EEEvT1_,comdat
	.protected	_ZN7rocprim17ROCPRIM_400000_NS6detail17trampoline_kernelINS0_14default_configENS1_25partition_config_selectorILNS1_17partition_subalgoE6EiNS0_10empty_typeEbEEZZNS1_14partition_implILS5_6ELb0ES3_mN6thrust23THRUST_200600_302600_NS6detail15normal_iteratorINSA_10device_ptrIiEEEEPS6_SG_NS0_5tupleIJSF_S6_EEENSH_IJSG_SG_EEES6_PlJ6is_oddIiEEEE10hipError_tPvRmT3_T4_T5_T6_T7_T9_mT8_P12ihipStream_tbDpT10_ENKUlT_T0_E_clISt17integral_constantIbLb0EES16_EEDaS11_S12_EUlS11_E_NS1_11comp_targetILNS1_3genE3ELNS1_11target_archE908ELNS1_3gpuE7ELNS1_3repE0EEENS1_30default_config_static_selectorELNS0_4arch9wavefront6targetE0EEEvT1_ ; -- Begin function _ZN7rocprim17ROCPRIM_400000_NS6detail17trampoline_kernelINS0_14default_configENS1_25partition_config_selectorILNS1_17partition_subalgoE6EiNS0_10empty_typeEbEEZZNS1_14partition_implILS5_6ELb0ES3_mN6thrust23THRUST_200600_302600_NS6detail15normal_iteratorINSA_10device_ptrIiEEEEPS6_SG_NS0_5tupleIJSF_S6_EEENSH_IJSG_SG_EEES6_PlJ6is_oddIiEEEE10hipError_tPvRmT3_T4_T5_T6_T7_T9_mT8_P12ihipStream_tbDpT10_ENKUlT_T0_E_clISt17integral_constantIbLb0EES16_EEDaS11_S12_EUlS11_E_NS1_11comp_targetILNS1_3genE3ELNS1_11target_archE908ELNS1_3gpuE7ELNS1_3repE0EEENS1_30default_config_static_selectorELNS0_4arch9wavefront6targetE0EEEvT1_
	.globl	_ZN7rocprim17ROCPRIM_400000_NS6detail17trampoline_kernelINS0_14default_configENS1_25partition_config_selectorILNS1_17partition_subalgoE6EiNS0_10empty_typeEbEEZZNS1_14partition_implILS5_6ELb0ES3_mN6thrust23THRUST_200600_302600_NS6detail15normal_iteratorINSA_10device_ptrIiEEEEPS6_SG_NS0_5tupleIJSF_S6_EEENSH_IJSG_SG_EEES6_PlJ6is_oddIiEEEE10hipError_tPvRmT3_T4_T5_T6_T7_T9_mT8_P12ihipStream_tbDpT10_ENKUlT_T0_E_clISt17integral_constantIbLb0EES16_EEDaS11_S12_EUlS11_E_NS1_11comp_targetILNS1_3genE3ELNS1_11target_archE908ELNS1_3gpuE7ELNS1_3repE0EEENS1_30default_config_static_selectorELNS0_4arch9wavefront6targetE0EEEvT1_
	.p2align	8
	.type	_ZN7rocprim17ROCPRIM_400000_NS6detail17trampoline_kernelINS0_14default_configENS1_25partition_config_selectorILNS1_17partition_subalgoE6EiNS0_10empty_typeEbEEZZNS1_14partition_implILS5_6ELb0ES3_mN6thrust23THRUST_200600_302600_NS6detail15normal_iteratorINSA_10device_ptrIiEEEEPS6_SG_NS0_5tupleIJSF_S6_EEENSH_IJSG_SG_EEES6_PlJ6is_oddIiEEEE10hipError_tPvRmT3_T4_T5_T6_T7_T9_mT8_P12ihipStream_tbDpT10_ENKUlT_T0_E_clISt17integral_constantIbLb0EES16_EEDaS11_S12_EUlS11_E_NS1_11comp_targetILNS1_3genE3ELNS1_11target_archE908ELNS1_3gpuE7ELNS1_3repE0EEENS1_30default_config_static_selectorELNS0_4arch9wavefront6targetE0EEEvT1_,@function
_ZN7rocprim17ROCPRIM_400000_NS6detail17trampoline_kernelINS0_14default_configENS1_25partition_config_selectorILNS1_17partition_subalgoE6EiNS0_10empty_typeEbEEZZNS1_14partition_implILS5_6ELb0ES3_mN6thrust23THRUST_200600_302600_NS6detail15normal_iteratorINSA_10device_ptrIiEEEEPS6_SG_NS0_5tupleIJSF_S6_EEENSH_IJSG_SG_EEES6_PlJ6is_oddIiEEEE10hipError_tPvRmT3_T4_T5_T6_T7_T9_mT8_P12ihipStream_tbDpT10_ENKUlT_T0_E_clISt17integral_constantIbLb0EES16_EEDaS11_S12_EUlS11_E_NS1_11comp_targetILNS1_3genE3ELNS1_11target_archE908ELNS1_3gpuE7ELNS1_3repE0EEENS1_30default_config_static_selectorELNS0_4arch9wavefront6targetE0EEEvT1_: ; @_ZN7rocprim17ROCPRIM_400000_NS6detail17trampoline_kernelINS0_14default_configENS1_25partition_config_selectorILNS1_17partition_subalgoE6EiNS0_10empty_typeEbEEZZNS1_14partition_implILS5_6ELb0ES3_mN6thrust23THRUST_200600_302600_NS6detail15normal_iteratorINSA_10device_ptrIiEEEEPS6_SG_NS0_5tupleIJSF_S6_EEENSH_IJSG_SG_EEES6_PlJ6is_oddIiEEEE10hipError_tPvRmT3_T4_T5_T6_T7_T9_mT8_P12ihipStream_tbDpT10_ENKUlT_T0_E_clISt17integral_constantIbLb0EES16_EEDaS11_S12_EUlS11_E_NS1_11comp_targetILNS1_3genE3ELNS1_11target_archE908ELNS1_3gpuE7ELNS1_3repE0EEENS1_30default_config_static_selectorELNS0_4arch9wavefront6targetE0EEEvT1_
; %bb.0:
	.section	.rodata,"a",@progbits
	.p2align	6, 0x0
	.amdhsa_kernel _ZN7rocprim17ROCPRIM_400000_NS6detail17trampoline_kernelINS0_14default_configENS1_25partition_config_selectorILNS1_17partition_subalgoE6EiNS0_10empty_typeEbEEZZNS1_14partition_implILS5_6ELb0ES3_mN6thrust23THRUST_200600_302600_NS6detail15normal_iteratorINSA_10device_ptrIiEEEEPS6_SG_NS0_5tupleIJSF_S6_EEENSH_IJSG_SG_EEES6_PlJ6is_oddIiEEEE10hipError_tPvRmT3_T4_T5_T6_T7_T9_mT8_P12ihipStream_tbDpT10_ENKUlT_T0_E_clISt17integral_constantIbLb0EES16_EEDaS11_S12_EUlS11_E_NS1_11comp_targetILNS1_3genE3ELNS1_11target_archE908ELNS1_3gpuE7ELNS1_3repE0EEENS1_30default_config_static_selectorELNS0_4arch9wavefront6targetE0EEEvT1_
		.amdhsa_group_segment_fixed_size 0
		.amdhsa_private_segment_fixed_size 0
		.amdhsa_kernarg_size 112
		.amdhsa_user_sgpr_count 2
		.amdhsa_user_sgpr_dispatch_ptr 0
		.amdhsa_user_sgpr_queue_ptr 0
		.amdhsa_user_sgpr_kernarg_segment_ptr 1
		.amdhsa_user_sgpr_dispatch_id 0
		.amdhsa_user_sgpr_private_segment_size 0
		.amdhsa_wavefront_size32 1
		.amdhsa_uses_dynamic_stack 0
		.amdhsa_enable_private_segment 0
		.amdhsa_system_sgpr_workgroup_id_x 1
		.amdhsa_system_sgpr_workgroup_id_y 0
		.amdhsa_system_sgpr_workgroup_id_z 0
		.amdhsa_system_sgpr_workgroup_info 0
		.amdhsa_system_vgpr_workitem_id 0
		.amdhsa_next_free_vgpr 1
		.amdhsa_next_free_sgpr 1
		.amdhsa_reserve_vcc 0
		.amdhsa_float_round_mode_32 0
		.amdhsa_float_round_mode_16_64 0
		.amdhsa_float_denorm_mode_32 3
		.amdhsa_float_denorm_mode_16_64 3
		.amdhsa_fp16_overflow 0
		.amdhsa_workgroup_processor_mode 1
		.amdhsa_memory_ordered 1
		.amdhsa_forward_progress 1
		.amdhsa_inst_pref_size 0
		.amdhsa_round_robin_scheduling 0
		.amdhsa_exception_fp_ieee_invalid_op 0
		.amdhsa_exception_fp_denorm_src 0
		.amdhsa_exception_fp_ieee_div_zero 0
		.amdhsa_exception_fp_ieee_overflow 0
		.amdhsa_exception_fp_ieee_underflow 0
		.amdhsa_exception_fp_ieee_inexact 0
		.amdhsa_exception_int_div_zero 0
	.end_amdhsa_kernel
	.section	.text._ZN7rocprim17ROCPRIM_400000_NS6detail17trampoline_kernelINS0_14default_configENS1_25partition_config_selectorILNS1_17partition_subalgoE6EiNS0_10empty_typeEbEEZZNS1_14partition_implILS5_6ELb0ES3_mN6thrust23THRUST_200600_302600_NS6detail15normal_iteratorINSA_10device_ptrIiEEEEPS6_SG_NS0_5tupleIJSF_S6_EEENSH_IJSG_SG_EEES6_PlJ6is_oddIiEEEE10hipError_tPvRmT3_T4_T5_T6_T7_T9_mT8_P12ihipStream_tbDpT10_ENKUlT_T0_E_clISt17integral_constantIbLb0EES16_EEDaS11_S12_EUlS11_E_NS1_11comp_targetILNS1_3genE3ELNS1_11target_archE908ELNS1_3gpuE7ELNS1_3repE0EEENS1_30default_config_static_selectorELNS0_4arch9wavefront6targetE0EEEvT1_,"axG",@progbits,_ZN7rocprim17ROCPRIM_400000_NS6detail17trampoline_kernelINS0_14default_configENS1_25partition_config_selectorILNS1_17partition_subalgoE6EiNS0_10empty_typeEbEEZZNS1_14partition_implILS5_6ELb0ES3_mN6thrust23THRUST_200600_302600_NS6detail15normal_iteratorINSA_10device_ptrIiEEEEPS6_SG_NS0_5tupleIJSF_S6_EEENSH_IJSG_SG_EEES6_PlJ6is_oddIiEEEE10hipError_tPvRmT3_T4_T5_T6_T7_T9_mT8_P12ihipStream_tbDpT10_ENKUlT_T0_E_clISt17integral_constantIbLb0EES16_EEDaS11_S12_EUlS11_E_NS1_11comp_targetILNS1_3genE3ELNS1_11target_archE908ELNS1_3gpuE7ELNS1_3repE0EEENS1_30default_config_static_selectorELNS0_4arch9wavefront6targetE0EEEvT1_,comdat
.Lfunc_end7:
	.size	_ZN7rocprim17ROCPRIM_400000_NS6detail17trampoline_kernelINS0_14default_configENS1_25partition_config_selectorILNS1_17partition_subalgoE6EiNS0_10empty_typeEbEEZZNS1_14partition_implILS5_6ELb0ES3_mN6thrust23THRUST_200600_302600_NS6detail15normal_iteratorINSA_10device_ptrIiEEEEPS6_SG_NS0_5tupleIJSF_S6_EEENSH_IJSG_SG_EEES6_PlJ6is_oddIiEEEE10hipError_tPvRmT3_T4_T5_T6_T7_T9_mT8_P12ihipStream_tbDpT10_ENKUlT_T0_E_clISt17integral_constantIbLb0EES16_EEDaS11_S12_EUlS11_E_NS1_11comp_targetILNS1_3genE3ELNS1_11target_archE908ELNS1_3gpuE7ELNS1_3repE0EEENS1_30default_config_static_selectorELNS0_4arch9wavefront6targetE0EEEvT1_, .Lfunc_end7-_ZN7rocprim17ROCPRIM_400000_NS6detail17trampoline_kernelINS0_14default_configENS1_25partition_config_selectorILNS1_17partition_subalgoE6EiNS0_10empty_typeEbEEZZNS1_14partition_implILS5_6ELb0ES3_mN6thrust23THRUST_200600_302600_NS6detail15normal_iteratorINSA_10device_ptrIiEEEEPS6_SG_NS0_5tupleIJSF_S6_EEENSH_IJSG_SG_EEES6_PlJ6is_oddIiEEEE10hipError_tPvRmT3_T4_T5_T6_T7_T9_mT8_P12ihipStream_tbDpT10_ENKUlT_T0_E_clISt17integral_constantIbLb0EES16_EEDaS11_S12_EUlS11_E_NS1_11comp_targetILNS1_3genE3ELNS1_11target_archE908ELNS1_3gpuE7ELNS1_3repE0EEENS1_30default_config_static_selectorELNS0_4arch9wavefront6targetE0EEEvT1_
                                        ; -- End function
	.set _ZN7rocprim17ROCPRIM_400000_NS6detail17trampoline_kernelINS0_14default_configENS1_25partition_config_selectorILNS1_17partition_subalgoE6EiNS0_10empty_typeEbEEZZNS1_14partition_implILS5_6ELb0ES3_mN6thrust23THRUST_200600_302600_NS6detail15normal_iteratorINSA_10device_ptrIiEEEEPS6_SG_NS0_5tupleIJSF_S6_EEENSH_IJSG_SG_EEES6_PlJ6is_oddIiEEEE10hipError_tPvRmT3_T4_T5_T6_T7_T9_mT8_P12ihipStream_tbDpT10_ENKUlT_T0_E_clISt17integral_constantIbLb0EES16_EEDaS11_S12_EUlS11_E_NS1_11comp_targetILNS1_3genE3ELNS1_11target_archE908ELNS1_3gpuE7ELNS1_3repE0EEENS1_30default_config_static_selectorELNS0_4arch9wavefront6targetE0EEEvT1_.num_vgpr, 0
	.set _ZN7rocprim17ROCPRIM_400000_NS6detail17trampoline_kernelINS0_14default_configENS1_25partition_config_selectorILNS1_17partition_subalgoE6EiNS0_10empty_typeEbEEZZNS1_14partition_implILS5_6ELb0ES3_mN6thrust23THRUST_200600_302600_NS6detail15normal_iteratorINSA_10device_ptrIiEEEEPS6_SG_NS0_5tupleIJSF_S6_EEENSH_IJSG_SG_EEES6_PlJ6is_oddIiEEEE10hipError_tPvRmT3_T4_T5_T6_T7_T9_mT8_P12ihipStream_tbDpT10_ENKUlT_T0_E_clISt17integral_constantIbLb0EES16_EEDaS11_S12_EUlS11_E_NS1_11comp_targetILNS1_3genE3ELNS1_11target_archE908ELNS1_3gpuE7ELNS1_3repE0EEENS1_30default_config_static_selectorELNS0_4arch9wavefront6targetE0EEEvT1_.num_agpr, 0
	.set _ZN7rocprim17ROCPRIM_400000_NS6detail17trampoline_kernelINS0_14default_configENS1_25partition_config_selectorILNS1_17partition_subalgoE6EiNS0_10empty_typeEbEEZZNS1_14partition_implILS5_6ELb0ES3_mN6thrust23THRUST_200600_302600_NS6detail15normal_iteratorINSA_10device_ptrIiEEEEPS6_SG_NS0_5tupleIJSF_S6_EEENSH_IJSG_SG_EEES6_PlJ6is_oddIiEEEE10hipError_tPvRmT3_T4_T5_T6_T7_T9_mT8_P12ihipStream_tbDpT10_ENKUlT_T0_E_clISt17integral_constantIbLb0EES16_EEDaS11_S12_EUlS11_E_NS1_11comp_targetILNS1_3genE3ELNS1_11target_archE908ELNS1_3gpuE7ELNS1_3repE0EEENS1_30default_config_static_selectorELNS0_4arch9wavefront6targetE0EEEvT1_.numbered_sgpr, 0
	.set _ZN7rocprim17ROCPRIM_400000_NS6detail17trampoline_kernelINS0_14default_configENS1_25partition_config_selectorILNS1_17partition_subalgoE6EiNS0_10empty_typeEbEEZZNS1_14partition_implILS5_6ELb0ES3_mN6thrust23THRUST_200600_302600_NS6detail15normal_iteratorINSA_10device_ptrIiEEEEPS6_SG_NS0_5tupleIJSF_S6_EEENSH_IJSG_SG_EEES6_PlJ6is_oddIiEEEE10hipError_tPvRmT3_T4_T5_T6_T7_T9_mT8_P12ihipStream_tbDpT10_ENKUlT_T0_E_clISt17integral_constantIbLb0EES16_EEDaS11_S12_EUlS11_E_NS1_11comp_targetILNS1_3genE3ELNS1_11target_archE908ELNS1_3gpuE7ELNS1_3repE0EEENS1_30default_config_static_selectorELNS0_4arch9wavefront6targetE0EEEvT1_.num_named_barrier, 0
	.set _ZN7rocprim17ROCPRIM_400000_NS6detail17trampoline_kernelINS0_14default_configENS1_25partition_config_selectorILNS1_17partition_subalgoE6EiNS0_10empty_typeEbEEZZNS1_14partition_implILS5_6ELb0ES3_mN6thrust23THRUST_200600_302600_NS6detail15normal_iteratorINSA_10device_ptrIiEEEEPS6_SG_NS0_5tupleIJSF_S6_EEENSH_IJSG_SG_EEES6_PlJ6is_oddIiEEEE10hipError_tPvRmT3_T4_T5_T6_T7_T9_mT8_P12ihipStream_tbDpT10_ENKUlT_T0_E_clISt17integral_constantIbLb0EES16_EEDaS11_S12_EUlS11_E_NS1_11comp_targetILNS1_3genE3ELNS1_11target_archE908ELNS1_3gpuE7ELNS1_3repE0EEENS1_30default_config_static_selectorELNS0_4arch9wavefront6targetE0EEEvT1_.private_seg_size, 0
	.set _ZN7rocprim17ROCPRIM_400000_NS6detail17trampoline_kernelINS0_14default_configENS1_25partition_config_selectorILNS1_17partition_subalgoE6EiNS0_10empty_typeEbEEZZNS1_14partition_implILS5_6ELb0ES3_mN6thrust23THRUST_200600_302600_NS6detail15normal_iteratorINSA_10device_ptrIiEEEEPS6_SG_NS0_5tupleIJSF_S6_EEENSH_IJSG_SG_EEES6_PlJ6is_oddIiEEEE10hipError_tPvRmT3_T4_T5_T6_T7_T9_mT8_P12ihipStream_tbDpT10_ENKUlT_T0_E_clISt17integral_constantIbLb0EES16_EEDaS11_S12_EUlS11_E_NS1_11comp_targetILNS1_3genE3ELNS1_11target_archE908ELNS1_3gpuE7ELNS1_3repE0EEENS1_30default_config_static_selectorELNS0_4arch9wavefront6targetE0EEEvT1_.uses_vcc, 0
	.set _ZN7rocprim17ROCPRIM_400000_NS6detail17trampoline_kernelINS0_14default_configENS1_25partition_config_selectorILNS1_17partition_subalgoE6EiNS0_10empty_typeEbEEZZNS1_14partition_implILS5_6ELb0ES3_mN6thrust23THRUST_200600_302600_NS6detail15normal_iteratorINSA_10device_ptrIiEEEEPS6_SG_NS0_5tupleIJSF_S6_EEENSH_IJSG_SG_EEES6_PlJ6is_oddIiEEEE10hipError_tPvRmT3_T4_T5_T6_T7_T9_mT8_P12ihipStream_tbDpT10_ENKUlT_T0_E_clISt17integral_constantIbLb0EES16_EEDaS11_S12_EUlS11_E_NS1_11comp_targetILNS1_3genE3ELNS1_11target_archE908ELNS1_3gpuE7ELNS1_3repE0EEENS1_30default_config_static_selectorELNS0_4arch9wavefront6targetE0EEEvT1_.uses_flat_scratch, 0
	.set _ZN7rocprim17ROCPRIM_400000_NS6detail17trampoline_kernelINS0_14default_configENS1_25partition_config_selectorILNS1_17partition_subalgoE6EiNS0_10empty_typeEbEEZZNS1_14partition_implILS5_6ELb0ES3_mN6thrust23THRUST_200600_302600_NS6detail15normal_iteratorINSA_10device_ptrIiEEEEPS6_SG_NS0_5tupleIJSF_S6_EEENSH_IJSG_SG_EEES6_PlJ6is_oddIiEEEE10hipError_tPvRmT3_T4_T5_T6_T7_T9_mT8_P12ihipStream_tbDpT10_ENKUlT_T0_E_clISt17integral_constantIbLb0EES16_EEDaS11_S12_EUlS11_E_NS1_11comp_targetILNS1_3genE3ELNS1_11target_archE908ELNS1_3gpuE7ELNS1_3repE0EEENS1_30default_config_static_selectorELNS0_4arch9wavefront6targetE0EEEvT1_.has_dyn_sized_stack, 0
	.set _ZN7rocprim17ROCPRIM_400000_NS6detail17trampoline_kernelINS0_14default_configENS1_25partition_config_selectorILNS1_17partition_subalgoE6EiNS0_10empty_typeEbEEZZNS1_14partition_implILS5_6ELb0ES3_mN6thrust23THRUST_200600_302600_NS6detail15normal_iteratorINSA_10device_ptrIiEEEEPS6_SG_NS0_5tupleIJSF_S6_EEENSH_IJSG_SG_EEES6_PlJ6is_oddIiEEEE10hipError_tPvRmT3_T4_T5_T6_T7_T9_mT8_P12ihipStream_tbDpT10_ENKUlT_T0_E_clISt17integral_constantIbLb0EES16_EEDaS11_S12_EUlS11_E_NS1_11comp_targetILNS1_3genE3ELNS1_11target_archE908ELNS1_3gpuE7ELNS1_3repE0EEENS1_30default_config_static_selectorELNS0_4arch9wavefront6targetE0EEEvT1_.has_recursion, 0
	.set _ZN7rocprim17ROCPRIM_400000_NS6detail17trampoline_kernelINS0_14default_configENS1_25partition_config_selectorILNS1_17partition_subalgoE6EiNS0_10empty_typeEbEEZZNS1_14partition_implILS5_6ELb0ES3_mN6thrust23THRUST_200600_302600_NS6detail15normal_iteratorINSA_10device_ptrIiEEEEPS6_SG_NS0_5tupleIJSF_S6_EEENSH_IJSG_SG_EEES6_PlJ6is_oddIiEEEE10hipError_tPvRmT3_T4_T5_T6_T7_T9_mT8_P12ihipStream_tbDpT10_ENKUlT_T0_E_clISt17integral_constantIbLb0EES16_EEDaS11_S12_EUlS11_E_NS1_11comp_targetILNS1_3genE3ELNS1_11target_archE908ELNS1_3gpuE7ELNS1_3repE0EEENS1_30default_config_static_selectorELNS0_4arch9wavefront6targetE0EEEvT1_.has_indirect_call, 0
	.section	.AMDGPU.csdata,"",@progbits
; Kernel info:
; codeLenInByte = 0
; TotalNumSgprs: 0
; NumVgprs: 0
; ScratchSize: 0
; MemoryBound: 0
; FloatMode: 240
; IeeeMode: 1
; LDSByteSize: 0 bytes/workgroup (compile time only)
; SGPRBlocks: 0
; VGPRBlocks: 0
; NumSGPRsForWavesPerEU: 1
; NumVGPRsForWavesPerEU: 1
; Occupancy: 16
; WaveLimiterHint : 0
; COMPUTE_PGM_RSRC2:SCRATCH_EN: 0
; COMPUTE_PGM_RSRC2:USER_SGPR: 2
; COMPUTE_PGM_RSRC2:TRAP_HANDLER: 0
; COMPUTE_PGM_RSRC2:TGID_X_EN: 1
; COMPUTE_PGM_RSRC2:TGID_Y_EN: 0
; COMPUTE_PGM_RSRC2:TGID_Z_EN: 0
; COMPUTE_PGM_RSRC2:TIDIG_COMP_CNT: 0
	.section	.text._ZN7rocprim17ROCPRIM_400000_NS6detail17trampoline_kernelINS0_14default_configENS1_25partition_config_selectorILNS1_17partition_subalgoE6EiNS0_10empty_typeEbEEZZNS1_14partition_implILS5_6ELb0ES3_mN6thrust23THRUST_200600_302600_NS6detail15normal_iteratorINSA_10device_ptrIiEEEEPS6_SG_NS0_5tupleIJSF_S6_EEENSH_IJSG_SG_EEES6_PlJ6is_oddIiEEEE10hipError_tPvRmT3_T4_T5_T6_T7_T9_mT8_P12ihipStream_tbDpT10_ENKUlT_T0_E_clISt17integral_constantIbLb0EES16_EEDaS11_S12_EUlS11_E_NS1_11comp_targetILNS1_3genE2ELNS1_11target_archE906ELNS1_3gpuE6ELNS1_3repE0EEENS1_30default_config_static_selectorELNS0_4arch9wavefront6targetE0EEEvT1_,"axG",@progbits,_ZN7rocprim17ROCPRIM_400000_NS6detail17trampoline_kernelINS0_14default_configENS1_25partition_config_selectorILNS1_17partition_subalgoE6EiNS0_10empty_typeEbEEZZNS1_14partition_implILS5_6ELb0ES3_mN6thrust23THRUST_200600_302600_NS6detail15normal_iteratorINSA_10device_ptrIiEEEEPS6_SG_NS0_5tupleIJSF_S6_EEENSH_IJSG_SG_EEES6_PlJ6is_oddIiEEEE10hipError_tPvRmT3_T4_T5_T6_T7_T9_mT8_P12ihipStream_tbDpT10_ENKUlT_T0_E_clISt17integral_constantIbLb0EES16_EEDaS11_S12_EUlS11_E_NS1_11comp_targetILNS1_3genE2ELNS1_11target_archE906ELNS1_3gpuE6ELNS1_3repE0EEENS1_30default_config_static_selectorELNS0_4arch9wavefront6targetE0EEEvT1_,comdat
	.protected	_ZN7rocprim17ROCPRIM_400000_NS6detail17trampoline_kernelINS0_14default_configENS1_25partition_config_selectorILNS1_17partition_subalgoE6EiNS0_10empty_typeEbEEZZNS1_14partition_implILS5_6ELb0ES3_mN6thrust23THRUST_200600_302600_NS6detail15normal_iteratorINSA_10device_ptrIiEEEEPS6_SG_NS0_5tupleIJSF_S6_EEENSH_IJSG_SG_EEES6_PlJ6is_oddIiEEEE10hipError_tPvRmT3_T4_T5_T6_T7_T9_mT8_P12ihipStream_tbDpT10_ENKUlT_T0_E_clISt17integral_constantIbLb0EES16_EEDaS11_S12_EUlS11_E_NS1_11comp_targetILNS1_3genE2ELNS1_11target_archE906ELNS1_3gpuE6ELNS1_3repE0EEENS1_30default_config_static_selectorELNS0_4arch9wavefront6targetE0EEEvT1_ ; -- Begin function _ZN7rocprim17ROCPRIM_400000_NS6detail17trampoline_kernelINS0_14default_configENS1_25partition_config_selectorILNS1_17partition_subalgoE6EiNS0_10empty_typeEbEEZZNS1_14partition_implILS5_6ELb0ES3_mN6thrust23THRUST_200600_302600_NS6detail15normal_iteratorINSA_10device_ptrIiEEEEPS6_SG_NS0_5tupleIJSF_S6_EEENSH_IJSG_SG_EEES6_PlJ6is_oddIiEEEE10hipError_tPvRmT3_T4_T5_T6_T7_T9_mT8_P12ihipStream_tbDpT10_ENKUlT_T0_E_clISt17integral_constantIbLb0EES16_EEDaS11_S12_EUlS11_E_NS1_11comp_targetILNS1_3genE2ELNS1_11target_archE906ELNS1_3gpuE6ELNS1_3repE0EEENS1_30default_config_static_selectorELNS0_4arch9wavefront6targetE0EEEvT1_
	.globl	_ZN7rocprim17ROCPRIM_400000_NS6detail17trampoline_kernelINS0_14default_configENS1_25partition_config_selectorILNS1_17partition_subalgoE6EiNS0_10empty_typeEbEEZZNS1_14partition_implILS5_6ELb0ES3_mN6thrust23THRUST_200600_302600_NS6detail15normal_iteratorINSA_10device_ptrIiEEEEPS6_SG_NS0_5tupleIJSF_S6_EEENSH_IJSG_SG_EEES6_PlJ6is_oddIiEEEE10hipError_tPvRmT3_T4_T5_T6_T7_T9_mT8_P12ihipStream_tbDpT10_ENKUlT_T0_E_clISt17integral_constantIbLb0EES16_EEDaS11_S12_EUlS11_E_NS1_11comp_targetILNS1_3genE2ELNS1_11target_archE906ELNS1_3gpuE6ELNS1_3repE0EEENS1_30default_config_static_selectorELNS0_4arch9wavefront6targetE0EEEvT1_
	.p2align	8
	.type	_ZN7rocprim17ROCPRIM_400000_NS6detail17trampoline_kernelINS0_14default_configENS1_25partition_config_selectorILNS1_17partition_subalgoE6EiNS0_10empty_typeEbEEZZNS1_14partition_implILS5_6ELb0ES3_mN6thrust23THRUST_200600_302600_NS6detail15normal_iteratorINSA_10device_ptrIiEEEEPS6_SG_NS0_5tupleIJSF_S6_EEENSH_IJSG_SG_EEES6_PlJ6is_oddIiEEEE10hipError_tPvRmT3_T4_T5_T6_T7_T9_mT8_P12ihipStream_tbDpT10_ENKUlT_T0_E_clISt17integral_constantIbLb0EES16_EEDaS11_S12_EUlS11_E_NS1_11comp_targetILNS1_3genE2ELNS1_11target_archE906ELNS1_3gpuE6ELNS1_3repE0EEENS1_30default_config_static_selectorELNS0_4arch9wavefront6targetE0EEEvT1_,@function
_ZN7rocprim17ROCPRIM_400000_NS6detail17trampoline_kernelINS0_14default_configENS1_25partition_config_selectorILNS1_17partition_subalgoE6EiNS0_10empty_typeEbEEZZNS1_14partition_implILS5_6ELb0ES3_mN6thrust23THRUST_200600_302600_NS6detail15normal_iteratorINSA_10device_ptrIiEEEEPS6_SG_NS0_5tupleIJSF_S6_EEENSH_IJSG_SG_EEES6_PlJ6is_oddIiEEEE10hipError_tPvRmT3_T4_T5_T6_T7_T9_mT8_P12ihipStream_tbDpT10_ENKUlT_T0_E_clISt17integral_constantIbLb0EES16_EEDaS11_S12_EUlS11_E_NS1_11comp_targetILNS1_3genE2ELNS1_11target_archE906ELNS1_3gpuE6ELNS1_3repE0EEENS1_30default_config_static_selectorELNS0_4arch9wavefront6targetE0EEEvT1_: ; @_ZN7rocprim17ROCPRIM_400000_NS6detail17trampoline_kernelINS0_14default_configENS1_25partition_config_selectorILNS1_17partition_subalgoE6EiNS0_10empty_typeEbEEZZNS1_14partition_implILS5_6ELb0ES3_mN6thrust23THRUST_200600_302600_NS6detail15normal_iteratorINSA_10device_ptrIiEEEEPS6_SG_NS0_5tupleIJSF_S6_EEENSH_IJSG_SG_EEES6_PlJ6is_oddIiEEEE10hipError_tPvRmT3_T4_T5_T6_T7_T9_mT8_P12ihipStream_tbDpT10_ENKUlT_T0_E_clISt17integral_constantIbLb0EES16_EEDaS11_S12_EUlS11_E_NS1_11comp_targetILNS1_3genE2ELNS1_11target_archE906ELNS1_3gpuE6ELNS1_3repE0EEENS1_30default_config_static_selectorELNS0_4arch9wavefront6targetE0EEEvT1_
; %bb.0:
	.section	.rodata,"a",@progbits
	.p2align	6, 0x0
	.amdhsa_kernel _ZN7rocprim17ROCPRIM_400000_NS6detail17trampoline_kernelINS0_14default_configENS1_25partition_config_selectorILNS1_17partition_subalgoE6EiNS0_10empty_typeEbEEZZNS1_14partition_implILS5_6ELb0ES3_mN6thrust23THRUST_200600_302600_NS6detail15normal_iteratorINSA_10device_ptrIiEEEEPS6_SG_NS0_5tupleIJSF_S6_EEENSH_IJSG_SG_EEES6_PlJ6is_oddIiEEEE10hipError_tPvRmT3_T4_T5_T6_T7_T9_mT8_P12ihipStream_tbDpT10_ENKUlT_T0_E_clISt17integral_constantIbLb0EES16_EEDaS11_S12_EUlS11_E_NS1_11comp_targetILNS1_3genE2ELNS1_11target_archE906ELNS1_3gpuE6ELNS1_3repE0EEENS1_30default_config_static_selectorELNS0_4arch9wavefront6targetE0EEEvT1_
		.amdhsa_group_segment_fixed_size 0
		.amdhsa_private_segment_fixed_size 0
		.amdhsa_kernarg_size 112
		.amdhsa_user_sgpr_count 2
		.amdhsa_user_sgpr_dispatch_ptr 0
		.amdhsa_user_sgpr_queue_ptr 0
		.amdhsa_user_sgpr_kernarg_segment_ptr 1
		.amdhsa_user_sgpr_dispatch_id 0
		.amdhsa_user_sgpr_private_segment_size 0
		.amdhsa_wavefront_size32 1
		.amdhsa_uses_dynamic_stack 0
		.amdhsa_enable_private_segment 0
		.amdhsa_system_sgpr_workgroup_id_x 1
		.amdhsa_system_sgpr_workgroup_id_y 0
		.amdhsa_system_sgpr_workgroup_id_z 0
		.amdhsa_system_sgpr_workgroup_info 0
		.amdhsa_system_vgpr_workitem_id 0
		.amdhsa_next_free_vgpr 1
		.amdhsa_next_free_sgpr 1
		.amdhsa_reserve_vcc 0
		.amdhsa_float_round_mode_32 0
		.amdhsa_float_round_mode_16_64 0
		.amdhsa_float_denorm_mode_32 3
		.amdhsa_float_denorm_mode_16_64 3
		.amdhsa_fp16_overflow 0
		.amdhsa_workgroup_processor_mode 1
		.amdhsa_memory_ordered 1
		.amdhsa_forward_progress 1
		.amdhsa_inst_pref_size 0
		.amdhsa_round_robin_scheduling 0
		.amdhsa_exception_fp_ieee_invalid_op 0
		.amdhsa_exception_fp_denorm_src 0
		.amdhsa_exception_fp_ieee_div_zero 0
		.amdhsa_exception_fp_ieee_overflow 0
		.amdhsa_exception_fp_ieee_underflow 0
		.amdhsa_exception_fp_ieee_inexact 0
		.amdhsa_exception_int_div_zero 0
	.end_amdhsa_kernel
	.section	.text._ZN7rocprim17ROCPRIM_400000_NS6detail17trampoline_kernelINS0_14default_configENS1_25partition_config_selectorILNS1_17partition_subalgoE6EiNS0_10empty_typeEbEEZZNS1_14partition_implILS5_6ELb0ES3_mN6thrust23THRUST_200600_302600_NS6detail15normal_iteratorINSA_10device_ptrIiEEEEPS6_SG_NS0_5tupleIJSF_S6_EEENSH_IJSG_SG_EEES6_PlJ6is_oddIiEEEE10hipError_tPvRmT3_T4_T5_T6_T7_T9_mT8_P12ihipStream_tbDpT10_ENKUlT_T0_E_clISt17integral_constantIbLb0EES16_EEDaS11_S12_EUlS11_E_NS1_11comp_targetILNS1_3genE2ELNS1_11target_archE906ELNS1_3gpuE6ELNS1_3repE0EEENS1_30default_config_static_selectorELNS0_4arch9wavefront6targetE0EEEvT1_,"axG",@progbits,_ZN7rocprim17ROCPRIM_400000_NS6detail17trampoline_kernelINS0_14default_configENS1_25partition_config_selectorILNS1_17partition_subalgoE6EiNS0_10empty_typeEbEEZZNS1_14partition_implILS5_6ELb0ES3_mN6thrust23THRUST_200600_302600_NS6detail15normal_iteratorINSA_10device_ptrIiEEEEPS6_SG_NS0_5tupleIJSF_S6_EEENSH_IJSG_SG_EEES6_PlJ6is_oddIiEEEE10hipError_tPvRmT3_T4_T5_T6_T7_T9_mT8_P12ihipStream_tbDpT10_ENKUlT_T0_E_clISt17integral_constantIbLb0EES16_EEDaS11_S12_EUlS11_E_NS1_11comp_targetILNS1_3genE2ELNS1_11target_archE906ELNS1_3gpuE6ELNS1_3repE0EEENS1_30default_config_static_selectorELNS0_4arch9wavefront6targetE0EEEvT1_,comdat
.Lfunc_end8:
	.size	_ZN7rocprim17ROCPRIM_400000_NS6detail17trampoline_kernelINS0_14default_configENS1_25partition_config_selectorILNS1_17partition_subalgoE6EiNS0_10empty_typeEbEEZZNS1_14partition_implILS5_6ELb0ES3_mN6thrust23THRUST_200600_302600_NS6detail15normal_iteratorINSA_10device_ptrIiEEEEPS6_SG_NS0_5tupleIJSF_S6_EEENSH_IJSG_SG_EEES6_PlJ6is_oddIiEEEE10hipError_tPvRmT3_T4_T5_T6_T7_T9_mT8_P12ihipStream_tbDpT10_ENKUlT_T0_E_clISt17integral_constantIbLb0EES16_EEDaS11_S12_EUlS11_E_NS1_11comp_targetILNS1_3genE2ELNS1_11target_archE906ELNS1_3gpuE6ELNS1_3repE0EEENS1_30default_config_static_selectorELNS0_4arch9wavefront6targetE0EEEvT1_, .Lfunc_end8-_ZN7rocprim17ROCPRIM_400000_NS6detail17trampoline_kernelINS0_14default_configENS1_25partition_config_selectorILNS1_17partition_subalgoE6EiNS0_10empty_typeEbEEZZNS1_14partition_implILS5_6ELb0ES3_mN6thrust23THRUST_200600_302600_NS6detail15normal_iteratorINSA_10device_ptrIiEEEEPS6_SG_NS0_5tupleIJSF_S6_EEENSH_IJSG_SG_EEES6_PlJ6is_oddIiEEEE10hipError_tPvRmT3_T4_T5_T6_T7_T9_mT8_P12ihipStream_tbDpT10_ENKUlT_T0_E_clISt17integral_constantIbLb0EES16_EEDaS11_S12_EUlS11_E_NS1_11comp_targetILNS1_3genE2ELNS1_11target_archE906ELNS1_3gpuE6ELNS1_3repE0EEENS1_30default_config_static_selectorELNS0_4arch9wavefront6targetE0EEEvT1_
                                        ; -- End function
	.set _ZN7rocprim17ROCPRIM_400000_NS6detail17trampoline_kernelINS0_14default_configENS1_25partition_config_selectorILNS1_17partition_subalgoE6EiNS0_10empty_typeEbEEZZNS1_14partition_implILS5_6ELb0ES3_mN6thrust23THRUST_200600_302600_NS6detail15normal_iteratorINSA_10device_ptrIiEEEEPS6_SG_NS0_5tupleIJSF_S6_EEENSH_IJSG_SG_EEES6_PlJ6is_oddIiEEEE10hipError_tPvRmT3_T4_T5_T6_T7_T9_mT8_P12ihipStream_tbDpT10_ENKUlT_T0_E_clISt17integral_constantIbLb0EES16_EEDaS11_S12_EUlS11_E_NS1_11comp_targetILNS1_3genE2ELNS1_11target_archE906ELNS1_3gpuE6ELNS1_3repE0EEENS1_30default_config_static_selectorELNS0_4arch9wavefront6targetE0EEEvT1_.num_vgpr, 0
	.set _ZN7rocprim17ROCPRIM_400000_NS6detail17trampoline_kernelINS0_14default_configENS1_25partition_config_selectorILNS1_17partition_subalgoE6EiNS0_10empty_typeEbEEZZNS1_14partition_implILS5_6ELb0ES3_mN6thrust23THRUST_200600_302600_NS6detail15normal_iteratorINSA_10device_ptrIiEEEEPS6_SG_NS0_5tupleIJSF_S6_EEENSH_IJSG_SG_EEES6_PlJ6is_oddIiEEEE10hipError_tPvRmT3_T4_T5_T6_T7_T9_mT8_P12ihipStream_tbDpT10_ENKUlT_T0_E_clISt17integral_constantIbLb0EES16_EEDaS11_S12_EUlS11_E_NS1_11comp_targetILNS1_3genE2ELNS1_11target_archE906ELNS1_3gpuE6ELNS1_3repE0EEENS1_30default_config_static_selectorELNS0_4arch9wavefront6targetE0EEEvT1_.num_agpr, 0
	.set _ZN7rocprim17ROCPRIM_400000_NS6detail17trampoline_kernelINS0_14default_configENS1_25partition_config_selectorILNS1_17partition_subalgoE6EiNS0_10empty_typeEbEEZZNS1_14partition_implILS5_6ELb0ES3_mN6thrust23THRUST_200600_302600_NS6detail15normal_iteratorINSA_10device_ptrIiEEEEPS6_SG_NS0_5tupleIJSF_S6_EEENSH_IJSG_SG_EEES6_PlJ6is_oddIiEEEE10hipError_tPvRmT3_T4_T5_T6_T7_T9_mT8_P12ihipStream_tbDpT10_ENKUlT_T0_E_clISt17integral_constantIbLb0EES16_EEDaS11_S12_EUlS11_E_NS1_11comp_targetILNS1_3genE2ELNS1_11target_archE906ELNS1_3gpuE6ELNS1_3repE0EEENS1_30default_config_static_selectorELNS0_4arch9wavefront6targetE0EEEvT1_.numbered_sgpr, 0
	.set _ZN7rocprim17ROCPRIM_400000_NS6detail17trampoline_kernelINS0_14default_configENS1_25partition_config_selectorILNS1_17partition_subalgoE6EiNS0_10empty_typeEbEEZZNS1_14partition_implILS5_6ELb0ES3_mN6thrust23THRUST_200600_302600_NS6detail15normal_iteratorINSA_10device_ptrIiEEEEPS6_SG_NS0_5tupleIJSF_S6_EEENSH_IJSG_SG_EEES6_PlJ6is_oddIiEEEE10hipError_tPvRmT3_T4_T5_T6_T7_T9_mT8_P12ihipStream_tbDpT10_ENKUlT_T0_E_clISt17integral_constantIbLb0EES16_EEDaS11_S12_EUlS11_E_NS1_11comp_targetILNS1_3genE2ELNS1_11target_archE906ELNS1_3gpuE6ELNS1_3repE0EEENS1_30default_config_static_selectorELNS0_4arch9wavefront6targetE0EEEvT1_.num_named_barrier, 0
	.set _ZN7rocprim17ROCPRIM_400000_NS6detail17trampoline_kernelINS0_14default_configENS1_25partition_config_selectorILNS1_17partition_subalgoE6EiNS0_10empty_typeEbEEZZNS1_14partition_implILS5_6ELb0ES3_mN6thrust23THRUST_200600_302600_NS6detail15normal_iteratorINSA_10device_ptrIiEEEEPS6_SG_NS0_5tupleIJSF_S6_EEENSH_IJSG_SG_EEES6_PlJ6is_oddIiEEEE10hipError_tPvRmT3_T4_T5_T6_T7_T9_mT8_P12ihipStream_tbDpT10_ENKUlT_T0_E_clISt17integral_constantIbLb0EES16_EEDaS11_S12_EUlS11_E_NS1_11comp_targetILNS1_3genE2ELNS1_11target_archE906ELNS1_3gpuE6ELNS1_3repE0EEENS1_30default_config_static_selectorELNS0_4arch9wavefront6targetE0EEEvT1_.private_seg_size, 0
	.set _ZN7rocprim17ROCPRIM_400000_NS6detail17trampoline_kernelINS0_14default_configENS1_25partition_config_selectorILNS1_17partition_subalgoE6EiNS0_10empty_typeEbEEZZNS1_14partition_implILS5_6ELb0ES3_mN6thrust23THRUST_200600_302600_NS6detail15normal_iteratorINSA_10device_ptrIiEEEEPS6_SG_NS0_5tupleIJSF_S6_EEENSH_IJSG_SG_EEES6_PlJ6is_oddIiEEEE10hipError_tPvRmT3_T4_T5_T6_T7_T9_mT8_P12ihipStream_tbDpT10_ENKUlT_T0_E_clISt17integral_constantIbLb0EES16_EEDaS11_S12_EUlS11_E_NS1_11comp_targetILNS1_3genE2ELNS1_11target_archE906ELNS1_3gpuE6ELNS1_3repE0EEENS1_30default_config_static_selectorELNS0_4arch9wavefront6targetE0EEEvT1_.uses_vcc, 0
	.set _ZN7rocprim17ROCPRIM_400000_NS6detail17trampoline_kernelINS0_14default_configENS1_25partition_config_selectorILNS1_17partition_subalgoE6EiNS0_10empty_typeEbEEZZNS1_14partition_implILS5_6ELb0ES3_mN6thrust23THRUST_200600_302600_NS6detail15normal_iteratorINSA_10device_ptrIiEEEEPS6_SG_NS0_5tupleIJSF_S6_EEENSH_IJSG_SG_EEES6_PlJ6is_oddIiEEEE10hipError_tPvRmT3_T4_T5_T6_T7_T9_mT8_P12ihipStream_tbDpT10_ENKUlT_T0_E_clISt17integral_constantIbLb0EES16_EEDaS11_S12_EUlS11_E_NS1_11comp_targetILNS1_3genE2ELNS1_11target_archE906ELNS1_3gpuE6ELNS1_3repE0EEENS1_30default_config_static_selectorELNS0_4arch9wavefront6targetE0EEEvT1_.uses_flat_scratch, 0
	.set _ZN7rocprim17ROCPRIM_400000_NS6detail17trampoline_kernelINS0_14default_configENS1_25partition_config_selectorILNS1_17partition_subalgoE6EiNS0_10empty_typeEbEEZZNS1_14partition_implILS5_6ELb0ES3_mN6thrust23THRUST_200600_302600_NS6detail15normal_iteratorINSA_10device_ptrIiEEEEPS6_SG_NS0_5tupleIJSF_S6_EEENSH_IJSG_SG_EEES6_PlJ6is_oddIiEEEE10hipError_tPvRmT3_T4_T5_T6_T7_T9_mT8_P12ihipStream_tbDpT10_ENKUlT_T0_E_clISt17integral_constantIbLb0EES16_EEDaS11_S12_EUlS11_E_NS1_11comp_targetILNS1_3genE2ELNS1_11target_archE906ELNS1_3gpuE6ELNS1_3repE0EEENS1_30default_config_static_selectorELNS0_4arch9wavefront6targetE0EEEvT1_.has_dyn_sized_stack, 0
	.set _ZN7rocprim17ROCPRIM_400000_NS6detail17trampoline_kernelINS0_14default_configENS1_25partition_config_selectorILNS1_17partition_subalgoE6EiNS0_10empty_typeEbEEZZNS1_14partition_implILS5_6ELb0ES3_mN6thrust23THRUST_200600_302600_NS6detail15normal_iteratorINSA_10device_ptrIiEEEEPS6_SG_NS0_5tupleIJSF_S6_EEENSH_IJSG_SG_EEES6_PlJ6is_oddIiEEEE10hipError_tPvRmT3_T4_T5_T6_T7_T9_mT8_P12ihipStream_tbDpT10_ENKUlT_T0_E_clISt17integral_constantIbLb0EES16_EEDaS11_S12_EUlS11_E_NS1_11comp_targetILNS1_3genE2ELNS1_11target_archE906ELNS1_3gpuE6ELNS1_3repE0EEENS1_30default_config_static_selectorELNS0_4arch9wavefront6targetE0EEEvT1_.has_recursion, 0
	.set _ZN7rocprim17ROCPRIM_400000_NS6detail17trampoline_kernelINS0_14default_configENS1_25partition_config_selectorILNS1_17partition_subalgoE6EiNS0_10empty_typeEbEEZZNS1_14partition_implILS5_6ELb0ES3_mN6thrust23THRUST_200600_302600_NS6detail15normal_iteratorINSA_10device_ptrIiEEEEPS6_SG_NS0_5tupleIJSF_S6_EEENSH_IJSG_SG_EEES6_PlJ6is_oddIiEEEE10hipError_tPvRmT3_T4_T5_T6_T7_T9_mT8_P12ihipStream_tbDpT10_ENKUlT_T0_E_clISt17integral_constantIbLb0EES16_EEDaS11_S12_EUlS11_E_NS1_11comp_targetILNS1_3genE2ELNS1_11target_archE906ELNS1_3gpuE6ELNS1_3repE0EEENS1_30default_config_static_selectorELNS0_4arch9wavefront6targetE0EEEvT1_.has_indirect_call, 0
	.section	.AMDGPU.csdata,"",@progbits
; Kernel info:
; codeLenInByte = 0
; TotalNumSgprs: 0
; NumVgprs: 0
; ScratchSize: 0
; MemoryBound: 0
; FloatMode: 240
; IeeeMode: 1
; LDSByteSize: 0 bytes/workgroup (compile time only)
; SGPRBlocks: 0
; VGPRBlocks: 0
; NumSGPRsForWavesPerEU: 1
; NumVGPRsForWavesPerEU: 1
; Occupancy: 16
; WaveLimiterHint : 0
; COMPUTE_PGM_RSRC2:SCRATCH_EN: 0
; COMPUTE_PGM_RSRC2:USER_SGPR: 2
; COMPUTE_PGM_RSRC2:TRAP_HANDLER: 0
; COMPUTE_PGM_RSRC2:TGID_X_EN: 1
; COMPUTE_PGM_RSRC2:TGID_Y_EN: 0
; COMPUTE_PGM_RSRC2:TGID_Z_EN: 0
; COMPUTE_PGM_RSRC2:TIDIG_COMP_CNT: 0
	.section	.text._ZN7rocprim17ROCPRIM_400000_NS6detail17trampoline_kernelINS0_14default_configENS1_25partition_config_selectorILNS1_17partition_subalgoE6EiNS0_10empty_typeEbEEZZNS1_14partition_implILS5_6ELb0ES3_mN6thrust23THRUST_200600_302600_NS6detail15normal_iteratorINSA_10device_ptrIiEEEEPS6_SG_NS0_5tupleIJSF_S6_EEENSH_IJSG_SG_EEES6_PlJ6is_oddIiEEEE10hipError_tPvRmT3_T4_T5_T6_T7_T9_mT8_P12ihipStream_tbDpT10_ENKUlT_T0_E_clISt17integral_constantIbLb0EES16_EEDaS11_S12_EUlS11_E_NS1_11comp_targetILNS1_3genE10ELNS1_11target_archE1200ELNS1_3gpuE4ELNS1_3repE0EEENS1_30default_config_static_selectorELNS0_4arch9wavefront6targetE0EEEvT1_,"axG",@progbits,_ZN7rocprim17ROCPRIM_400000_NS6detail17trampoline_kernelINS0_14default_configENS1_25partition_config_selectorILNS1_17partition_subalgoE6EiNS0_10empty_typeEbEEZZNS1_14partition_implILS5_6ELb0ES3_mN6thrust23THRUST_200600_302600_NS6detail15normal_iteratorINSA_10device_ptrIiEEEEPS6_SG_NS0_5tupleIJSF_S6_EEENSH_IJSG_SG_EEES6_PlJ6is_oddIiEEEE10hipError_tPvRmT3_T4_T5_T6_T7_T9_mT8_P12ihipStream_tbDpT10_ENKUlT_T0_E_clISt17integral_constantIbLb0EES16_EEDaS11_S12_EUlS11_E_NS1_11comp_targetILNS1_3genE10ELNS1_11target_archE1200ELNS1_3gpuE4ELNS1_3repE0EEENS1_30default_config_static_selectorELNS0_4arch9wavefront6targetE0EEEvT1_,comdat
	.protected	_ZN7rocprim17ROCPRIM_400000_NS6detail17trampoline_kernelINS0_14default_configENS1_25partition_config_selectorILNS1_17partition_subalgoE6EiNS0_10empty_typeEbEEZZNS1_14partition_implILS5_6ELb0ES3_mN6thrust23THRUST_200600_302600_NS6detail15normal_iteratorINSA_10device_ptrIiEEEEPS6_SG_NS0_5tupleIJSF_S6_EEENSH_IJSG_SG_EEES6_PlJ6is_oddIiEEEE10hipError_tPvRmT3_T4_T5_T6_T7_T9_mT8_P12ihipStream_tbDpT10_ENKUlT_T0_E_clISt17integral_constantIbLb0EES16_EEDaS11_S12_EUlS11_E_NS1_11comp_targetILNS1_3genE10ELNS1_11target_archE1200ELNS1_3gpuE4ELNS1_3repE0EEENS1_30default_config_static_selectorELNS0_4arch9wavefront6targetE0EEEvT1_ ; -- Begin function _ZN7rocprim17ROCPRIM_400000_NS6detail17trampoline_kernelINS0_14default_configENS1_25partition_config_selectorILNS1_17partition_subalgoE6EiNS0_10empty_typeEbEEZZNS1_14partition_implILS5_6ELb0ES3_mN6thrust23THRUST_200600_302600_NS6detail15normal_iteratorINSA_10device_ptrIiEEEEPS6_SG_NS0_5tupleIJSF_S6_EEENSH_IJSG_SG_EEES6_PlJ6is_oddIiEEEE10hipError_tPvRmT3_T4_T5_T6_T7_T9_mT8_P12ihipStream_tbDpT10_ENKUlT_T0_E_clISt17integral_constantIbLb0EES16_EEDaS11_S12_EUlS11_E_NS1_11comp_targetILNS1_3genE10ELNS1_11target_archE1200ELNS1_3gpuE4ELNS1_3repE0EEENS1_30default_config_static_selectorELNS0_4arch9wavefront6targetE0EEEvT1_
	.globl	_ZN7rocprim17ROCPRIM_400000_NS6detail17trampoline_kernelINS0_14default_configENS1_25partition_config_selectorILNS1_17partition_subalgoE6EiNS0_10empty_typeEbEEZZNS1_14partition_implILS5_6ELb0ES3_mN6thrust23THRUST_200600_302600_NS6detail15normal_iteratorINSA_10device_ptrIiEEEEPS6_SG_NS0_5tupleIJSF_S6_EEENSH_IJSG_SG_EEES6_PlJ6is_oddIiEEEE10hipError_tPvRmT3_T4_T5_T6_T7_T9_mT8_P12ihipStream_tbDpT10_ENKUlT_T0_E_clISt17integral_constantIbLb0EES16_EEDaS11_S12_EUlS11_E_NS1_11comp_targetILNS1_3genE10ELNS1_11target_archE1200ELNS1_3gpuE4ELNS1_3repE0EEENS1_30default_config_static_selectorELNS0_4arch9wavefront6targetE0EEEvT1_
	.p2align	8
	.type	_ZN7rocprim17ROCPRIM_400000_NS6detail17trampoline_kernelINS0_14default_configENS1_25partition_config_selectorILNS1_17partition_subalgoE6EiNS0_10empty_typeEbEEZZNS1_14partition_implILS5_6ELb0ES3_mN6thrust23THRUST_200600_302600_NS6detail15normal_iteratorINSA_10device_ptrIiEEEEPS6_SG_NS0_5tupleIJSF_S6_EEENSH_IJSG_SG_EEES6_PlJ6is_oddIiEEEE10hipError_tPvRmT3_T4_T5_T6_T7_T9_mT8_P12ihipStream_tbDpT10_ENKUlT_T0_E_clISt17integral_constantIbLb0EES16_EEDaS11_S12_EUlS11_E_NS1_11comp_targetILNS1_3genE10ELNS1_11target_archE1200ELNS1_3gpuE4ELNS1_3repE0EEENS1_30default_config_static_selectorELNS0_4arch9wavefront6targetE0EEEvT1_,@function
_ZN7rocprim17ROCPRIM_400000_NS6detail17trampoline_kernelINS0_14default_configENS1_25partition_config_selectorILNS1_17partition_subalgoE6EiNS0_10empty_typeEbEEZZNS1_14partition_implILS5_6ELb0ES3_mN6thrust23THRUST_200600_302600_NS6detail15normal_iteratorINSA_10device_ptrIiEEEEPS6_SG_NS0_5tupleIJSF_S6_EEENSH_IJSG_SG_EEES6_PlJ6is_oddIiEEEE10hipError_tPvRmT3_T4_T5_T6_T7_T9_mT8_P12ihipStream_tbDpT10_ENKUlT_T0_E_clISt17integral_constantIbLb0EES16_EEDaS11_S12_EUlS11_E_NS1_11comp_targetILNS1_3genE10ELNS1_11target_archE1200ELNS1_3gpuE4ELNS1_3repE0EEENS1_30default_config_static_selectorELNS0_4arch9wavefront6targetE0EEEvT1_: ; @_ZN7rocprim17ROCPRIM_400000_NS6detail17trampoline_kernelINS0_14default_configENS1_25partition_config_selectorILNS1_17partition_subalgoE6EiNS0_10empty_typeEbEEZZNS1_14partition_implILS5_6ELb0ES3_mN6thrust23THRUST_200600_302600_NS6detail15normal_iteratorINSA_10device_ptrIiEEEEPS6_SG_NS0_5tupleIJSF_S6_EEENSH_IJSG_SG_EEES6_PlJ6is_oddIiEEEE10hipError_tPvRmT3_T4_T5_T6_T7_T9_mT8_P12ihipStream_tbDpT10_ENKUlT_T0_E_clISt17integral_constantIbLb0EES16_EEDaS11_S12_EUlS11_E_NS1_11comp_targetILNS1_3genE10ELNS1_11target_archE1200ELNS1_3gpuE4ELNS1_3repE0EEENS1_30default_config_static_selectorELNS0_4arch9wavefront6targetE0EEEvT1_
; %bb.0:
	s_clause 0x3
	s_load_b128 s[12:15], s[0:1], 0x8
	s_load_b128 s[8:11], s[0:1], 0x40
	s_load_b32 s16, s[0:1], 0x68
	s_load_b64 s[2:3], s[0:1], 0x50
	s_mov_b32 s17, 0
	v_lshlrev_b32_e32 v8, 2, v0
	s_wait_kmcnt 0x0
	s_lshl_b64 s[4:5], s[14:15], 2
	s_load_b64 s[6:7], s[10:11], 0x0
	s_add_co_i32 s18, s16, -1
	s_mulk_i32 s16, 0xa80
	s_add_nc_u64 s[10:11], s[12:13], s[4:5]
	s_add_nc_u64 s[4:5], s[14:15], s[16:17]
	s_add_co_i32 s12, s16, s14
	v_cmp_le_u64_e64 s3, s[2:3], s[4:5]
	s_sub_co_i32 s4, s2, s12
	s_cmp_eq_u32 ttmp9, s18
	s_mul_i32 s16, ttmp9, 0xa80
	s_cselect_b32 s12, -1, 0
	s_mov_b32 s5, -1
	s_and_b32 s2, s12, s3
	s_wait_alu 0xfffe
	s_xor_b32 s13, s2, -1
	s_lshl_b64 s[2:3], s[16:17], 2
	s_and_b32 vcc_lo, exec_lo, s13
	s_wait_alu 0xfffe
	s_add_nc_u64 s[2:3], s[10:11], s[2:3]
	s_cbranch_vccz .LBB9_2
; %bb.1:
	s_wait_alu 0xfffe
	v_add_co_u32 v1, s5, s2, v8
	s_wait_alu 0xf1ff
	v_add_co_ci_u32_e64 v2, null, s3, 0, s5
	s_mov_b32 s5, 0
	s_clause 0x6
	flat_load_b32 v3, v[1:2]
	flat_load_b32 v4, v[1:2] offset:1536
	flat_load_b32 v5, v[1:2] offset:3072
	;; [unrolled: 1-line block ×6, first 2 shown]
	s_wait_loadcnt_dscnt 0x505
	ds_store_2addr_stride64_b32 v8, v3, v4 offset1:6
	s_wait_loadcnt_dscnt 0x304
	ds_store_2addr_stride64_b32 v8, v5, v6 offset0:12 offset1:18
	s_wait_loadcnt_dscnt 0x103
	ds_store_2addr_stride64_b32 v8, v7, v9 offset0:24 offset1:30
	s_wait_loadcnt_dscnt 0x3
	ds_store_b32 v8, v1 offset:9216
	s_wait_dscnt 0x0
	s_barrier_signal -1
	s_barrier_wait -1
.LBB9_2:
	s_wait_alu 0xfffe
	s_and_not1_b32 vcc_lo, exec_lo, s5
	s_addk_co_i32 s4, 0xa80
	s_cbranch_vccnz .LBB9_18
; %bb.3:
	v_mov_b32_e32 v1, 0
	s_mov_b32 s5, exec_lo
	s_delay_alu instid0(VALU_DEP_1)
	v_dual_mov_b32 v2, v1 :: v_dual_mov_b32 v3, v1
	v_dual_mov_b32 v4, v1 :: v_dual_mov_b32 v5, v1
	v_dual_mov_b32 v6, v1 :: v_dual_mov_b32 v7, v1
	s_wait_alu 0xfffe
	v_cmpx_gt_u32_e64 s4, v0
	s_cbranch_execz .LBB9_5
; %bb.4:
	v_add_co_u32 v2, s10, s2, v8
	s_delay_alu instid0(VALU_DEP_1)
	v_add_co_ci_u32_e64 v3, null, s3, 0, s10
	v_dual_mov_b32 v10, v1 :: v_dual_mov_b32 v11, v1
	v_dual_mov_b32 v12, v1 :: v_dual_mov_b32 v13, v1
	flat_load_b32 v9, v[2:3]
	v_dual_mov_b32 v14, v1 :: v_dual_mov_b32 v15, v1
	s_wait_loadcnt_dscnt 0x0
	v_dual_mov_b32 v1, v9 :: v_dual_mov_b32 v2, v10
	v_dual_mov_b32 v3, v11 :: v_dual_mov_b32 v4, v12
	s_delay_alu instid0(VALU_DEP_3)
	v_dual_mov_b32 v5, v13 :: v_dual_mov_b32 v6, v14
	v_mov_b32_e32 v7, v15
.LBB9_5:
	s_or_b32 exec_lo, exec_lo, s5
	v_add_nc_u32_e32 v9, 0x180, v0
	s_mov_b32 s5, exec_lo
	s_delay_alu instid0(VALU_DEP_1)
	v_cmpx_gt_u32_e64 s4, v9
	s_cbranch_execz .LBB9_7
; %bb.6:
	v_add_co_u32 v9, s10, s2, v8
	s_wait_alu 0xf1ff
	v_add_co_ci_u32_e64 v10, null, s3, 0, s10
	flat_load_b32 v2, v[9:10] offset:1536
.LBB9_7:
	s_wait_alu 0xfffe
	s_or_b32 exec_lo, exec_lo, s5
	v_add_nc_u32_e32 v9, 0x300, v0
	s_mov_b32 s5, exec_lo
	s_delay_alu instid0(VALU_DEP_1)
	v_cmpx_gt_u32_e64 s4, v9
	s_cbranch_execz .LBB9_9
; %bb.8:
	v_add_co_u32 v9, s10, s2, v8
	s_wait_alu 0xf1ff
	v_add_co_ci_u32_e64 v10, null, s3, 0, s10
	flat_load_b32 v3, v[9:10] offset:3072
.LBB9_9:
	s_wait_alu 0xfffe
	;; [unrolled: 13-line block ×3, first 2 shown]
	s_or_b32 exec_lo, exec_lo, s5
	v_or_b32_e32 v9, 0x600, v0
	s_mov_b32 s5, exec_lo
	s_delay_alu instid0(VALU_DEP_1)
	v_cmpx_gt_u32_e64 s4, v9
	s_cbranch_execz .LBB9_13
; %bb.12:
	v_add_co_u32 v9, s10, s2, v8
	s_wait_alu 0xf1ff
	v_add_co_ci_u32_e64 v10, null, s3, 0, s10
	flat_load_b32 v5, v[9:10] offset:6144
.LBB9_13:
	s_wait_alu 0xfffe
	s_or_b32 exec_lo, exec_lo, s5
	v_add_nc_u32_e32 v9, 0x780, v0
	s_mov_b32 s5, exec_lo
	s_delay_alu instid0(VALU_DEP_1)
	v_cmpx_gt_u32_e64 s4, v9
	s_cbranch_execz .LBB9_15
; %bb.14:
	v_add_co_u32 v9, s10, s2, v8
	s_wait_alu 0xf1ff
	v_add_co_ci_u32_e64 v10, null, s3, 0, s10
	flat_load_b32 v6, v[9:10] offset:7680
.LBB9_15:
	s_wait_alu 0xfffe
	s_or_b32 exec_lo, exec_lo, s5
	v_add_nc_u32_e32 v9, 0x900, v0
	s_mov_b32 s5, exec_lo
	s_delay_alu instid0(VALU_DEP_1)
	v_cmpx_gt_u32_e64 s4, v9
	s_cbranch_execz .LBB9_17
; %bb.16:
	v_add_co_u32 v9, s2, s2, v8
	s_wait_alu 0xf1ff
	v_add_co_ci_u32_e64 v10, null, s3, 0, s2
	flat_load_b32 v7, v[9:10] offset:9216
.LBB9_17:
	s_wait_alu 0xfffe
	s_or_b32 exec_lo, exec_lo, s5
	s_wait_loadcnt_dscnt 0x0
	ds_store_2addr_stride64_b32 v8, v1, v2 offset1:6
	ds_store_2addr_stride64_b32 v8, v3, v4 offset0:12 offset1:18
	ds_store_2addr_stride64_b32 v8, v5, v6 offset0:24 offset1:30
	ds_store_b32 v8, v7 offset:9216
	s_wait_dscnt 0x0
	s_barrier_signal -1
	s_barrier_wait -1
.LBB9_18:
	v_mul_u32_u24_e32 v1, 7, v0
	global_inv scope:SCOPE_SE
	s_and_not1_b32 vcc_lo, exec_lo, s13
	v_lshlrev_b32_e32 v35, 2, v1
	ds_load_2addr_b32 v[13:14], v35 offset1:1
	ds_load_2addr_b32 v[11:12], v35 offset0:2 offset1:3
	ds_load_2addr_b32 v[9:10], v35 offset0:4 offset1:5
	ds_load_b32 v29, v35 offset:24
	s_wait_loadcnt_dscnt 0x0
	s_barrier_signal -1
	s_barrier_wait -1
	global_inv scope:SCOPE_SE
	s_cbranch_vccnz .LBB9_20
; %bb.19:
	v_and_b32_e32 v2, 1, v14
	v_and_b32_e32 v3, 1, v12
	;; [unrolled: 1-line block ×5, first 2 shown]
	v_lshlrev_b16 v2, 8, v2
	v_lshlrev_b16 v3, 8, v3
	v_and_b32_e32 v32, 1, v9
	s_delay_alu instid0(VALU_DEP_3) | instskip(NEXT) | instid1(VALU_DEP_3)
	v_lshrrev_b32_e32 v2, 8, v2
	v_lshrrev_b32_e32 v3, 8, v3
	s_delay_alu instid0(VALU_DEP_2) | instskip(NEXT) | instid1(VALU_DEP_2)
	v_lshlrev_b16 v2, 8, v2
	v_lshlrev_b16 v3, 8, v3
	s_delay_alu instid0(VALU_DEP_2) | instskip(NEXT) | instid1(VALU_DEP_2)
	v_or_b32_e32 v2, v4, v2
	v_or_b32_e32 v3, v5, v3
	v_and_b32_e32 v4, 1, v10
	v_lshlrev_b16 v5, 8, v30
	s_delay_alu instid0(VALU_DEP_4) | instskip(NEXT) | instid1(VALU_DEP_4)
	v_and_b32_e32 v2, 0xffff, v2
	v_lshlrev_b32_e32 v3, 16, v3
	s_delay_alu instid0(VALU_DEP_3) | instskip(NEXT) | instid1(VALU_DEP_2)
	v_or_b32_e32 v31, v4, v5
	v_or_b32_e32 v34, v2, v3
	s_cbranch_execz .LBB9_21
	s_branch .LBB9_22
.LBB9_20:
                                        ; implicit-def: $vgpr30
                                        ; implicit-def: $vgpr31
                                        ; implicit-def: $vgpr32
                                        ; implicit-def: $vgpr34
.LBB9_21:
	v_add_nc_u32_e32 v2, 3, v1
	v_add_nc_u32_e32 v3, 1, v1
	;; [unrolled: 1-line block ×5, first 2 shown]
	s_wait_alu 0xfffe
	v_cmp_gt_u32_e32 vcc_lo, s4, v2
	v_cndmask_b32_e64 v2, 0, 1, vcc_lo
	v_cmp_gt_u32_e32 vcc_lo, s4, v3
	s_delay_alu instid0(VALU_DEP_2)
	v_and_b32_e32 v2, v2, v12
	s_wait_alu 0xfffd
	v_cndmask_b32_e64 v3, 0, 1, vcc_lo
	v_cmp_gt_u32_e32 vcc_lo, s4, v1
	v_add_nc_u32_e32 v1, 6, v1
	v_lshlrev_b16 v2, 8, v2
	s_delay_alu instid0(VALU_DEP_4)
	v_and_b32_e32 v3, v3, v14
	s_wait_alu 0xfffd
	v_cndmask_b32_e64 v5, 0, 1, vcc_lo
	v_cmp_gt_u32_e32 vcc_lo, s4, v4
	v_lshrrev_b32_e32 v2, 8, v2
	v_lshlrev_b16 v3, 8, v3
	s_delay_alu instid0(VALU_DEP_4)
	v_and_b32_e32 v5, v5, v13
	s_wait_alu 0xfffd
	v_cndmask_b32_e64 v4, 0, 1, vcc_lo
	v_cmp_gt_u32_e32 vcc_lo, s4, v6
	v_and_b32_e32 v2, 1, v2
	v_lshrrev_b32_e32 v3, 8, v3
	v_and_b32_e32 v5, 1, v5
	v_and_b32_e32 v4, v4, v11
	s_wait_alu 0xfffd
	v_cndmask_b32_e64 v6, 0, 1, vcc_lo
	v_lshlrev_b16 v2, 8, v2
	v_lshlrev_b16 v3, 8, v3
	v_cmp_gt_u32_e32 vcc_lo, s4, v7
	v_and_b32_e32 v4, 1, v4
	v_and_b32_e32 v32, v6, v9
	s_delay_alu instid0(VALU_DEP_4) | instskip(NEXT) | instid1(VALU_DEP_3)
	v_or_b32_e32 v3, v5, v3
	v_or_b32_e32 v2, v4, v2
	s_wait_alu 0xfffd
	v_cndmask_b32_e64 v4, 0, 1, vcc_lo
	v_cmp_gt_u32_e32 vcc_lo, s4, v1
	v_and_b32_e32 v3, 0xffff, v3
	v_lshlrev_b32_e32 v2, 16, v2
	s_delay_alu instid0(VALU_DEP_4) | instskip(SKIP_2) | instid1(VALU_DEP_3)
	v_and_b32_e32 v31, v4, v10
	s_wait_alu 0xfffd
	v_cndmask_b32_e64 v1, 0, 1, vcc_lo
	v_or_b32_e32 v34, v3, v2
	s_delay_alu instid0(VALU_DEP_2)
	v_and_b32_e32 v30, v1, v29
.LBB9_22:
	s_delay_alu instid0(VALU_DEP_1)
	v_and_b32_e32 v40, 0xff, v34
	v_bfe_u32 v38, v34, 8, 8
	v_bfe_u32 v37, v34, 16, 8
	v_lshrrev_b32_e32 v33, 24, v34
	v_dual_mov_b32 v2, 0 :: v_dual_and_b32 v39, 0xff, v32
	s_load_b64 s[10:11], s[0:1], 0x60
	s_delay_alu instid0(VALU_DEP_3)
	v_add3_u32 v1, v38, v40, v37
	v_and_b32_e32 v36, 0xff, v31
	v_mbcnt_lo_u32_b32 v41, -1, 0
	v_and_b32_e32 v4, 0xff, v30
	s_cmp_lg_u32 ttmp9, 0
	v_add_co_u32 v1, s2, v1, v33
	s_wait_alu 0xf1ff
	v_add_co_ci_u32_e64 v3, null, 0, 0, s2
	v_and_b32_e32 v42, 15, v41
	s_delay_alu instid0(VALU_DEP_3) | instskip(SKIP_1) | instid1(VALU_DEP_3)
	v_add_co_u32 v1, vcc_lo, v1, v39
	s_wait_alu 0xfffd
	v_add_co_ci_u32_e64 v3, null, 0, v3, vcc_lo
	s_delay_alu instid0(VALU_DEP_3) | instskip(NEXT) | instid1(VALU_DEP_3)
	v_cmp_ne_u32_e64 s2, 0, v42
	v_add_co_u32 v1, vcc_lo, v1, v36
	s_wait_alu 0xfffd
	s_delay_alu instid0(VALU_DEP_3)
	v_add_co_ci_u32_e64 v3, null, 0, v3, vcc_lo
	s_mov_b32 s3, -1
	v_add_co_u32 v15, vcc_lo, v1, v4
	s_wait_alu 0xfffd
	v_add_co_ci_u32_e64 v16, null, 0, v3, vcc_lo
	s_cbranch_scc0 .LBB9_81
; %bb.23:
	v_mov_b32_e32 v3, v15
	v_mov_b32_dpp v1, v15 row_shr:1 row_mask:0xf bank_mask:0xf
	v_mov_b32_dpp v6, v2 row_shr:1 row_mask:0xf bank_mask:0xf
	v_dual_mov_b32 v5, v15 :: v_dual_mov_b32 v4, v16
	s_and_saveexec_b32 s3, s2
; %bb.24:
	s_delay_alu instid0(VALU_DEP_3) | instskip(SKIP_2) | instid1(VALU_DEP_2)
	v_add_co_u32 v5, vcc_lo, v15, v1
	s_wait_alu 0xfffd
	v_add_co_ci_u32_e64 v2, null, 0, v16, vcc_lo
	v_add_co_u32 v1, vcc_lo, 0, v5
	s_wait_alu 0xfffd
	s_delay_alu instid0(VALU_DEP_2) | instskip(NEXT) | instid1(VALU_DEP_1)
	v_add_co_ci_u32_e64 v2, null, v6, v2, vcc_lo
	v_dual_mov_b32 v4, v2 :: v_dual_mov_b32 v3, v1
; %bb.25:
	s_wait_alu 0xfffe
	s_or_b32 exec_lo, exec_lo, s3
	v_mov_b32_dpp v1, v5 row_shr:2 row_mask:0xf bank_mask:0xf
	v_mov_b32_dpp v6, v2 row_shr:2 row_mask:0xf bank_mask:0xf
	v_cmp_lt_u32_e32 vcc_lo, 1, v42
	s_and_saveexec_b32 s4, vcc_lo
; %bb.26:
	s_delay_alu instid0(VALU_DEP_3) | instskip(SKIP_2) | instid1(VALU_DEP_2)
	v_add_co_u32 v5, s3, v3, v1
	s_wait_alu 0xf1ff
	v_add_co_ci_u32_e64 v2, null, 0, v4, s3
	v_add_co_u32 v1, s3, 0, v5
	s_wait_alu 0xf1ff
	s_delay_alu instid0(VALU_DEP_2) | instskip(NEXT) | instid1(VALU_DEP_1)
	v_add_co_ci_u32_e64 v2, null, v6, v2, s3
	v_dual_mov_b32 v4, v2 :: v_dual_mov_b32 v3, v1
; %bb.27:
	s_wait_alu 0xfffe
	s_or_b32 exec_lo, exec_lo, s4
	v_mov_b32_dpp v1, v5 row_shr:4 row_mask:0xf bank_mask:0xf
	v_mov_b32_dpp v6, v2 row_shr:4 row_mask:0xf bank_mask:0xf
	v_cmp_lt_u32_e64 s3, 3, v42
	s_and_saveexec_b32 s5, s3
; %bb.28:
	v_add_co_u32 v5, s4, v3, v1
	s_wait_alu 0xf1ff
	v_add_co_ci_u32_e64 v2, null, 0, v4, s4
	s_delay_alu instid0(VALU_DEP_2) | instskip(SKIP_1) | instid1(VALU_DEP_2)
	v_add_co_u32 v1, s4, 0, v5
	s_wait_alu 0xf1ff
	v_add_co_ci_u32_e64 v2, null, v6, v2, s4
	s_delay_alu instid0(VALU_DEP_1)
	v_dual_mov_b32 v4, v2 :: v_dual_mov_b32 v3, v1
; %bb.29:
	s_wait_alu 0xfffe
	s_or_b32 exec_lo, exec_lo, s5
	v_mov_b32_dpp v6, v5 row_shr:8 row_mask:0xf bank_mask:0xf
	v_mov_b32_dpp v1, v2 row_shr:8 row_mask:0xf bank_mask:0xf
	v_cmp_lt_u32_e64 s4, 7, v42
	s_and_saveexec_b32 s14, s4
; %bb.30:
	v_add_co_u32 v5, s5, v3, v6
	s_wait_alu 0xf1ff
	v_add_co_ci_u32_e64 v2, null, 0, v4, s5
	s_delay_alu instid0(VALU_DEP_2) | instskip(SKIP_1) | instid1(VALU_DEP_2)
	v_add_co_u32 v3, s5, 0, v5
	s_wait_alu 0xf1ff
	v_add_co_ci_u32_e64 v4, null, v1, v2, s5
	s_delay_alu instid0(VALU_DEP_1)
	v_mov_b32_e32 v2, v4
; %bb.31:
	s_or_b32 exec_lo, exec_lo, s14
	ds_swizzle_b32 v1, v5 offset:swizzle(BROADCAST,32,15)
	ds_swizzle_b32 v6, v2 offset:swizzle(BROADCAST,32,15)
	v_and_b32_e32 v7, 16, v41
	s_mov_b32 s14, exec_lo
	s_delay_alu instid0(VALU_DEP_1)
	v_cmpx_ne_u32_e32 0, v7
	s_cbranch_execz .LBB9_33
; %bb.32:
	s_wait_dscnt 0x1
	v_add_co_u32 v5, s5, v3, v1
	s_wait_alu 0xf1ff
	v_add_co_ci_u32_e64 v2, null, 0, v4, s5
	s_delay_alu instid0(VALU_DEP_2) | instskip(SKIP_2) | instid1(VALU_DEP_2)
	v_add_co_u32 v1, s5, 0, v5
	s_wait_dscnt 0x0
	s_wait_alu 0xf1ff
	v_add_co_ci_u32_e64 v2, null, v6, v2, s5
	s_delay_alu instid0(VALU_DEP_1)
	v_dual_mov_b32 v4, v2 :: v_dual_mov_b32 v3, v1
.LBB9_33:
	s_or_b32 exec_lo, exec_lo, s14
	s_wait_dscnt 0x1
	v_and_b32_e32 v1, 0x1e0, v0
	s_mov_b32 s14, exec_lo
	s_delay_alu instid0(VALU_DEP_1) | instskip(SKIP_1) | instid1(VALU_DEP_1)
	v_min_u32_e32 v1, 0x160, v1
	s_wait_dscnt 0x0
	v_or_b32_e32 v6, 31, v1
	v_lshrrev_b32_e32 v1, 5, v0
	s_delay_alu instid0(VALU_DEP_2)
	v_cmpx_eq_u32_e64 v0, v6
; %bb.34:
	s_delay_alu instid0(VALU_DEP_2)
	v_lshlrev_b32_e32 v6, 3, v1
	ds_store_b64 v6, v[3:4]
; %bb.35:
	s_or_b32 exec_lo, exec_lo, s14
	s_delay_alu instid0(SALU_CYCLE_1)
	s_mov_b32 s14, exec_lo
	s_wait_loadcnt_dscnt 0x0
	s_barrier_signal -1
	s_barrier_wait -1
	global_inv scope:SCOPE_SE
	v_cmpx_gt_u32_e32 12, v0
	s_cbranch_execz .LBB9_45
; %bb.36:
	v_lshlrev_b32_e32 v6, 3, v0
	ds_load_b64 v[3:4], v6
	s_wait_dscnt 0x0
	v_mov_b32_dpp v17, v3 row_shr:1 row_mask:0xf bank_mask:0xf
	v_mov_b32_dpp v8, v4 row_shr:1 row_mask:0xf bank_mask:0xf
	v_mov_b32_e32 v7, v3
	s_and_saveexec_b32 s15, s2
; %bb.37:
	s_delay_alu instid0(VALU_DEP_3) | instskip(SKIP_2) | instid1(VALU_DEP_2)
	v_add_co_u32 v7, s5, v3, v17
	s_wait_alu 0xf1ff
	v_add_co_ci_u32_e64 v4, null, 0, v4, s5
	v_add_co_u32 v3, s5, 0, v7
	s_wait_alu 0xf1ff
	s_delay_alu instid0(VALU_DEP_2)
	v_add_co_ci_u32_e64 v4, null, v8, v4, s5
; %bb.38:
	s_or_b32 exec_lo, exec_lo, s15
	v_mov_b32_dpp v17, v7 row_shr:2 row_mask:0xf bank_mask:0xf
	s_delay_alu instid0(VALU_DEP_2)
	v_mov_b32_dpp v8, v4 row_shr:2 row_mask:0xf bank_mask:0xf
	s_and_saveexec_b32 s5, vcc_lo
; %bb.39:
	s_delay_alu instid0(VALU_DEP_2) | instskip(SKIP_2) | instid1(VALU_DEP_2)
	v_add_co_u32 v7, vcc_lo, v3, v17
	s_wait_alu 0xfffd
	v_add_co_ci_u32_e64 v4, null, 0, v4, vcc_lo
	v_add_co_u32 v3, vcc_lo, 0, v7
	s_wait_alu 0xfffd
	s_delay_alu instid0(VALU_DEP_2)
	v_add_co_ci_u32_e64 v4, null, v8, v4, vcc_lo
; %bb.40:
	s_wait_alu 0xfffe
	s_or_b32 exec_lo, exec_lo, s5
	v_mov_b32_dpp v17, v7 row_shr:4 row_mask:0xf bank_mask:0xf
	s_delay_alu instid0(VALU_DEP_2)
	v_mov_b32_dpp v8, v4 row_shr:4 row_mask:0xf bank_mask:0xf
	s_and_saveexec_b32 s5, s3
; %bb.41:
	s_delay_alu instid0(VALU_DEP_2) | instskip(SKIP_2) | instid1(VALU_DEP_2)
	v_add_co_u32 v7, vcc_lo, v3, v17
	s_wait_alu 0xfffd
	v_add_co_ci_u32_e64 v4, null, 0, v4, vcc_lo
	v_add_co_u32 v3, vcc_lo, 0, v7
	s_wait_alu 0xfffd
	s_delay_alu instid0(VALU_DEP_2)
	v_add_co_ci_u32_e64 v4, null, v8, v4, vcc_lo
; %bb.42:
	s_wait_alu 0xfffe
	s_or_b32 exec_lo, exec_lo, s5
	v_mov_b32_dpp v8, v7 row_shr:8 row_mask:0xf bank_mask:0xf
	s_delay_alu instid0(VALU_DEP_2)
	v_mov_b32_dpp v7, v4 row_shr:8 row_mask:0xf bank_mask:0xf
	s_and_saveexec_b32 s3, s4
; %bb.43:
	s_delay_alu instid0(VALU_DEP_2) | instskip(SKIP_2) | instid1(VALU_DEP_2)
	v_add_co_u32 v3, vcc_lo, v3, v8
	s_wait_alu 0xfffd
	v_add_co_ci_u32_e64 v4, null, 0, v4, vcc_lo
	v_add_co_u32 v3, vcc_lo, v3, 0
	s_wait_alu 0xfffd
	s_delay_alu instid0(VALU_DEP_2)
	v_add_co_ci_u32_e64 v4, null, v4, v7, vcc_lo
; %bb.44:
	s_wait_alu 0xfffe
	s_or_b32 exec_lo, exec_lo, s3
	ds_store_b64 v6, v[3:4]
.LBB9_45:
	s_or_b32 exec_lo, exec_lo, s14
	s_delay_alu instid0(SALU_CYCLE_1)
	s_mov_b32 s4, exec_lo
	v_cmp_gt_u32_e32 vcc_lo, 32, v0
	s_wait_loadcnt_dscnt 0x0
	s_barrier_signal -1
	s_barrier_wait -1
	global_inv scope:SCOPE_SE
                                        ; implicit-def: $vgpr17_vgpr18
	v_cmpx_lt_u32_e32 31, v0
	s_cbranch_execz .LBB9_47
; %bb.46:
	v_lshl_add_u32 v1, v1, 3, -8
	ds_load_b64 v[17:18], v1
	s_wait_dscnt 0x0
	v_add_co_u32 v5, s3, v5, v17
	s_wait_alu 0xf1ff
	v_add_co_ci_u32_e64 v2, null, v2, v18, s3
.LBB9_47:
	s_wait_alu 0xfffe
	s_or_b32 exec_lo, exec_lo, s4
	v_sub_co_u32 v1, s3, v41, 1
	s_delay_alu instid0(VALU_DEP_1) | instskip(SKIP_1) | instid1(VALU_DEP_1)
	v_cmp_gt_i32_e64 s4, 0, v1
	s_wait_alu 0xf1ff
	v_cndmask_b32_e64 v1, v1, v41, s4
	s_delay_alu instid0(VALU_DEP_1)
	v_lshlrev_b32_e32 v1, 2, v1
	ds_bpermute_b32 v23, v1, v5
	ds_bpermute_b32 v24, v1, v2
	s_and_saveexec_b32 s4, vcc_lo
	s_cbranch_execz .LBB9_86
; %bb.48:
	v_mov_b32_e32 v4, 0
	ds_load_b64 v[1:2], v4 offset:88
	s_and_saveexec_b32 s5, s3
	s_cbranch_execz .LBB9_50
; %bb.49:
	s_add_co_i32 s14, ttmp9, 32
	s_mov_b32 s15, 0
	s_delay_alu instid0(SALU_CYCLE_1)
	s_lshl_b64 s[14:15], s[14:15], 4
	s_wait_kmcnt 0x0
	s_add_nc_u64 s[14:15], s[10:11], s[14:15]
	v_mov_b32_e32 v3, 1
	v_dual_mov_b32 v5, s14 :: v_dual_mov_b32 v6, s15
	s_wait_dscnt 0x0
	;;#ASMSTART
	global_store_b128 v[5:6], v[1:4] off scope:SCOPE_DEV	
s_wait_storecnt 0x0
	;;#ASMEND
.LBB9_50:
	s_wait_alu 0xfffe
	s_or_b32 exec_lo, exec_lo, s5
	v_xad_u32 v19, v41, -1, ttmp9
	s_mov_b32 s14, 0
	s_mov_b32 s5, exec_lo
	s_delay_alu instid0(VALU_DEP_1) | instskip(NEXT) | instid1(VALU_DEP_1)
	v_add_nc_u32_e32 v3, 32, v19
	v_lshlrev_b64_e32 v[3:4], 4, v[3:4]
	s_wait_kmcnt 0x0
	s_delay_alu instid0(VALU_DEP_1) | instskip(SKIP_1) | instid1(VALU_DEP_2)
	v_add_co_u32 v3, vcc_lo, s10, v3
	s_wait_alu 0xfffd
	v_add_co_ci_u32_e64 v4, null, s11, v4, vcc_lo
	;;#ASMSTART
	global_load_b128 v[5:8], v[3:4] off scope:SCOPE_DEV	
s_wait_loadcnt 0x0
	;;#ASMEND
	v_and_b32_e32 v8, 0xff, v7
	s_delay_alu instid0(VALU_DEP_1)
	v_cmpx_eq_u16_e32 0, v8
	s_cbranch_execz .LBB9_53
.LBB9_51:                               ; =>This Inner Loop Header: Depth=1
	;;#ASMSTART
	global_load_b128 v[5:8], v[3:4] off scope:SCOPE_DEV	
s_wait_loadcnt 0x0
	;;#ASMEND
	v_and_b32_e32 v8, 0xff, v7
	s_delay_alu instid0(VALU_DEP_1)
	v_cmp_ne_u16_e32 vcc_lo, 0, v8
	s_wait_alu 0xfffe
	s_or_b32 s14, vcc_lo, s14
	s_wait_alu 0xfffe
	s_and_not1_b32 exec_lo, exec_lo, s14
	s_cbranch_execnz .LBB9_51
; %bb.52:
	s_or_b32 exec_lo, exec_lo, s14
.LBB9_53:
	s_wait_alu 0xfffe
	s_or_b32 exec_lo, exec_lo, s5
	v_cmp_ne_u32_e32 vcc_lo, 31, v41
	v_and_b32_e32 v4, 0xff, v7
	v_lshlrev_b32_e64 v26, v41, -1
	s_mov_b32 s5, exec_lo
	s_wait_alu 0xfffd
	v_add_co_ci_u32_e64 v3, null, 0, v41, vcc_lo
	v_cmp_eq_u16_e32 vcc_lo, 2, v4
	s_delay_alu instid0(VALU_DEP_2)
	v_dual_mov_b32 v4, v5 :: v_dual_lshlrev_b32 v25, 2, v3
	s_wait_alu 0xfffd
	v_and_or_b32 v3, vcc_lo, v26, 0x80000000
	ds_bpermute_b32 v20, v25, v5
	ds_bpermute_b32 v8, v25, v6
	v_ctz_i32_b32_e32 v3, v3
	s_delay_alu instid0(VALU_DEP_1)
	v_cmpx_lt_u32_e64 v41, v3
	s_cbranch_execz .LBB9_55
; %bb.54:
	s_wait_dscnt 0x1
	v_add_co_u32 v4, vcc_lo, v5, v20
	s_wait_alu 0xfffd
	v_add_co_ci_u32_e64 v6, null, 0, v6, vcc_lo
	s_delay_alu instid0(VALU_DEP_2) | instskip(SKIP_2) | instid1(VALU_DEP_2)
	v_add_co_u32 v5, vcc_lo, 0, v4
	s_wait_dscnt 0x0
	s_wait_alu 0xfffd
	v_add_co_ci_u32_e64 v6, null, v8, v6, vcc_lo
.LBB9_55:
	s_wait_alu 0xfffe
	s_or_b32 exec_lo, exec_lo, s5
	v_cmp_gt_u32_e32 vcc_lo, 30, v41
	v_add_nc_u32_e32 v28, 2, v41
	s_mov_b32 s5, exec_lo
	s_wait_dscnt 0x0
	s_wait_alu 0xfffd
	v_cndmask_b32_e64 v8, 0, 2, vcc_lo
	s_delay_alu instid0(VALU_DEP_1)
	v_add_lshl_u32 v27, v8, v41, 2
	ds_bpermute_b32 v20, v27, v4
	ds_bpermute_b32 v8, v27, v6
	v_cmpx_le_u32_e64 v28, v3
	s_cbranch_execz .LBB9_57
; %bb.56:
	s_wait_dscnt 0x1
	v_add_co_u32 v4, vcc_lo, v5, v20
	s_wait_alu 0xfffd
	v_add_co_ci_u32_e64 v6, null, 0, v6, vcc_lo
	s_delay_alu instid0(VALU_DEP_2) | instskip(SKIP_2) | instid1(VALU_DEP_2)
	v_add_co_u32 v5, vcc_lo, 0, v4
	s_wait_dscnt 0x0
	s_wait_alu 0xfffd
	v_add_co_ci_u32_e64 v6, null, v8, v6, vcc_lo
.LBB9_57:
	s_wait_alu 0xfffe
	s_or_b32 exec_lo, exec_lo, s5
	v_cmp_gt_u32_e32 vcc_lo, 28, v41
	v_add_nc_u32_e32 v44, 4, v41
	s_mov_b32 s5, exec_lo
	s_wait_dscnt 0x0
	s_wait_alu 0xfffd
	v_cndmask_b32_e64 v8, 0, 4, vcc_lo
	s_delay_alu instid0(VALU_DEP_1)
	v_add_lshl_u32 v43, v8, v41, 2
	ds_bpermute_b32 v20, v43, v4
	ds_bpermute_b32 v8, v43, v6
	v_cmpx_le_u32_e64 v44, v3
	;; [unrolled: 25-line block ×3, first 2 shown]
	s_cbranch_execz .LBB9_61
; %bb.60:
	s_wait_dscnt 0x1
	v_add_co_u32 v4, vcc_lo, v5, v20
	s_wait_alu 0xfffd
	v_add_co_ci_u32_e64 v6, null, 0, v6, vcc_lo
	s_delay_alu instid0(VALU_DEP_2) | instskip(SKIP_2) | instid1(VALU_DEP_2)
	v_add_co_u32 v5, vcc_lo, 0, v4
	s_wait_dscnt 0x0
	s_wait_alu 0xfffd
	v_add_co_ci_u32_e64 v6, null, v8, v6, vcc_lo
.LBB9_61:
	s_wait_alu 0xfffe
	s_or_b32 exec_lo, exec_lo, s5
	v_lshl_or_b32 v47, v41, 2, 64
	v_add_nc_u32_e32 v48, 16, v41
	s_mov_b32 s5, exec_lo
	s_wait_dscnt 0x0
	ds_bpermute_b32 v8, v47, v4
	ds_bpermute_b32 v4, v47, v6
	v_cmpx_le_u32_e64 v48, v3
	s_cbranch_execz .LBB9_63
; %bb.62:
	s_wait_dscnt 0x1
	v_add_co_u32 v3, vcc_lo, v5, v8
	s_wait_alu 0xfffd
	v_add_co_ci_u32_e64 v6, null, 0, v6, vcc_lo
	s_delay_alu instid0(VALU_DEP_2) | instskip(SKIP_2) | instid1(VALU_DEP_2)
	v_add_co_u32 v5, vcc_lo, v3, 0
	s_wait_dscnt 0x0
	s_wait_alu 0xfffd
	v_add_co_ci_u32_e64 v6, null, v6, v4, vcc_lo
.LBB9_63:
	s_wait_alu 0xfffe
	s_or_b32 exec_lo, exec_lo, s5
	v_mov_b32_e32 v20, 0
	s_branch .LBB9_66
.LBB9_64:                               ;   in Loop: Header=BB9_66 Depth=1
	s_wait_alu 0xfffe
	s_or_b32 exec_lo, exec_lo, s5
	v_add_co_u32 v5, vcc_lo, v5, v3
	v_subrev_nc_u32_e32 v19, 32, v19
	s_wait_alu 0xfffd
	v_add_co_ci_u32_e64 v6, null, v6, v4, vcc_lo
	s_mov_b32 s5, 0
.LBB9_65:                               ;   in Loop: Header=BB9_66 Depth=1
	s_wait_alu 0xfffe
	s_and_b32 vcc_lo, exec_lo, s5
	s_wait_alu 0xfffe
	s_cbranch_vccnz .LBB9_82
.LBB9_66:                               ; =>This Loop Header: Depth=1
                                        ;     Child Loop BB9_69 Depth 2
	v_and_b32_e32 v3, 0xff, v7
	s_mov_b32 s5, -1
	s_delay_alu instid0(VALU_DEP_1)
	v_cmp_ne_u16_e32 vcc_lo, 2, v3
	s_wait_dscnt 0x0
	v_dual_mov_b32 v3, v5 :: v_dual_mov_b32 v4, v6
                                        ; implicit-def: $vgpr5_vgpr6
	s_cmp_lg_u32 vcc_lo, exec_lo
	s_cbranch_scc1 .LBB9_65
; %bb.67:                               ;   in Loop: Header=BB9_66 Depth=1
	v_lshlrev_b64_e32 v[5:6], 4, v[19:20]
	s_mov_b32 s5, exec_lo
	s_delay_alu instid0(VALU_DEP_1) | instskip(SKIP_1) | instid1(VALU_DEP_2)
	v_add_co_u32 v21, vcc_lo, s10, v5
	s_wait_alu 0xfffd
	v_add_co_ci_u32_e64 v22, null, s11, v6, vcc_lo
	;;#ASMSTART
	global_load_b128 v[5:8], v[21:22] off scope:SCOPE_DEV	
s_wait_loadcnt 0x0
	;;#ASMEND
	v_and_b32_e32 v8, 0xff, v7
	s_delay_alu instid0(VALU_DEP_1)
	v_cmpx_eq_u16_e32 0, v8
	s_cbranch_execz .LBB9_71
; %bb.68:                               ;   in Loop: Header=BB9_66 Depth=1
	s_mov_b32 s14, 0
.LBB9_69:                               ;   Parent Loop BB9_66 Depth=1
                                        ; =>  This Inner Loop Header: Depth=2
	;;#ASMSTART
	global_load_b128 v[5:8], v[21:22] off scope:SCOPE_DEV	
s_wait_loadcnt 0x0
	;;#ASMEND
	v_and_b32_e32 v8, 0xff, v7
	s_delay_alu instid0(VALU_DEP_1)
	v_cmp_ne_u16_e32 vcc_lo, 0, v8
	s_wait_alu 0xfffe
	s_or_b32 s14, vcc_lo, s14
	s_wait_alu 0xfffe
	s_and_not1_b32 exec_lo, exec_lo, s14
	s_cbranch_execnz .LBB9_69
; %bb.70:                               ;   in Loop: Header=BB9_66 Depth=1
	s_or_b32 exec_lo, exec_lo, s14
.LBB9_71:                               ;   in Loop: Header=BB9_66 Depth=1
	s_wait_alu 0xfffe
	s_or_b32 exec_lo, exec_lo, s5
	v_dual_mov_b32 v21, v5 :: v_dual_and_b32 v8, 0xff, v7
	ds_bpermute_b32 v49, v25, v5
	ds_bpermute_b32 v22, v25, v6
	s_mov_b32 s5, exec_lo
	v_cmp_eq_u16_e32 vcc_lo, 2, v8
	s_wait_alu 0xfffd
	v_and_or_b32 v8, vcc_lo, v26, 0x80000000
	s_delay_alu instid0(VALU_DEP_1) | instskip(NEXT) | instid1(VALU_DEP_1)
	v_ctz_i32_b32_e32 v8, v8
	v_cmpx_lt_u32_e64 v41, v8
	s_cbranch_execz .LBB9_73
; %bb.72:                               ;   in Loop: Header=BB9_66 Depth=1
	s_wait_dscnt 0x1
	v_add_co_u32 v21, vcc_lo, v5, v49
	s_wait_alu 0xfffd
	v_add_co_ci_u32_e64 v6, null, 0, v6, vcc_lo
	s_delay_alu instid0(VALU_DEP_2) | instskip(SKIP_2) | instid1(VALU_DEP_2)
	v_add_co_u32 v5, vcc_lo, 0, v21
	s_wait_dscnt 0x0
	s_wait_alu 0xfffd
	v_add_co_ci_u32_e64 v6, null, v22, v6, vcc_lo
.LBB9_73:                               ;   in Loop: Header=BB9_66 Depth=1
	s_wait_alu 0xfffe
	s_or_b32 exec_lo, exec_lo, s5
	s_wait_dscnt 0x1
	ds_bpermute_b32 v49, v27, v21
	s_wait_dscnt 0x1
	ds_bpermute_b32 v22, v27, v6
	s_mov_b32 s5, exec_lo
	v_cmpx_le_u32_e64 v28, v8
	s_cbranch_execz .LBB9_75
; %bb.74:                               ;   in Loop: Header=BB9_66 Depth=1
	s_wait_dscnt 0x1
	v_add_co_u32 v21, vcc_lo, v5, v49
	s_wait_alu 0xfffd
	v_add_co_ci_u32_e64 v6, null, 0, v6, vcc_lo
	s_delay_alu instid0(VALU_DEP_2) | instskip(SKIP_2) | instid1(VALU_DEP_2)
	v_add_co_u32 v5, vcc_lo, 0, v21
	s_wait_dscnt 0x0
	s_wait_alu 0xfffd
	v_add_co_ci_u32_e64 v6, null, v22, v6, vcc_lo
.LBB9_75:                               ;   in Loop: Header=BB9_66 Depth=1
	s_wait_alu 0xfffe
	s_or_b32 exec_lo, exec_lo, s5
	s_wait_dscnt 0x1
	ds_bpermute_b32 v49, v43, v21
	s_wait_dscnt 0x1
	ds_bpermute_b32 v22, v43, v6
	s_mov_b32 s5, exec_lo
	v_cmpx_le_u32_e64 v44, v8
	s_cbranch_execz .LBB9_77
; %bb.76:                               ;   in Loop: Header=BB9_66 Depth=1
	s_wait_dscnt 0x1
	v_add_co_u32 v21, vcc_lo, v5, v49
	s_wait_alu 0xfffd
	v_add_co_ci_u32_e64 v6, null, 0, v6, vcc_lo
	s_delay_alu instid0(VALU_DEP_2) | instskip(SKIP_2) | instid1(VALU_DEP_2)
	v_add_co_u32 v5, vcc_lo, 0, v21
	s_wait_dscnt 0x0
	s_wait_alu 0xfffd
	v_add_co_ci_u32_e64 v6, null, v22, v6, vcc_lo
.LBB9_77:                               ;   in Loop: Header=BB9_66 Depth=1
	s_wait_alu 0xfffe
	s_or_b32 exec_lo, exec_lo, s5
	s_wait_dscnt 0x1
	ds_bpermute_b32 v49, v45, v21
	s_wait_dscnt 0x1
	ds_bpermute_b32 v22, v45, v6
	s_mov_b32 s5, exec_lo
	v_cmpx_le_u32_e64 v46, v8
	s_cbranch_execz .LBB9_79
; %bb.78:                               ;   in Loop: Header=BB9_66 Depth=1
	s_wait_dscnt 0x1
	v_add_co_u32 v21, vcc_lo, v5, v49
	s_wait_alu 0xfffd
	v_add_co_ci_u32_e64 v6, null, 0, v6, vcc_lo
	s_delay_alu instid0(VALU_DEP_2) | instskip(SKIP_2) | instid1(VALU_DEP_2)
	v_add_co_u32 v5, vcc_lo, 0, v21
	s_wait_dscnt 0x0
	s_wait_alu 0xfffd
	v_add_co_ci_u32_e64 v6, null, v22, v6, vcc_lo
.LBB9_79:                               ;   in Loop: Header=BB9_66 Depth=1
	s_wait_alu 0xfffe
	s_or_b32 exec_lo, exec_lo, s5
	s_wait_dscnt 0x0
	ds_bpermute_b32 v22, v47, v21
	ds_bpermute_b32 v21, v47, v6
	s_mov_b32 s5, exec_lo
	v_cmpx_le_u32_e64 v48, v8
	s_cbranch_execz .LBB9_64
; %bb.80:                               ;   in Loop: Header=BB9_66 Depth=1
	s_wait_dscnt 0x1
	v_add_co_u32 v5, vcc_lo, v5, v22
	s_wait_alu 0xfffd
	v_add_co_ci_u32_e64 v6, null, 0, v6, vcc_lo
	s_delay_alu instid0(VALU_DEP_2) | instskip(SKIP_2) | instid1(VALU_DEP_2)
	v_add_co_u32 v5, vcc_lo, v5, 0
	s_wait_dscnt 0x0
	s_wait_alu 0xfffd
	v_add_co_ci_u32_e64 v6, null, v6, v21, vcc_lo
	s_branch .LBB9_64
.LBB9_81:
                                        ; implicit-def: $vgpr17_vgpr18
                                        ; implicit-def: $vgpr6_vgpr7
                                        ; implicit-def: $vgpr19_vgpr20
                                        ; implicit-def: $vgpr21_vgpr22
                                        ; implicit-def: $vgpr23_vgpr24
                                        ; implicit-def: $vgpr25_vgpr26
                                        ; implicit-def: $vgpr27_vgpr28
                                        ; implicit-def: $vgpr4_vgpr5
	s_load_b64 s[4:5], s[0:1], 0x28
	s_and_b32 vcc_lo, exec_lo, s3
	s_wait_alu 0xfffe
	s_cbranch_vccnz .LBB9_87
	s_branch .LBB9_114
.LBB9_82:
	s_and_saveexec_b32 s5, s3
	s_cbranch_execz .LBB9_84
; %bb.83:
	s_add_co_i32 s14, ttmp9, 32
	s_mov_b32 s15, 0
	v_add_co_u32 v5, vcc_lo, v3, v1
	s_wait_alu 0xfffe
	s_lshl_b64 s[14:15], s[14:15], 4
	v_dual_mov_b32 v7, 2 :: v_dual_mov_b32 v8, 0
	s_wait_alu 0xfffe
	s_add_nc_u64 s[14:15], s[10:11], s[14:15]
	s_wait_alu 0xfffd
	v_add_co_ci_u32_e64 v6, null, v4, v2, vcc_lo
	s_wait_alu 0xfffe
	v_dual_mov_b32 v20, s15 :: v_dual_mov_b32 v19, s14
	;;#ASMSTART
	global_store_b128 v[19:20], v[5:8] off scope:SCOPE_DEV	
s_wait_storecnt 0x0
	;;#ASMEND
	ds_store_b128 v8, v[1:4] offset:10752
.LBB9_84:
	s_wait_alu 0xfffe
	s_or_b32 exec_lo, exec_lo, s5
	v_cmp_eq_u32_e32 vcc_lo, 0, v0
	s_and_b32 exec_lo, exec_lo, vcc_lo
; %bb.85:
	v_mov_b32_e32 v1, 0
	ds_store_b64 v1, v[3:4] offset:88
.LBB9_86:
	s_wait_alu 0xfffe
	s_or_b32 exec_lo, exec_lo, s4
	s_wait_dscnt 0x1
	v_cndmask_b32_e64 v4, v23, v17, s3
	v_cmp_ne_u32_e32 vcc_lo, 0, v0
	v_mov_b32_e32 v3, 0
	s_wait_loadcnt_dscnt 0x0
	s_barrier_signal -1
	s_barrier_wait -1
	global_inv scope:SCOPE_SE
	s_wait_alu 0xfffd
	v_cndmask_b32_e32 v4, 0, v4, vcc_lo
	ds_load_b64 v[1:2], v3 offset:88
	v_cndmask_b32_e64 v5, v24, v18, s3
	s_wait_loadcnt_dscnt 0x0
	s_barrier_signal -1
	s_barrier_wait -1
	global_inv scope:SCOPE_SE
	v_cndmask_b32_e32 v5, 0, v5, vcc_lo
	v_add_co_u32 v27, vcc_lo, v1, v4
	s_wait_alu 0xfffd
	s_delay_alu instid0(VALU_DEP_2) | instskip(SKIP_4) | instid1(VALU_DEP_2)
	v_add_co_ci_u32_e64 v28, null, v2, v5, vcc_lo
	ds_load_b128 v[2:5], v3 offset:10752
	v_add_co_u32 v25, vcc_lo, v27, v40
	s_wait_alu 0xfffd
	v_add_co_ci_u32_e64 v26, null, 0, v28, vcc_lo
	v_add_co_u32 v23, vcc_lo, v25, v38
	s_wait_alu 0xfffd
	s_delay_alu instid0(VALU_DEP_2) | instskip(NEXT) | instid1(VALU_DEP_2)
	v_add_co_ci_u32_e64 v24, null, 0, v26, vcc_lo
	v_add_co_u32 v21, vcc_lo, v23, v37
	s_wait_alu 0xfffd
	s_delay_alu instid0(VALU_DEP_2) | instskip(NEXT) | instid1(VALU_DEP_2)
	;; [unrolled: 4-line block ×4, first 2 shown]
	v_add_co_ci_u32_e64 v7, null, 0, v20, vcc_lo
	v_add_co_u32 v17, vcc_lo, v6, v36
	s_wait_alu 0xfffd
	s_delay_alu instid0(VALU_DEP_2)
	v_add_co_ci_u32_e64 v18, null, 0, v7, vcc_lo
	s_load_b64 s[4:5], s[0:1], 0x28
	s_branch .LBB9_114
.LBB9_87:
	s_wait_dscnt 0x0
	v_dual_mov_b32 v2, 0 :: v_dual_mov_b32 v3, v15
	v_mov_b32_dpp v4, v15 row_shr:1 row_mask:0xf bank_mask:0xf
	s_delay_alu instid0(VALU_DEP_2)
	v_mov_b32_dpp v1, v2 row_shr:1 row_mask:0xf bank_mask:0xf
	s_and_saveexec_b32 s0, s2
; %bb.88:
	s_delay_alu instid0(VALU_DEP_2) | instskip(SKIP_2) | instid1(VALU_DEP_2)
	v_add_co_u32 v3, vcc_lo, v15, v4
	s_wait_alu 0xfffd
	v_add_co_ci_u32_e64 v2, null, 0, v16, vcc_lo
	v_add_co_u32 v15, vcc_lo, 0, v3
	s_wait_alu 0xfffd
	s_delay_alu instid0(VALU_DEP_2) | instskip(NEXT) | instid1(VALU_DEP_1)
	v_add_co_ci_u32_e64 v16, null, v1, v2, vcc_lo
	v_mov_b32_e32 v2, v16
; %bb.89:
	s_or_b32 exec_lo, exec_lo, s0
	v_mov_b32_dpp v1, v3 row_shr:2 row_mask:0xf bank_mask:0xf
	s_delay_alu instid0(VALU_DEP_2)
	v_mov_b32_dpp v4, v2 row_shr:2 row_mask:0xf bank_mask:0xf
	v_cmp_lt_u32_e32 vcc_lo, 1, v42
	s_and_saveexec_b32 s1, vcc_lo
; %bb.90:
	s_delay_alu instid0(VALU_DEP_3) | instskip(NEXT) | instid1(VALU_DEP_1)
	v_add_co_u32 v3, s0, v15, v1
	v_add_co_ci_u32_e64 v2, null, 0, v16, s0
	s_delay_alu instid0(VALU_DEP_2) | instskip(SKIP_1) | instid1(VALU_DEP_2)
	v_add_co_u32 v1, s0, 0, v3
	s_wait_alu 0xf1ff
	v_add_co_ci_u32_e64 v2, null, v4, v2, s0
	s_delay_alu instid0(VALU_DEP_1)
	v_dual_mov_b32 v16, v2 :: v_dual_mov_b32 v15, v1
; %bb.91:
	s_or_b32 exec_lo, exec_lo, s1
	v_mov_b32_dpp v1, v3 row_shr:4 row_mask:0xf bank_mask:0xf
	v_mov_b32_dpp v4, v2 row_shr:4 row_mask:0xf bank_mask:0xf
	v_cmp_lt_u32_e64 s0, 3, v42
	s_and_saveexec_b32 s3, s0
; %bb.92:
	v_add_co_u32 v3, s1, v15, v1
	s_wait_alu 0xf1ff
	v_add_co_ci_u32_e64 v2, null, 0, v16, s1
	s_delay_alu instid0(VALU_DEP_2) | instskip(SKIP_1) | instid1(VALU_DEP_2)
	v_add_co_u32 v1, s1, 0, v3
	s_wait_alu 0xf1ff
	v_add_co_ci_u32_e64 v2, null, v4, v2, s1
	s_delay_alu instid0(VALU_DEP_1)
	v_dual_mov_b32 v16, v2 :: v_dual_mov_b32 v15, v1
; %bb.93:
	s_wait_alu 0xfffe
	s_or_b32 exec_lo, exec_lo, s3
	v_mov_b32_dpp v4, v3 row_shr:8 row_mask:0xf bank_mask:0xf
	v_mov_b32_dpp v1, v2 row_shr:8 row_mask:0xf bank_mask:0xf
	v_cmp_lt_u32_e64 s1, 7, v42
	s_and_saveexec_b32 s14, s1
; %bb.94:
	v_add_co_u32 v3, s3, v15, v4
	s_wait_alu 0xf1ff
	v_add_co_ci_u32_e64 v2, null, 0, v16, s3
	s_delay_alu instid0(VALU_DEP_2) | instskip(SKIP_1) | instid1(VALU_DEP_2)
	v_add_co_u32 v15, s3, 0, v3
	s_wait_alu 0xf1ff
	v_add_co_ci_u32_e64 v16, null, v1, v2, s3
	s_delay_alu instid0(VALU_DEP_1)
	v_mov_b32_e32 v2, v16
; %bb.95:
	s_or_b32 exec_lo, exec_lo, s14
	ds_swizzle_b32 v3, v3 offset:swizzle(BROADCAST,32,15)
	ds_swizzle_b32 v1, v2 offset:swizzle(BROADCAST,32,15)
	v_and_b32_e32 v2, 16, v41
	s_mov_b32 s14, exec_lo
	s_delay_alu instid0(VALU_DEP_1)
	v_cmpx_ne_u32_e32 0, v2
	s_cbranch_execz .LBB9_97
; %bb.96:
	s_wait_dscnt 0x1
	v_add_co_u32 v2, s3, v15, v3
	s_wait_alu 0xf1ff
	v_add_co_ci_u32_e64 v3, null, 0, v16, s3
	s_delay_alu instid0(VALU_DEP_2) | instskip(SKIP_2) | instid1(VALU_DEP_2)
	v_add_co_u32 v15, s3, v2, 0
	s_wait_dscnt 0x0
	s_wait_alu 0xf1ff
	v_add_co_ci_u32_e64 v16, null, v3, v1, s3
.LBB9_97:
	s_or_b32 exec_lo, exec_lo, s14
	s_wait_dscnt 0x0
	v_and_b32_e32 v1, 0x1e0, v0
	v_lshrrev_b32_e32 v3, 5, v0
	s_mov_b32 s14, exec_lo
	s_delay_alu instid0(VALU_DEP_2) | instskip(NEXT) | instid1(VALU_DEP_1)
	v_min_u32_e32 v1, 0x160, v1
	v_or_b32_e32 v1, 31, v1
	s_delay_alu instid0(VALU_DEP_1)
	v_cmpx_eq_u32_e64 v0, v1
; %bb.98:
	v_lshlrev_b32_e32 v1, 3, v3
	ds_store_b64 v1, v[15:16]
; %bb.99:
	s_or_b32 exec_lo, exec_lo, s14
	s_delay_alu instid0(SALU_CYCLE_1)
	s_mov_b32 s14, exec_lo
	s_wait_loadcnt_dscnt 0x0
	s_barrier_signal -1
	s_barrier_wait -1
	global_inv scope:SCOPE_SE
	v_cmpx_gt_u32_e32 12, v0
	s_cbranch_execz .LBB9_109
; %bb.100:
	v_mad_i32_i24 v1, 0xffffffec, v0, v35
	ds_load_b64 v[1:2], v1
	s_wait_dscnt 0x0
	v_mov_b32_dpp v6, v1 row_shr:1 row_mask:0xf bank_mask:0xf
	v_mov_b32_dpp v5, v2 row_shr:1 row_mask:0xf bank_mask:0xf
	v_mov_b32_e32 v4, v1
	s_and_saveexec_b32 s3, s2
; %bb.101:
	s_delay_alu instid0(VALU_DEP_3) | instskip(SKIP_2) | instid1(VALU_DEP_2)
	v_add_co_u32 v4, s2, v1, v6
	s_wait_alu 0xf1ff
	v_add_co_ci_u32_e64 v2, null, 0, v2, s2
	v_add_co_u32 v1, s2, 0, v4
	s_wait_alu 0xf1ff
	s_delay_alu instid0(VALU_DEP_2)
	v_add_co_ci_u32_e64 v2, null, v5, v2, s2
; %bb.102:
	s_wait_alu 0xfffe
	s_or_b32 exec_lo, exec_lo, s3
	v_mov_b32_dpp v6, v4 row_shr:2 row_mask:0xf bank_mask:0xf
	s_delay_alu instid0(VALU_DEP_2)
	v_mov_b32_dpp v5, v2 row_shr:2 row_mask:0xf bank_mask:0xf
	s_and_saveexec_b32 s2, vcc_lo
; %bb.103:
	s_delay_alu instid0(VALU_DEP_2) | instskip(SKIP_2) | instid1(VALU_DEP_2)
	v_add_co_u32 v4, vcc_lo, v1, v6
	s_wait_alu 0xfffd
	v_add_co_ci_u32_e64 v2, null, 0, v2, vcc_lo
	v_add_co_u32 v1, vcc_lo, 0, v4
	s_wait_alu 0xfffd
	s_delay_alu instid0(VALU_DEP_2)
	v_add_co_ci_u32_e64 v2, null, v5, v2, vcc_lo
; %bb.104:
	s_wait_alu 0xfffe
	s_or_b32 exec_lo, exec_lo, s2
	v_mov_b32_dpp v6, v4 row_shr:4 row_mask:0xf bank_mask:0xf
	s_delay_alu instid0(VALU_DEP_2)
	v_mov_b32_dpp v5, v2 row_shr:4 row_mask:0xf bank_mask:0xf
	s_and_saveexec_b32 s2, s0
; %bb.105:
	s_delay_alu instid0(VALU_DEP_2) | instskip(SKIP_2) | instid1(VALU_DEP_2)
	v_add_co_u32 v4, vcc_lo, v1, v6
	s_wait_alu 0xfffd
	v_add_co_ci_u32_e64 v2, null, 0, v2, vcc_lo
	v_add_co_u32 v1, vcc_lo, 0, v4
	s_wait_alu 0xfffd
	s_delay_alu instid0(VALU_DEP_2)
	v_add_co_ci_u32_e64 v2, null, v5, v2, vcc_lo
; %bb.106:
	s_wait_alu 0xfffe
	s_or_b32 exec_lo, exec_lo, s2
	v_mul_i32_i24_e32 v5, 0xffffffec, v0
	v_mov_b32_dpp v6, v4 row_shr:8 row_mask:0xf bank_mask:0xf
	v_mov_b32_dpp v4, v2 row_shr:8 row_mask:0xf bank_mask:0xf
	s_and_saveexec_b32 s0, s1
; %bb.107:
	s_delay_alu instid0(VALU_DEP_2) | instskip(SKIP_2) | instid1(VALU_DEP_2)
	v_add_co_u32 v1, vcc_lo, v1, v6
	s_wait_alu 0xfffd
	v_add_co_ci_u32_e64 v2, null, 0, v2, vcc_lo
	v_add_co_u32 v1, vcc_lo, v1, 0
	s_wait_alu 0xfffd
	s_delay_alu instid0(VALU_DEP_2)
	v_add_co_ci_u32_e64 v2, null, v2, v4, vcc_lo
; %bb.108:
	s_wait_alu 0xfffe
	s_or_b32 exec_lo, exec_lo, s0
	v_add_nc_u32_e32 v4, v35, v5
	ds_store_b64 v4, v[1:2]
.LBB9_109:
	s_or_b32 exec_lo, exec_lo, s14
	v_mov_b32_e32 v6, 0
	v_mov_b32_e32 v7, 0
	s_mov_b32 s0, exec_lo
	s_wait_loadcnt_dscnt 0x0
	s_barrier_signal -1
	s_barrier_wait -1
	global_inv scope:SCOPE_SE
	v_cmpx_lt_u32_e32 31, v0
; %bb.110:
	v_lshl_add_u32 v1, v3, 3, -8
	ds_load_b64 v[6:7], v1
; %bb.111:
	s_wait_alu 0xfffe
	s_or_b32 exec_lo, exec_lo, s0
	v_sub_co_u32 v1, vcc_lo, v41, 1
	v_mov_b32_e32 v5, 0
	s_delay_alu instid0(VALU_DEP_2) | instskip(SKIP_1) | instid1(VALU_DEP_1)
	v_cmp_gt_i32_e64 s0, 0, v1
	s_wait_alu 0xf1ff
	v_cndmask_b32_e64 v1, v1, v41, s0
	s_delay_alu instid0(VALU_DEP_1)
	v_lshlrev_b32_e32 v2, 2, v1
	s_wait_dscnt 0x0
	v_add_co_u32 v1, s0, v6, v15
	s_wait_alu 0xf1ff
	v_add_co_ci_u32_e64 v3, null, v7, v16, s0
	v_cmp_eq_u32_e64 s0, 0, v0
	ds_bpermute_b32 v1, v2, v1
	ds_bpermute_b32 v8, v2, v3
	ds_load_b64 v[2:3], v5 offset:88
	s_and_saveexec_b32 s1, s0
	s_cbranch_execz .LBB9_113
; %bb.112:
	s_wait_kmcnt 0x0
	s_add_nc_u64 s[2:3], s[10:11], 0x200
	v_mov_b32_e32 v4, 2
	s_wait_alu 0xfffe
	v_dual_mov_b32 v16, s3 :: v_dual_mov_b32 v15, s2
	s_wait_dscnt 0x0
	;;#ASMSTART
	global_store_b128 v[15:16], v[2:5] off scope:SCOPE_DEV	
s_wait_storecnt 0x0
	;;#ASMEND
.LBB9_113:
	s_wait_alu 0xfffe
	s_or_b32 exec_lo, exec_lo, s1
	s_wait_dscnt 0x1
	s_wait_alu 0xfffd
	v_dual_cndmask_b32 v1, v1, v6 :: v_dual_cndmask_b32 v4, v8, v7
	s_wait_loadcnt_dscnt 0x0
	s_barrier_signal -1
	s_barrier_wait -1
	s_delay_alu instid0(VALU_DEP_1)
	v_cndmask_b32_e64 v27, v1, 0, s0
	v_cndmask_b32_e64 v28, v4, 0, s0
	v_mov_b32_e32 v4, 0
	v_mov_b32_e32 v5, 0
	global_inv scope:SCOPE_SE
	v_add_co_u32 v25, vcc_lo, v27, v40
	s_wait_alu 0xfffd
	v_add_co_ci_u32_e64 v26, null, 0, v28, vcc_lo
	s_delay_alu instid0(VALU_DEP_2) | instskip(SKIP_1) | instid1(VALU_DEP_2)
	v_add_co_u32 v23, vcc_lo, v25, v38
	s_wait_alu 0xfffd
	v_add_co_ci_u32_e64 v24, null, 0, v26, vcc_lo
	s_delay_alu instid0(VALU_DEP_2) | instskip(SKIP_1) | instid1(VALU_DEP_2)
	;; [unrolled: 4-line block ×5, first 2 shown]
	v_add_co_u32 v17, vcc_lo, v6, v36
	s_wait_alu 0xfffd
	v_add_co_ci_u32_e64 v18, null, 0, v7, vcc_lo
.LBB9_114:
	v_lshrrev_b32_e32 v8, 8, v34
	v_lshrrev_b32_e32 v1, 16, v34
	v_and_b32_e32 v34, 1, v34
	s_wait_dscnt 0x0
	v_cmp_gt_u64_e32 vcc_lo, 0x181, v[2:3]
	s_mov_b32 s1, -1
	s_delay_alu instid0(VALU_DEP_2)
	v_cmp_eq_u32_e64 s0, 1, v34
	s_cbranch_vccnz .LBB9_118
; %bb.115:
	s_wait_alu 0xfffe
	s_and_b32 vcc_lo, exec_lo, s1
	s_wait_alu 0xfffe
	s_cbranch_vccnz .LBB9_133
.LBB9_116:
	v_cmp_eq_u32_e32 vcc_lo, 0, v0
	s_and_b32 s0, vcc_lo, s12
	s_wait_alu 0xfffe
	s_and_saveexec_b32 s1, s0
	s_cbranch_execnz .LBB9_150
.LBB9_117:
	s_endpgm
.LBB9_118:
	v_add_co_u32 v15, vcc_lo, v4, v2
	s_wait_alu 0xfffd
	v_add_co_ci_u32_e64 v16, null, v5, v3, vcc_lo
	s_wait_kmcnt 0x0
	s_lshl_b64 s[2:3], s[6:7], 2
	s_wait_alu 0xfffe
	s_add_nc_u64 s[2:3], s[4:5], s[2:3]
	v_cmp_lt_u64_e32 vcc_lo, v[27:28], v[15:16]
	s_or_b32 s1, s13, vcc_lo
	s_wait_alu 0xfffe
	s_and_b32 s1, s1, s0
	s_wait_alu 0xfffe
	s_and_saveexec_b32 s0, s1
	s_cbranch_execz .LBB9_120
; %bb.119:
	v_lshlrev_b64_e32 v[35:36], 2, v[27:28]
	s_delay_alu instid0(VALU_DEP_1) | instskip(SKIP_1) | instid1(VALU_DEP_2)
	v_add_co_u32 v35, vcc_lo, s2, v35
	s_wait_alu 0xfffd
	v_add_co_ci_u32_e64 v36, null, s3, v36, vcc_lo
	global_store_b32 v[35:36], v13, off
.LBB9_120:
	s_wait_alu 0xfffe
	s_or_b32 exec_lo, exec_lo, s0
	v_and_b32_e32 v28, 1, v8
	v_cmp_lt_u64_e32 vcc_lo, v[25:26], v[15:16]
	s_delay_alu instid0(VALU_DEP_2)
	v_cmp_eq_u32_e64 s0, 1, v28
	s_or_b32 s1, s13, vcc_lo
	s_wait_alu 0xfffe
	s_and_b32 s1, s1, s0
	s_wait_alu 0xfffe
	s_and_saveexec_b32 s0, s1
	s_cbranch_execz .LBB9_122
; %bb.121:
	v_lshlrev_b64_e32 v[35:36], 2, v[25:26]
	s_delay_alu instid0(VALU_DEP_1) | instskip(SKIP_1) | instid1(VALU_DEP_2)
	v_add_co_u32 v35, vcc_lo, s2, v35
	s_wait_alu 0xfffd
	v_add_co_ci_u32_e64 v36, null, s3, v36, vcc_lo
	global_store_b32 v[35:36], v14, off
.LBB9_122:
	s_wait_alu 0xfffe
	s_or_b32 exec_lo, exec_lo, s0
	v_and_b32_e32 v26, 1, v1
	v_cmp_lt_u64_e32 vcc_lo, v[23:24], v[15:16]
	s_delay_alu instid0(VALU_DEP_2)
	v_cmp_eq_u32_e64 s0, 1, v26
	;; [unrolled: 20-line block ×6, first 2 shown]
	s_or_b32 s1, s13, vcc_lo
	s_wait_alu 0xfffe
	s_and_b32 s1, s1, s0
	s_wait_alu 0xfffe
	s_and_saveexec_b32 s0, s1
	s_cbranch_execz .LBB9_132
; %bb.131:
	v_lshlrev_b64_e32 v[15:16], 2, v[17:18]
	s_delay_alu instid0(VALU_DEP_1) | instskip(SKIP_1) | instid1(VALU_DEP_2)
	v_add_co_u32 v15, vcc_lo, s2, v15
	s_wait_alu 0xfffd
	v_add_co_ci_u32_e64 v16, null, s3, v16, vcc_lo
	global_store_b32 v[15:16], v29, off
.LBB9_132:
	s_wait_alu 0xfffe
	s_or_b32 exec_lo, exec_lo, s0
	s_branch .LBB9_116
.LBB9_133:
	s_mov_b32 s0, exec_lo
	v_cmpx_eq_u32_e32 1, v34
; %bb.134:
	v_sub_nc_u32_e32 v7, v27, v4
	s_delay_alu instid0(VALU_DEP_1)
	v_lshlrev_b32_e32 v7, 2, v7
	ds_store_b32 v7, v13
; %bb.135:
	s_wait_alu 0xfffe
	s_or_b32 exec_lo, exec_lo, s0
	v_and_b32_e32 v7, 1, v8
	s_mov_b32 s0, exec_lo
	s_delay_alu instid0(VALU_DEP_1)
	v_cmpx_eq_u32_e32 1, v7
; %bb.136:
	v_sub_nc_u32_e32 v7, v25, v4
	s_delay_alu instid0(VALU_DEP_1)
	v_lshlrev_b32_e32 v7, 2, v7
	ds_store_b32 v7, v14
; %bb.137:
	s_wait_alu 0xfffe
	s_or_b32 exec_lo, exec_lo, s0
	v_and_b32_e32 v1, 1, v1
	s_mov_b32 s0, exec_lo
	s_delay_alu instid0(VALU_DEP_1)
	v_cmpx_eq_u32_e32 1, v1
; %bb.138:
	v_sub_nc_u32_e32 v1, v23, v4
	s_delay_alu instid0(VALU_DEP_1)
	v_lshlrev_b32_e32 v1, 2, v1
	ds_store_b32 v1, v11
; %bb.139:
	s_wait_alu 0xfffe
	s_or_b32 exec_lo, exec_lo, s0
	v_and_b32_e32 v1, 1, v33
	s_mov_b32 s0, exec_lo
	s_delay_alu instid0(VALU_DEP_1)
	v_cmpx_eq_u32_e32 1, v1
; %bb.140:
	v_sub_nc_u32_e32 v1, v21, v4
	s_delay_alu instid0(VALU_DEP_1)
	v_lshlrev_b32_e32 v1, 2, v1
	ds_store_b32 v1, v12
; %bb.141:
	s_wait_alu 0xfffe
	s_or_b32 exec_lo, exec_lo, s0
	v_and_b32_e32 v1, 1, v32
	s_mov_b32 s0, exec_lo
	s_delay_alu instid0(VALU_DEP_1)
	v_cmpx_eq_u32_e32 1, v1
; %bb.142:
	v_sub_nc_u32_e32 v1, v19, v4
	s_delay_alu instid0(VALU_DEP_1)
	v_lshlrev_b32_e32 v1, 2, v1
	ds_store_b32 v1, v9
; %bb.143:
	s_wait_alu 0xfffe
	s_or_b32 exec_lo, exec_lo, s0
	v_and_b32_e32 v1, 1, v31
	s_mov_b32 s0, exec_lo
	s_delay_alu instid0(VALU_DEP_1)
	v_cmpx_eq_u32_e32 1, v1
; %bb.144:
	v_sub_nc_u32_e32 v1, v6, v4
	s_delay_alu instid0(VALU_DEP_1)
	v_lshlrev_b32_e32 v1, 2, v1
	ds_store_b32 v1, v10
; %bb.145:
	s_wait_alu 0xfffe
	s_or_b32 exec_lo, exec_lo, s0
	v_and_b32_e32 v1, 1, v30
	s_mov_b32 s0, exec_lo
	s_delay_alu instid0(VALU_DEP_1)
	v_cmpx_eq_u32_e32 1, v1
; %bb.146:
	v_sub_nc_u32_e32 v1, v17, v4
	s_delay_alu instid0(VALU_DEP_1)
	v_lshlrev_b32_e32 v1, 2, v1
	ds_store_b32 v1, v29
; %bb.147:
	s_wait_alu 0xfffe
	s_or_b32 exec_lo, exec_lo, s0
	v_lshlrev_b64_e32 v[8:9], 2, v[4:5]
	v_mov_b32_e32 v7, 0
	s_wait_kmcnt 0x0
	s_lshl_b64 s[0:1], s[6:7], 2
	s_wait_storecnt 0x0
	s_wait_loadcnt_dscnt 0x0
	s_barrier_signal -1
	s_barrier_wait -1
	v_add_co_u32 v6, vcc_lo, s4, v8
	s_wait_alu 0xfffd
	v_add_co_ci_u32_e64 v8, null, s5, v9, vcc_lo
	global_inv scope:SCOPE_SE
	s_wait_alu 0xfffe
	v_add_co_u32 v10, vcc_lo, v6, s0
	v_dual_mov_b32 v1, v7 :: v_dual_add_nc_u32 v6, 0x180, v0
	s_wait_alu 0xfffd
	v_add_co_ci_u32_e64 v11, null, s1, v8, vcc_lo
	s_mov_b32 s1, 0
	v_dual_mov_b32 v9, v1 :: v_dual_mov_b32 v8, v0
.LBB9_148:                              ; =>This Inner Loop Header: Depth=1
	s_delay_alu instid0(VALU_DEP_1) | instskip(NEXT) | instid1(VALU_DEP_2)
	v_lshlrev_b32_e32 v1, 2, v8
	v_lshlrev_b64_e32 v[12:13], 2, v[8:9]
	v_dual_mov_b32 v9, v7 :: v_dual_mov_b32 v8, v6
	v_cmp_le_u64_e32 vcc_lo, v[2:3], v[6:7]
	ds_load_b32 v1, v1
	v_add_nc_u32_e32 v6, 0x180, v6
	v_add_co_u32 v12, s0, v10, v12
	s_wait_alu 0xf1ff
	v_add_co_ci_u32_e64 v13, null, v11, v13, s0
	s_wait_alu 0xfffe
	s_or_b32 s1, vcc_lo, s1
	s_wait_dscnt 0x0
	global_store_b32 v[12:13], v1, off
	s_wait_alu 0xfffe
	s_and_not1_b32 exec_lo, exec_lo, s1
	s_cbranch_execnz .LBB9_148
; %bb.149:
	s_or_b32 exec_lo, exec_lo, s1
	v_cmp_eq_u32_e32 vcc_lo, 0, v0
	s_and_b32 s0, vcc_lo, s12
	s_wait_alu 0xfffe
	s_and_saveexec_b32 s1, s0
	s_cbranch_execz .LBB9_117
.LBB9_150:
	v_add_co_u32 v0, vcc_lo, v4, v2
	s_wait_alu 0xfffd
	v_add_co_ci_u32_e64 v1, null, v5, v3, vcc_lo
	v_mov_b32_e32 v2, 0
	s_wait_kmcnt 0x0
	v_add_co_u32 v0, vcc_lo, v0, s6
	s_wait_alu 0xfffd
	v_add_co_ci_u32_e64 v1, null, s7, v1, vcc_lo
	global_store_b64 v2, v[0:1], s[8:9]
	s_endpgm
	.section	.rodata,"a",@progbits
	.p2align	6, 0x0
	.amdhsa_kernel _ZN7rocprim17ROCPRIM_400000_NS6detail17trampoline_kernelINS0_14default_configENS1_25partition_config_selectorILNS1_17partition_subalgoE6EiNS0_10empty_typeEbEEZZNS1_14partition_implILS5_6ELb0ES3_mN6thrust23THRUST_200600_302600_NS6detail15normal_iteratorINSA_10device_ptrIiEEEEPS6_SG_NS0_5tupleIJSF_S6_EEENSH_IJSG_SG_EEES6_PlJ6is_oddIiEEEE10hipError_tPvRmT3_T4_T5_T6_T7_T9_mT8_P12ihipStream_tbDpT10_ENKUlT_T0_E_clISt17integral_constantIbLb0EES16_EEDaS11_S12_EUlS11_E_NS1_11comp_targetILNS1_3genE10ELNS1_11target_archE1200ELNS1_3gpuE4ELNS1_3repE0EEENS1_30default_config_static_selectorELNS0_4arch9wavefront6targetE0EEEvT1_
		.amdhsa_group_segment_fixed_size 10768
		.amdhsa_private_segment_fixed_size 0
		.amdhsa_kernarg_size 112
		.amdhsa_user_sgpr_count 2
		.amdhsa_user_sgpr_dispatch_ptr 0
		.amdhsa_user_sgpr_queue_ptr 0
		.amdhsa_user_sgpr_kernarg_segment_ptr 1
		.amdhsa_user_sgpr_dispatch_id 0
		.amdhsa_user_sgpr_private_segment_size 0
		.amdhsa_wavefront_size32 1
		.amdhsa_uses_dynamic_stack 0
		.amdhsa_enable_private_segment 0
		.amdhsa_system_sgpr_workgroup_id_x 1
		.amdhsa_system_sgpr_workgroup_id_y 0
		.amdhsa_system_sgpr_workgroup_id_z 0
		.amdhsa_system_sgpr_workgroup_info 0
		.amdhsa_system_vgpr_workitem_id 0
		.amdhsa_next_free_vgpr 50
		.amdhsa_next_free_sgpr 19
		.amdhsa_reserve_vcc 1
		.amdhsa_float_round_mode_32 0
		.amdhsa_float_round_mode_16_64 0
		.amdhsa_float_denorm_mode_32 3
		.amdhsa_float_denorm_mode_16_64 3
		.amdhsa_fp16_overflow 0
		.amdhsa_workgroup_processor_mode 1
		.amdhsa_memory_ordered 1
		.amdhsa_forward_progress 1
		.amdhsa_inst_pref_size 58
		.amdhsa_round_robin_scheduling 0
		.amdhsa_exception_fp_ieee_invalid_op 0
		.amdhsa_exception_fp_denorm_src 0
		.amdhsa_exception_fp_ieee_div_zero 0
		.amdhsa_exception_fp_ieee_overflow 0
		.amdhsa_exception_fp_ieee_underflow 0
		.amdhsa_exception_fp_ieee_inexact 0
		.amdhsa_exception_int_div_zero 0
	.end_amdhsa_kernel
	.section	.text._ZN7rocprim17ROCPRIM_400000_NS6detail17trampoline_kernelINS0_14default_configENS1_25partition_config_selectorILNS1_17partition_subalgoE6EiNS0_10empty_typeEbEEZZNS1_14partition_implILS5_6ELb0ES3_mN6thrust23THRUST_200600_302600_NS6detail15normal_iteratorINSA_10device_ptrIiEEEEPS6_SG_NS0_5tupleIJSF_S6_EEENSH_IJSG_SG_EEES6_PlJ6is_oddIiEEEE10hipError_tPvRmT3_T4_T5_T6_T7_T9_mT8_P12ihipStream_tbDpT10_ENKUlT_T0_E_clISt17integral_constantIbLb0EES16_EEDaS11_S12_EUlS11_E_NS1_11comp_targetILNS1_3genE10ELNS1_11target_archE1200ELNS1_3gpuE4ELNS1_3repE0EEENS1_30default_config_static_selectorELNS0_4arch9wavefront6targetE0EEEvT1_,"axG",@progbits,_ZN7rocprim17ROCPRIM_400000_NS6detail17trampoline_kernelINS0_14default_configENS1_25partition_config_selectorILNS1_17partition_subalgoE6EiNS0_10empty_typeEbEEZZNS1_14partition_implILS5_6ELb0ES3_mN6thrust23THRUST_200600_302600_NS6detail15normal_iteratorINSA_10device_ptrIiEEEEPS6_SG_NS0_5tupleIJSF_S6_EEENSH_IJSG_SG_EEES6_PlJ6is_oddIiEEEE10hipError_tPvRmT3_T4_T5_T6_T7_T9_mT8_P12ihipStream_tbDpT10_ENKUlT_T0_E_clISt17integral_constantIbLb0EES16_EEDaS11_S12_EUlS11_E_NS1_11comp_targetILNS1_3genE10ELNS1_11target_archE1200ELNS1_3gpuE4ELNS1_3repE0EEENS1_30default_config_static_selectorELNS0_4arch9wavefront6targetE0EEEvT1_,comdat
.Lfunc_end9:
	.size	_ZN7rocprim17ROCPRIM_400000_NS6detail17trampoline_kernelINS0_14default_configENS1_25partition_config_selectorILNS1_17partition_subalgoE6EiNS0_10empty_typeEbEEZZNS1_14partition_implILS5_6ELb0ES3_mN6thrust23THRUST_200600_302600_NS6detail15normal_iteratorINSA_10device_ptrIiEEEEPS6_SG_NS0_5tupleIJSF_S6_EEENSH_IJSG_SG_EEES6_PlJ6is_oddIiEEEE10hipError_tPvRmT3_T4_T5_T6_T7_T9_mT8_P12ihipStream_tbDpT10_ENKUlT_T0_E_clISt17integral_constantIbLb0EES16_EEDaS11_S12_EUlS11_E_NS1_11comp_targetILNS1_3genE10ELNS1_11target_archE1200ELNS1_3gpuE4ELNS1_3repE0EEENS1_30default_config_static_selectorELNS0_4arch9wavefront6targetE0EEEvT1_, .Lfunc_end9-_ZN7rocprim17ROCPRIM_400000_NS6detail17trampoline_kernelINS0_14default_configENS1_25partition_config_selectorILNS1_17partition_subalgoE6EiNS0_10empty_typeEbEEZZNS1_14partition_implILS5_6ELb0ES3_mN6thrust23THRUST_200600_302600_NS6detail15normal_iteratorINSA_10device_ptrIiEEEEPS6_SG_NS0_5tupleIJSF_S6_EEENSH_IJSG_SG_EEES6_PlJ6is_oddIiEEEE10hipError_tPvRmT3_T4_T5_T6_T7_T9_mT8_P12ihipStream_tbDpT10_ENKUlT_T0_E_clISt17integral_constantIbLb0EES16_EEDaS11_S12_EUlS11_E_NS1_11comp_targetILNS1_3genE10ELNS1_11target_archE1200ELNS1_3gpuE4ELNS1_3repE0EEENS1_30default_config_static_selectorELNS0_4arch9wavefront6targetE0EEEvT1_
                                        ; -- End function
	.set _ZN7rocprim17ROCPRIM_400000_NS6detail17trampoline_kernelINS0_14default_configENS1_25partition_config_selectorILNS1_17partition_subalgoE6EiNS0_10empty_typeEbEEZZNS1_14partition_implILS5_6ELb0ES3_mN6thrust23THRUST_200600_302600_NS6detail15normal_iteratorINSA_10device_ptrIiEEEEPS6_SG_NS0_5tupleIJSF_S6_EEENSH_IJSG_SG_EEES6_PlJ6is_oddIiEEEE10hipError_tPvRmT3_T4_T5_T6_T7_T9_mT8_P12ihipStream_tbDpT10_ENKUlT_T0_E_clISt17integral_constantIbLb0EES16_EEDaS11_S12_EUlS11_E_NS1_11comp_targetILNS1_3genE10ELNS1_11target_archE1200ELNS1_3gpuE4ELNS1_3repE0EEENS1_30default_config_static_selectorELNS0_4arch9wavefront6targetE0EEEvT1_.num_vgpr, 50
	.set _ZN7rocprim17ROCPRIM_400000_NS6detail17trampoline_kernelINS0_14default_configENS1_25partition_config_selectorILNS1_17partition_subalgoE6EiNS0_10empty_typeEbEEZZNS1_14partition_implILS5_6ELb0ES3_mN6thrust23THRUST_200600_302600_NS6detail15normal_iteratorINSA_10device_ptrIiEEEEPS6_SG_NS0_5tupleIJSF_S6_EEENSH_IJSG_SG_EEES6_PlJ6is_oddIiEEEE10hipError_tPvRmT3_T4_T5_T6_T7_T9_mT8_P12ihipStream_tbDpT10_ENKUlT_T0_E_clISt17integral_constantIbLb0EES16_EEDaS11_S12_EUlS11_E_NS1_11comp_targetILNS1_3genE10ELNS1_11target_archE1200ELNS1_3gpuE4ELNS1_3repE0EEENS1_30default_config_static_selectorELNS0_4arch9wavefront6targetE0EEEvT1_.num_agpr, 0
	.set _ZN7rocprim17ROCPRIM_400000_NS6detail17trampoline_kernelINS0_14default_configENS1_25partition_config_selectorILNS1_17partition_subalgoE6EiNS0_10empty_typeEbEEZZNS1_14partition_implILS5_6ELb0ES3_mN6thrust23THRUST_200600_302600_NS6detail15normal_iteratorINSA_10device_ptrIiEEEEPS6_SG_NS0_5tupleIJSF_S6_EEENSH_IJSG_SG_EEES6_PlJ6is_oddIiEEEE10hipError_tPvRmT3_T4_T5_T6_T7_T9_mT8_P12ihipStream_tbDpT10_ENKUlT_T0_E_clISt17integral_constantIbLb0EES16_EEDaS11_S12_EUlS11_E_NS1_11comp_targetILNS1_3genE10ELNS1_11target_archE1200ELNS1_3gpuE4ELNS1_3repE0EEENS1_30default_config_static_selectorELNS0_4arch9wavefront6targetE0EEEvT1_.numbered_sgpr, 19
	.set _ZN7rocprim17ROCPRIM_400000_NS6detail17trampoline_kernelINS0_14default_configENS1_25partition_config_selectorILNS1_17partition_subalgoE6EiNS0_10empty_typeEbEEZZNS1_14partition_implILS5_6ELb0ES3_mN6thrust23THRUST_200600_302600_NS6detail15normal_iteratorINSA_10device_ptrIiEEEEPS6_SG_NS0_5tupleIJSF_S6_EEENSH_IJSG_SG_EEES6_PlJ6is_oddIiEEEE10hipError_tPvRmT3_T4_T5_T6_T7_T9_mT8_P12ihipStream_tbDpT10_ENKUlT_T0_E_clISt17integral_constantIbLb0EES16_EEDaS11_S12_EUlS11_E_NS1_11comp_targetILNS1_3genE10ELNS1_11target_archE1200ELNS1_3gpuE4ELNS1_3repE0EEENS1_30default_config_static_selectorELNS0_4arch9wavefront6targetE0EEEvT1_.num_named_barrier, 0
	.set _ZN7rocprim17ROCPRIM_400000_NS6detail17trampoline_kernelINS0_14default_configENS1_25partition_config_selectorILNS1_17partition_subalgoE6EiNS0_10empty_typeEbEEZZNS1_14partition_implILS5_6ELb0ES3_mN6thrust23THRUST_200600_302600_NS6detail15normal_iteratorINSA_10device_ptrIiEEEEPS6_SG_NS0_5tupleIJSF_S6_EEENSH_IJSG_SG_EEES6_PlJ6is_oddIiEEEE10hipError_tPvRmT3_T4_T5_T6_T7_T9_mT8_P12ihipStream_tbDpT10_ENKUlT_T0_E_clISt17integral_constantIbLb0EES16_EEDaS11_S12_EUlS11_E_NS1_11comp_targetILNS1_3genE10ELNS1_11target_archE1200ELNS1_3gpuE4ELNS1_3repE0EEENS1_30default_config_static_selectorELNS0_4arch9wavefront6targetE0EEEvT1_.private_seg_size, 0
	.set _ZN7rocprim17ROCPRIM_400000_NS6detail17trampoline_kernelINS0_14default_configENS1_25partition_config_selectorILNS1_17partition_subalgoE6EiNS0_10empty_typeEbEEZZNS1_14partition_implILS5_6ELb0ES3_mN6thrust23THRUST_200600_302600_NS6detail15normal_iteratorINSA_10device_ptrIiEEEEPS6_SG_NS0_5tupleIJSF_S6_EEENSH_IJSG_SG_EEES6_PlJ6is_oddIiEEEE10hipError_tPvRmT3_T4_T5_T6_T7_T9_mT8_P12ihipStream_tbDpT10_ENKUlT_T0_E_clISt17integral_constantIbLb0EES16_EEDaS11_S12_EUlS11_E_NS1_11comp_targetILNS1_3genE10ELNS1_11target_archE1200ELNS1_3gpuE4ELNS1_3repE0EEENS1_30default_config_static_selectorELNS0_4arch9wavefront6targetE0EEEvT1_.uses_vcc, 1
	.set _ZN7rocprim17ROCPRIM_400000_NS6detail17trampoline_kernelINS0_14default_configENS1_25partition_config_selectorILNS1_17partition_subalgoE6EiNS0_10empty_typeEbEEZZNS1_14partition_implILS5_6ELb0ES3_mN6thrust23THRUST_200600_302600_NS6detail15normal_iteratorINSA_10device_ptrIiEEEEPS6_SG_NS0_5tupleIJSF_S6_EEENSH_IJSG_SG_EEES6_PlJ6is_oddIiEEEE10hipError_tPvRmT3_T4_T5_T6_T7_T9_mT8_P12ihipStream_tbDpT10_ENKUlT_T0_E_clISt17integral_constantIbLb0EES16_EEDaS11_S12_EUlS11_E_NS1_11comp_targetILNS1_3genE10ELNS1_11target_archE1200ELNS1_3gpuE4ELNS1_3repE0EEENS1_30default_config_static_selectorELNS0_4arch9wavefront6targetE0EEEvT1_.uses_flat_scratch, 1
	.set _ZN7rocprim17ROCPRIM_400000_NS6detail17trampoline_kernelINS0_14default_configENS1_25partition_config_selectorILNS1_17partition_subalgoE6EiNS0_10empty_typeEbEEZZNS1_14partition_implILS5_6ELb0ES3_mN6thrust23THRUST_200600_302600_NS6detail15normal_iteratorINSA_10device_ptrIiEEEEPS6_SG_NS0_5tupleIJSF_S6_EEENSH_IJSG_SG_EEES6_PlJ6is_oddIiEEEE10hipError_tPvRmT3_T4_T5_T6_T7_T9_mT8_P12ihipStream_tbDpT10_ENKUlT_T0_E_clISt17integral_constantIbLb0EES16_EEDaS11_S12_EUlS11_E_NS1_11comp_targetILNS1_3genE10ELNS1_11target_archE1200ELNS1_3gpuE4ELNS1_3repE0EEENS1_30default_config_static_selectorELNS0_4arch9wavefront6targetE0EEEvT1_.has_dyn_sized_stack, 0
	.set _ZN7rocprim17ROCPRIM_400000_NS6detail17trampoline_kernelINS0_14default_configENS1_25partition_config_selectorILNS1_17partition_subalgoE6EiNS0_10empty_typeEbEEZZNS1_14partition_implILS5_6ELb0ES3_mN6thrust23THRUST_200600_302600_NS6detail15normal_iteratorINSA_10device_ptrIiEEEEPS6_SG_NS0_5tupleIJSF_S6_EEENSH_IJSG_SG_EEES6_PlJ6is_oddIiEEEE10hipError_tPvRmT3_T4_T5_T6_T7_T9_mT8_P12ihipStream_tbDpT10_ENKUlT_T0_E_clISt17integral_constantIbLb0EES16_EEDaS11_S12_EUlS11_E_NS1_11comp_targetILNS1_3genE10ELNS1_11target_archE1200ELNS1_3gpuE4ELNS1_3repE0EEENS1_30default_config_static_selectorELNS0_4arch9wavefront6targetE0EEEvT1_.has_recursion, 0
	.set _ZN7rocprim17ROCPRIM_400000_NS6detail17trampoline_kernelINS0_14default_configENS1_25partition_config_selectorILNS1_17partition_subalgoE6EiNS0_10empty_typeEbEEZZNS1_14partition_implILS5_6ELb0ES3_mN6thrust23THRUST_200600_302600_NS6detail15normal_iteratorINSA_10device_ptrIiEEEEPS6_SG_NS0_5tupleIJSF_S6_EEENSH_IJSG_SG_EEES6_PlJ6is_oddIiEEEE10hipError_tPvRmT3_T4_T5_T6_T7_T9_mT8_P12ihipStream_tbDpT10_ENKUlT_T0_E_clISt17integral_constantIbLb0EES16_EEDaS11_S12_EUlS11_E_NS1_11comp_targetILNS1_3genE10ELNS1_11target_archE1200ELNS1_3gpuE4ELNS1_3repE0EEENS1_30default_config_static_selectorELNS0_4arch9wavefront6targetE0EEEvT1_.has_indirect_call, 0
	.section	.AMDGPU.csdata,"",@progbits
; Kernel info:
; codeLenInByte = 7380
; TotalNumSgprs: 21
; NumVgprs: 50
; ScratchSize: 0
; MemoryBound: 0
; FloatMode: 240
; IeeeMode: 1
; LDSByteSize: 10768 bytes/workgroup (compile time only)
; SGPRBlocks: 0
; VGPRBlocks: 6
; NumSGPRsForWavesPerEU: 21
; NumVGPRsForWavesPerEU: 50
; Occupancy: 15
; WaveLimiterHint : 1
; COMPUTE_PGM_RSRC2:SCRATCH_EN: 0
; COMPUTE_PGM_RSRC2:USER_SGPR: 2
; COMPUTE_PGM_RSRC2:TRAP_HANDLER: 0
; COMPUTE_PGM_RSRC2:TGID_X_EN: 1
; COMPUTE_PGM_RSRC2:TGID_Y_EN: 0
; COMPUTE_PGM_RSRC2:TGID_Z_EN: 0
; COMPUTE_PGM_RSRC2:TIDIG_COMP_CNT: 0
	.section	.text._ZN7rocprim17ROCPRIM_400000_NS6detail17trampoline_kernelINS0_14default_configENS1_25partition_config_selectorILNS1_17partition_subalgoE6EiNS0_10empty_typeEbEEZZNS1_14partition_implILS5_6ELb0ES3_mN6thrust23THRUST_200600_302600_NS6detail15normal_iteratorINSA_10device_ptrIiEEEEPS6_SG_NS0_5tupleIJSF_S6_EEENSH_IJSG_SG_EEES6_PlJ6is_oddIiEEEE10hipError_tPvRmT3_T4_T5_T6_T7_T9_mT8_P12ihipStream_tbDpT10_ENKUlT_T0_E_clISt17integral_constantIbLb0EES16_EEDaS11_S12_EUlS11_E_NS1_11comp_targetILNS1_3genE9ELNS1_11target_archE1100ELNS1_3gpuE3ELNS1_3repE0EEENS1_30default_config_static_selectorELNS0_4arch9wavefront6targetE0EEEvT1_,"axG",@progbits,_ZN7rocprim17ROCPRIM_400000_NS6detail17trampoline_kernelINS0_14default_configENS1_25partition_config_selectorILNS1_17partition_subalgoE6EiNS0_10empty_typeEbEEZZNS1_14partition_implILS5_6ELb0ES3_mN6thrust23THRUST_200600_302600_NS6detail15normal_iteratorINSA_10device_ptrIiEEEEPS6_SG_NS0_5tupleIJSF_S6_EEENSH_IJSG_SG_EEES6_PlJ6is_oddIiEEEE10hipError_tPvRmT3_T4_T5_T6_T7_T9_mT8_P12ihipStream_tbDpT10_ENKUlT_T0_E_clISt17integral_constantIbLb0EES16_EEDaS11_S12_EUlS11_E_NS1_11comp_targetILNS1_3genE9ELNS1_11target_archE1100ELNS1_3gpuE3ELNS1_3repE0EEENS1_30default_config_static_selectorELNS0_4arch9wavefront6targetE0EEEvT1_,comdat
	.protected	_ZN7rocprim17ROCPRIM_400000_NS6detail17trampoline_kernelINS0_14default_configENS1_25partition_config_selectorILNS1_17partition_subalgoE6EiNS0_10empty_typeEbEEZZNS1_14partition_implILS5_6ELb0ES3_mN6thrust23THRUST_200600_302600_NS6detail15normal_iteratorINSA_10device_ptrIiEEEEPS6_SG_NS0_5tupleIJSF_S6_EEENSH_IJSG_SG_EEES6_PlJ6is_oddIiEEEE10hipError_tPvRmT3_T4_T5_T6_T7_T9_mT8_P12ihipStream_tbDpT10_ENKUlT_T0_E_clISt17integral_constantIbLb0EES16_EEDaS11_S12_EUlS11_E_NS1_11comp_targetILNS1_3genE9ELNS1_11target_archE1100ELNS1_3gpuE3ELNS1_3repE0EEENS1_30default_config_static_selectorELNS0_4arch9wavefront6targetE0EEEvT1_ ; -- Begin function _ZN7rocprim17ROCPRIM_400000_NS6detail17trampoline_kernelINS0_14default_configENS1_25partition_config_selectorILNS1_17partition_subalgoE6EiNS0_10empty_typeEbEEZZNS1_14partition_implILS5_6ELb0ES3_mN6thrust23THRUST_200600_302600_NS6detail15normal_iteratorINSA_10device_ptrIiEEEEPS6_SG_NS0_5tupleIJSF_S6_EEENSH_IJSG_SG_EEES6_PlJ6is_oddIiEEEE10hipError_tPvRmT3_T4_T5_T6_T7_T9_mT8_P12ihipStream_tbDpT10_ENKUlT_T0_E_clISt17integral_constantIbLb0EES16_EEDaS11_S12_EUlS11_E_NS1_11comp_targetILNS1_3genE9ELNS1_11target_archE1100ELNS1_3gpuE3ELNS1_3repE0EEENS1_30default_config_static_selectorELNS0_4arch9wavefront6targetE0EEEvT1_
	.globl	_ZN7rocprim17ROCPRIM_400000_NS6detail17trampoline_kernelINS0_14default_configENS1_25partition_config_selectorILNS1_17partition_subalgoE6EiNS0_10empty_typeEbEEZZNS1_14partition_implILS5_6ELb0ES3_mN6thrust23THRUST_200600_302600_NS6detail15normal_iteratorINSA_10device_ptrIiEEEEPS6_SG_NS0_5tupleIJSF_S6_EEENSH_IJSG_SG_EEES6_PlJ6is_oddIiEEEE10hipError_tPvRmT3_T4_T5_T6_T7_T9_mT8_P12ihipStream_tbDpT10_ENKUlT_T0_E_clISt17integral_constantIbLb0EES16_EEDaS11_S12_EUlS11_E_NS1_11comp_targetILNS1_3genE9ELNS1_11target_archE1100ELNS1_3gpuE3ELNS1_3repE0EEENS1_30default_config_static_selectorELNS0_4arch9wavefront6targetE0EEEvT1_
	.p2align	8
	.type	_ZN7rocprim17ROCPRIM_400000_NS6detail17trampoline_kernelINS0_14default_configENS1_25partition_config_selectorILNS1_17partition_subalgoE6EiNS0_10empty_typeEbEEZZNS1_14partition_implILS5_6ELb0ES3_mN6thrust23THRUST_200600_302600_NS6detail15normal_iteratorINSA_10device_ptrIiEEEEPS6_SG_NS0_5tupleIJSF_S6_EEENSH_IJSG_SG_EEES6_PlJ6is_oddIiEEEE10hipError_tPvRmT3_T4_T5_T6_T7_T9_mT8_P12ihipStream_tbDpT10_ENKUlT_T0_E_clISt17integral_constantIbLb0EES16_EEDaS11_S12_EUlS11_E_NS1_11comp_targetILNS1_3genE9ELNS1_11target_archE1100ELNS1_3gpuE3ELNS1_3repE0EEENS1_30default_config_static_selectorELNS0_4arch9wavefront6targetE0EEEvT1_,@function
_ZN7rocprim17ROCPRIM_400000_NS6detail17trampoline_kernelINS0_14default_configENS1_25partition_config_selectorILNS1_17partition_subalgoE6EiNS0_10empty_typeEbEEZZNS1_14partition_implILS5_6ELb0ES3_mN6thrust23THRUST_200600_302600_NS6detail15normal_iteratorINSA_10device_ptrIiEEEEPS6_SG_NS0_5tupleIJSF_S6_EEENSH_IJSG_SG_EEES6_PlJ6is_oddIiEEEE10hipError_tPvRmT3_T4_T5_T6_T7_T9_mT8_P12ihipStream_tbDpT10_ENKUlT_T0_E_clISt17integral_constantIbLb0EES16_EEDaS11_S12_EUlS11_E_NS1_11comp_targetILNS1_3genE9ELNS1_11target_archE1100ELNS1_3gpuE3ELNS1_3repE0EEENS1_30default_config_static_selectorELNS0_4arch9wavefront6targetE0EEEvT1_: ; @_ZN7rocprim17ROCPRIM_400000_NS6detail17trampoline_kernelINS0_14default_configENS1_25partition_config_selectorILNS1_17partition_subalgoE6EiNS0_10empty_typeEbEEZZNS1_14partition_implILS5_6ELb0ES3_mN6thrust23THRUST_200600_302600_NS6detail15normal_iteratorINSA_10device_ptrIiEEEEPS6_SG_NS0_5tupleIJSF_S6_EEENSH_IJSG_SG_EEES6_PlJ6is_oddIiEEEE10hipError_tPvRmT3_T4_T5_T6_T7_T9_mT8_P12ihipStream_tbDpT10_ENKUlT_T0_E_clISt17integral_constantIbLb0EES16_EEDaS11_S12_EUlS11_E_NS1_11comp_targetILNS1_3genE9ELNS1_11target_archE1100ELNS1_3gpuE3ELNS1_3repE0EEENS1_30default_config_static_selectorELNS0_4arch9wavefront6targetE0EEEvT1_
; %bb.0:
	.section	.rodata,"a",@progbits
	.p2align	6, 0x0
	.amdhsa_kernel _ZN7rocprim17ROCPRIM_400000_NS6detail17trampoline_kernelINS0_14default_configENS1_25partition_config_selectorILNS1_17partition_subalgoE6EiNS0_10empty_typeEbEEZZNS1_14partition_implILS5_6ELb0ES3_mN6thrust23THRUST_200600_302600_NS6detail15normal_iteratorINSA_10device_ptrIiEEEEPS6_SG_NS0_5tupleIJSF_S6_EEENSH_IJSG_SG_EEES6_PlJ6is_oddIiEEEE10hipError_tPvRmT3_T4_T5_T6_T7_T9_mT8_P12ihipStream_tbDpT10_ENKUlT_T0_E_clISt17integral_constantIbLb0EES16_EEDaS11_S12_EUlS11_E_NS1_11comp_targetILNS1_3genE9ELNS1_11target_archE1100ELNS1_3gpuE3ELNS1_3repE0EEENS1_30default_config_static_selectorELNS0_4arch9wavefront6targetE0EEEvT1_
		.amdhsa_group_segment_fixed_size 0
		.amdhsa_private_segment_fixed_size 0
		.amdhsa_kernarg_size 112
		.amdhsa_user_sgpr_count 2
		.amdhsa_user_sgpr_dispatch_ptr 0
		.amdhsa_user_sgpr_queue_ptr 0
		.amdhsa_user_sgpr_kernarg_segment_ptr 1
		.amdhsa_user_sgpr_dispatch_id 0
		.amdhsa_user_sgpr_private_segment_size 0
		.amdhsa_wavefront_size32 1
		.amdhsa_uses_dynamic_stack 0
		.amdhsa_enable_private_segment 0
		.amdhsa_system_sgpr_workgroup_id_x 1
		.amdhsa_system_sgpr_workgroup_id_y 0
		.amdhsa_system_sgpr_workgroup_id_z 0
		.amdhsa_system_sgpr_workgroup_info 0
		.amdhsa_system_vgpr_workitem_id 0
		.amdhsa_next_free_vgpr 1
		.amdhsa_next_free_sgpr 1
		.amdhsa_reserve_vcc 0
		.amdhsa_float_round_mode_32 0
		.amdhsa_float_round_mode_16_64 0
		.amdhsa_float_denorm_mode_32 3
		.amdhsa_float_denorm_mode_16_64 3
		.amdhsa_fp16_overflow 0
		.amdhsa_workgroup_processor_mode 1
		.amdhsa_memory_ordered 1
		.amdhsa_forward_progress 1
		.amdhsa_inst_pref_size 0
		.amdhsa_round_robin_scheduling 0
		.amdhsa_exception_fp_ieee_invalid_op 0
		.amdhsa_exception_fp_denorm_src 0
		.amdhsa_exception_fp_ieee_div_zero 0
		.amdhsa_exception_fp_ieee_overflow 0
		.amdhsa_exception_fp_ieee_underflow 0
		.amdhsa_exception_fp_ieee_inexact 0
		.amdhsa_exception_int_div_zero 0
	.end_amdhsa_kernel
	.section	.text._ZN7rocprim17ROCPRIM_400000_NS6detail17trampoline_kernelINS0_14default_configENS1_25partition_config_selectorILNS1_17partition_subalgoE6EiNS0_10empty_typeEbEEZZNS1_14partition_implILS5_6ELb0ES3_mN6thrust23THRUST_200600_302600_NS6detail15normal_iteratorINSA_10device_ptrIiEEEEPS6_SG_NS0_5tupleIJSF_S6_EEENSH_IJSG_SG_EEES6_PlJ6is_oddIiEEEE10hipError_tPvRmT3_T4_T5_T6_T7_T9_mT8_P12ihipStream_tbDpT10_ENKUlT_T0_E_clISt17integral_constantIbLb0EES16_EEDaS11_S12_EUlS11_E_NS1_11comp_targetILNS1_3genE9ELNS1_11target_archE1100ELNS1_3gpuE3ELNS1_3repE0EEENS1_30default_config_static_selectorELNS0_4arch9wavefront6targetE0EEEvT1_,"axG",@progbits,_ZN7rocprim17ROCPRIM_400000_NS6detail17trampoline_kernelINS0_14default_configENS1_25partition_config_selectorILNS1_17partition_subalgoE6EiNS0_10empty_typeEbEEZZNS1_14partition_implILS5_6ELb0ES3_mN6thrust23THRUST_200600_302600_NS6detail15normal_iteratorINSA_10device_ptrIiEEEEPS6_SG_NS0_5tupleIJSF_S6_EEENSH_IJSG_SG_EEES6_PlJ6is_oddIiEEEE10hipError_tPvRmT3_T4_T5_T6_T7_T9_mT8_P12ihipStream_tbDpT10_ENKUlT_T0_E_clISt17integral_constantIbLb0EES16_EEDaS11_S12_EUlS11_E_NS1_11comp_targetILNS1_3genE9ELNS1_11target_archE1100ELNS1_3gpuE3ELNS1_3repE0EEENS1_30default_config_static_selectorELNS0_4arch9wavefront6targetE0EEEvT1_,comdat
.Lfunc_end10:
	.size	_ZN7rocprim17ROCPRIM_400000_NS6detail17trampoline_kernelINS0_14default_configENS1_25partition_config_selectorILNS1_17partition_subalgoE6EiNS0_10empty_typeEbEEZZNS1_14partition_implILS5_6ELb0ES3_mN6thrust23THRUST_200600_302600_NS6detail15normal_iteratorINSA_10device_ptrIiEEEEPS6_SG_NS0_5tupleIJSF_S6_EEENSH_IJSG_SG_EEES6_PlJ6is_oddIiEEEE10hipError_tPvRmT3_T4_T5_T6_T7_T9_mT8_P12ihipStream_tbDpT10_ENKUlT_T0_E_clISt17integral_constantIbLb0EES16_EEDaS11_S12_EUlS11_E_NS1_11comp_targetILNS1_3genE9ELNS1_11target_archE1100ELNS1_3gpuE3ELNS1_3repE0EEENS1_30default_config_static_selectorELNS0_4arch9wavefront6targetE0EEEvT1_, .Lfunc_end10-_ZN7rocprim17ROCPRIM_400000_NS6detail17trampoline_kernelINS0_14default_configENS1_25partition_config_selectorILNS1_17partition_subalgoE6EiNS0_10empty_typeEbEEZZNS1_14partition_implILS5_6ELb0ES3_mN6thrust23THRUST_200600_302600_NS6detail15normal_iteratorINSA_10device_ptrIiEEEEPS6_SG_NS0_5tupleIJSF_S6_EEENSH_IJSG_SG_EEES6_PlJ6is_oddIiEEEE10hipError_tPvRmT3_T4_T5_T6_T7_T9_mT8_P12ihipStream_tbDpT10_ENKUlT_T0_E_clISt17integral_constantIbLb0EES16_EEDaS11_S12_EUlS11_E_NS1_11comp_targetILNS1_3genE9ELNS1_11target_archE1100ELNS1_3gpuE3ELNS1_3repE0EEENS1_30default_config_static_selectorELNS0_4arch9wavefront6targetE0EEEvT1_
                                        ; -- End function
	.set _ZN7rocprim17ROCPRIM_400000_NS6detail17trampoline_kernelINS0_14default_configENS1_25partition_config_selectorILNS1_17partition_subalgoE6EiNS0_10empty_typeEbEEZZNS1_14partition_implILS5_6ELb0ES3_mN6thrust23THRUST_200600_302600_NS6detail15normal_iteratorINSA_10device_ptrIiEEEEPS6_SG_NS0_5tupleIJSF_S6_EEENSH_IJSG_SG_EEES6_PlJ6is_oddIiEEEE10hipError_tPvRmT3_T4_T5_T6_T7_T9_mT8_P12ihipStream_tbDpT10_ENKUlT_T0_E_clISt17integral_constantIbLb0EES16_EEDaS11_S12_EUlS11_E_NS1_11comp_targetILNS1_3genE9ELNS1_11target_archE1100ELNS1_3gpuE3ELNS1_3repE0EEENS1_30default_config_static_selectorELNS0_4arch9wavefront6targetE0EEEvT1_.num_vgpr, 0
	.set _ZN7rocprim17ROCPRIM_400000_NS6detail17trampoline_kernelINS0_14default_configENS1_25partition_config_selectorILNS1_17partition_subalgoE6EiNS0_10empty_typeEbEEZZNS1_14partition_implILS5_6ELb0ES3_mN6thrust23THRUST_200600_302600_NS6detail15normal_iteratorINSA_10device_ptrIiEEEEPS6_SG_NS0_5tupleIJSF_S6_EEENSH_IJSG_SG_EEES6_PlJ6is_oddIiEEEE10hipError_tPvRmT3_T4_T5_T6_T7_T9_mT8_P12ihipStream_tbDpT10_ENKUlT_T0_E_clISt17integral_constantIbLb0EES16_EEDaS11_S12_EUlS11_E_NS1_11comp_targetILNS1_3genE9ELNS1_11target_archE1100ELNS1_3gpuE3ELNS1_3repE0EEENS1_30default_config_static_selectorELNS0_4arch9wavefront6targetE0EEEvT1_.num_agpr, 0
	.set _ZN7rocprim17ROCPRIM_400000_NS6detail17trampoline_kernelINS0_14default_configENS1_25partition_config_selectorILNS1_17partition_subalgoE6EiNS0_10empty_typeEbEEZZNS1_14partition_implILS5_6ELb0ES3_mN6thrust23THRUST_200600_302600_NS6detail15normal_iteratorINSA_10device_ptrIiEEEEPS6_SG_NS0_5tupleIJSF_S6_EEENSH_IJSG_SG_EEES6_PlJ6is_oddIiEEEE10hipError_tPvRmT3_T4_T5_T6_T7_T9_mT8_P12ihipStream_tbDpT10_ENKUlT_T0_E_clISt17integral_constantIbLb0EES16_EEDaS11_S12_EUlS11_E_NS1_11comp_targetILNS1_3genE9ELNS1_11target_archE1100ELNS1_3gpuE3ELNS1_3repE0EEENS1_30default_config_static_selectorELNS0_4arch9wavefront6targetE0EEEvT1_.numbered_sgpr, 0
	.set _ZN7rocprim17ROCPRIM_400000_NS6detail17trampoline_kernelINS0_14default_configENS1_25partition_config_selectorILNS1_17partition_subalgoE6EiNS0_10empty_typeEbEEZZNS1_14partition_implILS5_6ELb0ES3_mN6thrust23THRUST_200600_302600_NS6detail15normal_iteratorINSA_10device_ptrIiEEEEPS6_SG_NS0_5tupleIJSF_S6_EEENSH_IJSG_SG_EEES6_PlJ6is_oddIiEEEE10hipError_tPvRmT3_T4_T5_T6_T7_T9_mT8_P12ihipStream_tbDpT10_ENKUlT_T0_E_clISt17integral_constantIbLb0EES16_EEDaS11_S12_EUlS11_E_NS1_11comp_targetILNS1_3genE9ELNS1_11target_archE1100ELNS1_3gpuE3ELNS1_3repE0EEENS1_30default_config_static_selectorELNS0_4arch9wavefront6targetE0EEEvT1_.num_named_barrier, 0
	.set _ZN7rocprim17ROCPRIM_400000_NS6detail17trampoline_kernelINS0_14default_configENS1_25partition_config_selectorILNS1_17partition_subalgoE6EiNS0_10empty_typeEbEEZZNS1_14partition_implILS5_6ELb0ES3_mN6thrust23THRUST_200600_302600_NS6detail15normal_iteratorINSA_10device_ptrIiEEEEPS6_SG_NS0_5tupleIJSF_S6_EEENSH_IJSG_SG_EEES6_PlJ6is_oddIiEEEE10hipError_tPvRmT3_T4_T5_T6_T7_T9_mT8_P12ihipStream_tbDpT10_ENKUlT_T0_E_clISt17integral_constantIbLb0EES16_EEDaS11_S12_EUlS11_E_NS1_11comp_targetILNS1_3genE9ELNS1_11target_archE1100ELNS1_3gpuE3ELNS1_3repE0EEENS1_30default_config_static_selectorELNS0_4arch9wavefront6targetE0EEEvT1_.private_seg_size, 0
	.set _ZN7rocprim17ROCPRIM_400000_NS6detail17trampoline_kernelINS0_14default_configENS1_25partition_config_selectorILNS1_17partition_subalgoE6EiNS0_10empty_typeEbEEZZNS1_14partition_implILS5_6ELb0ES3_mN6thrust23THRUST_200600_302600_NS6detail15normal_iteratorINSA_10device_ptrIiEEEEPS6_SG_NS0_5tupleIJSF_S6_EEENSH_IJSG_SG_EEES6_PlJ6is_oddIiEEEE10hipError_tPvRmT3_T4_T5_T6_T7_T9_mT8_P12ihipStream_tbDpT10_ENKUlT_T0_E_clISt17integral_constantIbLb0EES16_EEDaS11_S12_EUlS11_E_NS1_11comp_targetILNS1_3genE9ELNS1_11target_archE1100ELNS1_3gpuE3ELNS1_3repE0EEENS1_30default_config_static_selectorELNS0_4arch9wavefront6targetE0EEEvT1_.uses_vcc, 0
	.set _ZN7rocprim17ROCPRIM_400000_NS6detail17trampoline_kernelINS0_14default_configENS1_25partition_config_selectorILNS1_17partition_subalgoE6EiNS0_10empty_typeEbEEZZNS1_14partition_implILS5_6ELb0ES3_mN6thrust23THRUST_200600_302600_NS6detail15normal_iteratorINSA_10device_ptrIiEEEEPS6_SG_NS0_5tupleIJSF_S6_EEENSH_IJSG_SG_EEES6_PlJ6is_oddIiEEEE10hipError_tPvRmT3_T4_T5_T6_T7_T9_mT8_P12ihipStream_tbDpT10_ENKUlT_T0_E_clISt17integral_constantIbLb0EES16_EEDaS11_S12_EUlS11_E_NS1_11comp_targetILNS1_3genE9ELNS1_11target_archE1100ELNS1_3gpuE3ELNS1_3repE0EEENS1_30default_config_static_selectorELNS0_4arch9wavefront6targetE0EEEvT1_.uses_flat_scratch, 0
	.set _ZN7rocprim17ROCPRIM_400000_NS6detail17trampoline_kernelINS0_14default_configENS1_25partition_config_selectorILNS1_17partition_subalgoE6EiNS0_10empty_typeEbEEZZNS1_14partition_implILS5_6ELb0ES3_mN6thrust23THRUST_200600_302600_NS6detail15normal_iteratorINSA_10device_ptrIiEEEEPS6_SG_NS0_5tupleIJSF_S6_EEENSH_IJSG_SG_EEES6_PlJ6is_oddIiEEEE10hipError_tPvRmT3_T4_T5_T6_T7_T9_mT8_P12ihipStream_tbDpT10_ENKUlT_T0_E_clISt17integral_constantIbLb0EES16_EEDaS11_S12_EUlS11_E_NS1_11comp_targetILNS1_3genE9ELNS1_11target_archE1100ELNS1_3gpuE3ELNS1_3repE0EEENS1_30default_config_static_selectorELNS0_4arch9wavefront6targetE0EEEvT1_.has_dyn_sized_stack, 0
	.set _ZN7rocprim17ROCPRIM_400000_NS6detail17trampoline_kernelINS0_14default_configENS1_25partition_config_selectorILNS1_17partition_subalgoE6EiNS0_10empty_typeEbEEZZNS1_14partition_implILS5_6ELb0ES3_mN6thrust23THRUST_200600_302600_NS6detail15normal_iteratorINSA_10device_ptrIiEEEEPS6_SG_NS0_5tupleIJSF_S6_EEENSH_IJSG_SG_EEES6_PlJ6is_oddIiEEEE10hipError_tPvRmT3_T4_T5_T6_T7_T9_mT8_P12ihipStream_tbDpT10_ENKUlT_T0_E_clISt17integral_constantIbLb0EES16_EEDaS11_S12_EUlS11_E_NS1_11comp_targetILNS1_3genE9ELNS1_11target_archE1100ELNS1_3gpuE3ELNS1_3repE0EEENS1_30default_config_static_selectorELNS0_4arch9wavefront6targetE0EEEvT1_.has_recursion, 0
	.set _ZN7rocprim17ROCPRIM_400000_NS6detail17trampoline_kernelINS0_14default_configENS1_25partition_config_selectorILNS1_17partition_subalgoE6EiNS0_10empty_typeEbEEZZNS1_14partition_implILS5_6ELb0ES3_mN6thrust23THRUST_200600_302600_NS6detail15normal_iteratorINSA_10device_ptrIiEEEEPS6_SG_NS0_5tupleIJSF_S6_EEENSH_IJSG_SG_EEES6_PlJ6is_oddIiEEEE10hipError_tPvRmT3_T4_T5_T6_T7_T9_mT8_P12ihipStream_tbDpT10_ENKUlT_T0_E_clISt17integral_constantIbLb0EES16_EEDaS11_S12_EUlS11_E_NS1_11comp_targetILNS1_3genE9ELNS1_11target_archE1100ELNS1_3gpuE3ELNS1_3repE0EEENS1_30default_config_static_selectorELNS0_4arch9wavefront6targetE0EEEvT1_.has_indirect_call, 0
	.section	.AMDGPU.csdata,"",@progbits
; Kernel info:
; codeLenInByte = 0
; TotalNumSgprs: 0
; NumVgprs: 0
; ScratchSize: 0
; MemoryBound: 0
; FloatMode: 240
; IeeeMode: 1
; LDSByteSize: 0 bytes/workgroup (compile time only)
; SGPRBlocks: 0
; VGPRBlocks: 0
; NumSGPRsForWavesPerEU: 1
; NumVGPRsForWavesPerEU: 1
; Occupancy: 16
; WaveLimiterHint : 0
; COMPUTE_PGM_RSRC2:SCRATCH_EN: 0
; COMPUTE_PGM_RSRC2:USER_SGPR: 2
; COMPUTE_PGM_RSRC2:TRAP_HANDLER: 0
; COMPUTE_PGM_RSRC2:TGID_X_EN: 1
; COMPUTE_PGM_RSRC2:TGID_Y_EN: 0
; COMPUTE_PGM_RSRC2:TGID_Z_EN: 0
; COMPUTE_PGM_RSRC2:TIDIG_COMP_CNT: 0
	.section	.text._ZN7rocprim17ROCPRIM_400000_NS6detail17trampoline_kernelINS0_14default_configENS1_25partition_config_selectorILNS1_17partition_subalgoE6EiNS0_10empty_typeEbEEZZNS1_14partition_implILS5_6ELb0ES3_mN6thrust23THRUST_200600_302600_NS6detail15normal_iteratorINSA_10device_ptrIiEEEEPS6_SG_NS0_5tupleIJSF_S6_EEENSH_IJSG_SG_EEES6_PlJ6is_oddIiEEEE10hipError_tPvRmT3_T4_T5_T6_T7_T9_mT8_P12ihipStream_tbDpT10_ENKUlT_T0_E_clISt17integral_constantIbLb0EES16_EEDaS11_S12_EUlS11_E_NS1_11comp_targetILNS1_3genE8ELNS1_11target_archE1030ELNS1_3gpuE2ELNS1_3repE0EEENS1_30default_config_static_selectorELNS0_4arch9wavefront6targetE0EEEvT1_,"axG",@progbits,_ZN7rocprim17ROCPRIM_400000_NS6detail17trampoline_kernelINS0_14default_configENS1_25partition_config_selectorILNS1_17partition_subalgoE6EiNS0_10empty_typeEbEEZZNS1_14partition_implILS5_6ELb0ES3_mN6thrust23THRUST_200600_302600_NS6detail15normal_iteratorINSA_10device_ptrIiEEEEPS6_SG_NS0_5tupleIJSF_S6_EEENSH_IJSG_SG_EEES6_PlJ6is_oddIiEEEE10hipError_tPvRmT3_T4_T5_T6_T7_T9_mT8_P12ihipStream_tbDpT10_ENKUlT_T0_E_clISt17integral_constantIbLb0EES16_EEDaS11_S12_EUlS11_E_NS1_11comp_targetILNS1_3genE8ELNS1_11target_archE1030ELNS1_3gpuE2ELNS1_3repE0EEENS1_30default_config_static_selectorELNS0_4arch9wavefront6targetE0EEEvT1_,comdat
	.protected	_ZN7rocprim17ROCPRIM_400000_NS6detail17trampoline_kernelINS0_14default_configENS1_25partition_config_selectorILNS1_17partition_subalgoE6EiNS0_10empty_typeEbEEZZNS1_14partition_implILS5_6ELb0ES3_mN6thrust23THRUST_200600_302600_NS6detail15normal_iteratorINSA_10device_ptrIiEEEEPS6_SG_NS0_5tupleIJSF_S6_EEENSH_IJSG_SG_EEES6_PlJ6is_oddIiEEEE10hipError_tPvRmT3_T4_T5_T6_T7_T9_mT8_P12ihipStream_tbDpT10_ENKUlT_T0_E_clISt17integral_constantIbLb0EES16_EEDaS11_S12_EUlS11_E_NS1_11comp_targetILNS1_3genE8ELNS1_11target_archE1030ELNS1_3gpuE2ELNS1_3repE0EEENS1_30default_config_static_selectorELNS0_4arch9wavefront6targetE0EEEvT1_ ; -- Begin function _ZN7rocprim17ROCPRIM_400000_NS6detail17trampoline_kernelINS0_14default_configENS1_25partition_config_selectorILNS1_17partition_subalgoE6EiNS0_10empty_typeEbEEZZNS1_14partition_implILS5_6ELb0ES3_mN6thrust23THRUST_200600_302600_NS6detail15normal_iteratorINSA_10device_ptrIiEEEEPS6_SG_NS0_5tupleIJSF_S6_EEENSH_IJSG_SG_EEES6_PlJ6is_oddIiEEEE10hipError_tPvRmT3_T4_T5_T6_T7_T9_mT8_P12ihipStream_tbDpT10_ENKUlT_T0_E_clISt17integral_constantIbLb0EES16_EEDaS11_S12_EUlS11_E_NS1_11comp_targetILNS1_3genE8ELNS1_11target_archE1030ELNS1_3gpuE2ELNS1_3repE0EEENS1_30default_config_static_selectorELNS0_4arch9wavefront6targetE0EEEvT1_
	.globl	_ZN7rocprim17ROCPRIM_400000_NS6detail17trampoline_kernelINS0_14default_configENS1_25partition_config_selectorILNS1_17partition_subalgoE6EiNS0_10empty_typeEbEEZZNS1_14partition_implILS5_6ELb0ES3_mN6thrust23THRUST_200600_302600_NS6detail15normal_iteratorINSA_10device_ptrIiEEEEPS6_SG_NS0_5tupleIJSF_S6_EEENSH_IJSG_SG_EEES6_PlJ6is_oddIiEEEE10hipError_tPvRmT3_T4_T5_T6_T7_T9_mT8_P12ihipStream_tbDpT10_ENKUlT_T0_E_clISt17integral_constantIbLb0EES16_EEDaS11_S12_EUlS11_E_NS1_11comp_targetILNS1_3genE8ELNS1_11target_archE1030ELNS1_3gpuE2ELNS1_3repE0EEENS1_30default_config_static_selectorELNS0_4arch9wavefront6targetE0EEEvT1_
	.p2align	8
	.type	_ZN7rocprim17ROCPRIM_400000_NS6detail17trampoline_kernelINS0_14default_configENS1_25partition_config_selectorILNS1_17partition_subalgoE6EiNS0_10empty_typeEbEEZZNS1_14partition_implILS5_6ELb0ES3_mN6thrust23THRUST_200600_302600_NS6detail15normal_iteratorINSA_10device_ptrIiEEEEPS6_SG_NS0_5tupleIJSF_S6_EEENSH_IJSG_SG_EEES6_PlJ6is_oddIiEEEE10hipError_tPvRmT3_T4_T5_T6_T7_T9_mT8_P12ihipStream_tbDpT10_ENKUlT_T0_E_clISt17integral_constantIbLb0EES16_EEDaS11_S12_EUlS11_E_NS1_11comp_targetILNS1_3genE8ELNS1_11target_archE1030ELNS1_3gpuE2ELNS1_3repE0EEENS1_30default_config_static_selectorELNS0_4arch9wavefront6targetE0EEEvT1_,@function
_ZN7rocprim17ROCPRIM_400000_NS6detail17trampoline_kernelINS0_14default_configENS1_25partition_config_selectorILNS1_17partition_subalgoE6EiNS0_10empty_typeEbEEZZNS1_14partition_implILS5_6ELb0ES3_mN6thrust23THRUST_200600_302600_NS6detail15normal_iteratorINSA_10device_ptrIiEEEEPS6_SG_NS0_5tupleIJSF_S6_EEENSH_IJSG_SG_EEES6_PlJ6is_oddIiEEEE10hipError_tPvRmT3_T4_T5_T6_T7_T9_mT8_P12ihipStream_tbDpT10_ENKUlT_T0_E_clISt17integral_constantIbLb0EES16_EEDaS11_S12_EUlS11_E_NS1_11comp_targetILNS1_3genE8ELNS1_11target_archE1030ELNS1_3gpuE2ELNS1_3repE0EEENS1_30default_config_static_selectorELNS0_4arch9wavefront6targetE0EEEvT1_: ; @_ZN7rocprim17ROCPRIM_400000_NS6detail17trampoline_kernelINS0_14default_configENS1_25partition_config_selectorILNS1_17partition_subalgoE6EiNS0_10empty_typeEbEEZZNS1_14partition_implILS5_6ELb0ES3_mN6thrust23THRUST_200600_302600_NS6detail15normal_iteratorINSA_10device_ptrIiEEEEPS6_SG_NS0_5tupleIJSF_S6_EEENSH_IJSG_SG_EEES6_PlJ6is_oddIiEEEE10hipError_tPvRmT3_T4_T5_T6_T7_T9_mT8_P12ihipStream_tbDpT10_ENKUlT_T0_E_clISt17integral_constantIbLb0EES16_EEDaS11_S12_EUlS11_E_NS1_11comp_targetILNS1_3genE8ELNS1_11target_archE1030ELNS1_3gpuE2ELNS1_3repE0EEENS1_30default_config_static_selectorELNS0_4arch9wavefront6targetE0EEEvT1_
; %bb.0:
	.section	.rodata,"a",@progbits
	.p2align	6, 0x0
	.amdhsa_kernel _ZN7rocprim17ROCPRIM_400000_NS6detail17trampoline_kernelINS0_14default_configENS1_25partition_config_selectorILNS1_17partition_subalgoE6EiNS0_10empty_typeEbEEZZNS1_14partition_implILS5_6ELb0ES3_mN6thrust23THRUST_200600_302600_NS6detail15normal_iteratorINSA_10device_ptrIiEEEEPS6_SG_NS0_5tupleIJSF_S6_EEENSH_IJSG_SG_EEES6_PlJ6is_oddIiEEEE10hipError_tPvRmT3_T4_T5_T6_T7_T9_mT8_P12ihipStream_tbDpT10_ENKUlT_T0_E_clISt17integral_constantIbLb0EES16_EEDaS11_S12_EUlS11_E_NS1_11comp_targetILNS1_3genE8ELNS1_11target_archE1030ELNS1_3gpuE2ELNS1_3repE0EEENS1_30default_config_static_selectorELNS0_4arch9wavefront6targetE0EEEvT1_
		.amdhsa_group_segment_fixed_size 0
		.amdhsa_private_segment_fixed_size 0
		.amdhsa_kernarg_size 112
		.amdhsa_user_sgpr_count 2
		.amdhsa_user_sgpr_dispatch_ptr 0
		.amdhsa_user_sgpr_queue_ptr 0
		.amdhsa_user_sgpr_kernarg_segment_ptr 1
		.amdhsa_user_sgpr_dispatch_id 0
		.amdhsa_user_sgpr_private_segment_size 0
		.amdhsa_wavefront_size32 1
		.amdhsa_uses_dynamic_stack 0
		.amdhsa_enable_private_segment 0
		.amdhsa_system_sgpr_workgroup_id_x 1
		.amdhsa_system_sgpr_workgroup_id_y 0
		.amdhsa_system_sgpr_workgroup_id_z 0
		.amdhsa_system_sgpr_workgroup_info 0
		.amdhsa_system_vgpr_workitem_id 0
		.amdhsa_next_free_vgpr 1
		.amdhsa_next_free_sgpr 1
		.amdhsa_reserve_vcc 0
		.amdhsa_float_round_mode_32 0
		.amdhsa_float_round_mode_16_64 0
		.amdhsa_float_denorm_mode_32 3
		.amdhsa_float_denorm_mode_16_64 3
		.amdhsa_fp16_overflow 0
		.amdhsa_workgroup_processor_mode 1
		.amdhsa_memory_ordered 1
		.amdhsa_forward_progress 1
		.amdhsa_inst_pref_size 0
		.amdhsa_round_robin_scheduling 0
		.amdhsa_exception_fp_ieee_invalid_op 0
		.amdhsa_exception_fp_denorm_src 0
		.amdhsa_exception_fp_ieee_div_zero 0
		.amdhsa_exception_fp_ieee_overflow 0
		.amdhsa_exception_fp_ieee_underflow 0
		.amdhsa_exception_fp_ieee_inexact 0
		.amdhsa_exception_int_div_zero 0
	.end_amdhsa_kernel
	.section	.text._ZN7rocprim17ROCPRIM_400000_NS6detail17trampoline_kernelINS0_14default_configENS1_25partition_config_selectorILNS1_17partition_subalgoE6EiNS0_10empty_typeEbEEZZNS1_14partition_implILS5_6ELb0ES3_mN6thrust23THRUST_200600_302600_NS6detail15normal_iteratorINSA_10device_ptrIiEEEEPS6_SG_NS0_5tupleIJSF_S6_EEENSH_IJSG_SG_EEES6_PlJ6is_oddIiEEEE10hipError_tPvRmT3_T4_T5_T6_T7_T9_mT8_P12ihipStream_tbDpT10_ENKUlT_T0_E_clISt17integral_constantIbLb0EES16_EEDaS11_S12_EUlS11_E_NS1_11comp_targetILNS1_3genE8ELNS1_11target_archE1030ELNS1_3gpuE2ELNS1_3repE0EEENS1_30default_config_static_selectorELNS0_4arch9wavefront6targetE0EEEvT1_,"axG",@progbits,_ZN7rocprim17ROCPRIM_400000_NS6detail17trampoline_kernelINS0_14default_configENS1_25partition_config_selectorILNS1_17partition_subalgoE6EiNS0_10empty_typeEbEEZZNS1_14partition_implILS5_6ELb0ES3_mN6thrust23THRUST_200600_302600_NS6detail15normal_iteratorINSA_10device_ptrIiEEEEPS6_SG_NS0_5tupleIJSF_S6_EEENSH_IJSG_SG_EEES6_PlJ6is_oddIiEEEE10hipError_tPvRmT3_T4_T5_T6_T7_T9_mT8_P12ihipStream_tbDpT10_ENKUlT_T0_E_clISt17integral_constantIbLb0EES16_EEDaS11_S12_EUlS11_E_NS1_11comp_targetILNS1_3genE8ELNS1_11target_archE1030ELNS1_3gpuE2ELNS1_3repE0EEENS1_30default_config_static_selectorELNS0_4arch9wavefront6targetE0EEEvT1_,comdat
.Lfunc_end11:
	.size	_ZN7rocprim17ROCPRIM_400000_NS6detail17trampoline_kernelINS0_14default_configENS1_25partition_config_selectorILNS1_17partition_subalgoE6EiNS0_10empty_typeEbEEZZNS1_14partition_implILS5_6ELb0ES3_mN6thrust23THRUST_200600_302600_NS6detail15normal_iteratorINSA_10device_ptrIiEEEEPS6_SG_NS0_5tupleIJSF_S6_EEENSH_IJSG_SG_EEES6_PlJ6is_oddIiEEEE10hipError_tPvRmT3_T4_T5_T6_T7_T9_mT8_P12ihipStream_tbDpT10_ENKUlT_T0_E_clISt17integral_constantIbLb0EES16_EEDaS11_S12_EUlS11_E_NS1_11comp_targetILNS1_3genE8ELNS1_11target_archE1030ELNS1_3gpuE2ELNS1_3repE0EEENS1_30default_config_static_selectorELNS0_4arch9wavefront6targetE0EEEvT1_, .Lfunc_end11-_ZN7rocprim17ROCPRIM_400000_NS6detail17trampoline_kernelINS0_14default_configENS1_25partition_config_selectorILNS1_17partition_subalgoE6EiNS0_10empty_typeEbEEZZNS1_14partition_implILS5_6ELb0ES3_mN6thrust23THRUST_200600_302600_NS6detail15normal_iteratorINSA_10device_ptrIiEEEEPS6_SG_NS0_5tupleIJSF_S6_EEENSH_IJSG_SG_EEES6_PlJ6is_oddIiEEEE10hipError_tPvRmT3_T4_T5_T6_T7_T9_mT8_P12ihipStream_tbDpT10_ENKUlT_T0_E_clISt17integral_constantIbLb0EES16_EEDaS11_S12_EUlS11_E_NS1_11comp_targetILNS1_3genE8ELNS1_11target_archE1030ELNS1_3gpuE2ELNS1_3repE0EEENS1_30default_config_static_selectorELNS0_4arch9wavefront6targetE0EEEvT1_
                                        ; -- End function
	.set _ZN7rocprim17ROCPRIM_400000_NS6detail17trampoline_kernelINS0_14default_configENS1_25partition_config_selectorILNS1_17partition_subalgoE6EiNS0_10empty_typeEbEEZZNS1_14partition_implILS5_6ELb0ES3_mN6thrust23THRUST_200600_302600_NS6detail15normal_iteratorINSA_10device_ptrIiEEEEPS6_SG_NS0_5tupleIJSF_S6_EEENSH_IJSG_SG_EEES6_PlJ6is_oddIiEEEE10hipError_tPvRmT3_T4_T5_T6_T7_T9_mT8_P12ihipStream_tbDpT10_ENKUlT_T0_E_clISt17integral_constantIbLb0EES16_EEDaS11_S12_EUlS11_E_NS1_11comp_targetILNS1_3genE8ELNS1_11target_archE1030ELNS1_3gpuE2ELNS1_3repE0EEENS1_30default_config_static_selectorELNS0_4arch9wavefront6targetE0EEEvT1_.num_vgpr, 0
	.set _ZN7rocprim17ROCPRIM_400000_NS6detail17trampoline_kernelINS0_14default_configENS1_25partition_config_selectorILNS1_17partition_subalgoE6EiNS0_10empty_typeEbEEZZNS1_14partition_implILS5_6ELb0ES3_mN6thrust23THRUST_200600_302600_NS6detail15normal_iteratorINSA_10device_ptrIiEEEEPS6_SG_NS0_5tupleIJSF_S6_EEENSH_IJSG_SG_EEES6_PlJ6is_oddIiEEEE10hipError_tPvRmT3_T4_T5_T6_T7_T9_mT8_P12ihipStream_tbDpT10_ENKUlT_T0_E_clISt17integral_constantIbLb0EES16_EEDaS11_S12_EUlS11_E_NS1_11comp_targetILNS1_3genE8ELNS1_11target_archE1030ELNS1_3gpuE2ELNS1_3repE0EEENS1_30default_config_static_selectorELNS0_4arch9wavefront6targetE0EEEvT1_.num_agpr, 0
	.set _ZN7rocprim17ROCPRIM_400000_NS6detail17trampoline_kernelINS0_14default_configENS1_25partition_config_selectorILNS1_17partition_subalgoE6EiNS0_10empty_typeEbEEZZNS1_14partition_implILS5_6ELb0ES3_mN6thrust23THRUST_200600_302600_NS6detail15normal_iteratorINSA_10device_ptrIiEEEEPS6_SG_NS0_5tupleIJSF_S6_EEENSH_IJSG_SG_EEES6_PlJ6is_oddIiEEEE10hipError_tPvRmT3_T4_T5_T6_T7_T9_mT8_P12ihipStream_tbDpT10_ENKUlT_T0_E_clISt17integral_constantIbLb0EES16_EEDaS11_S12_EUlS11_E_NS1_11comp_targetILNS1_3genE8ELNS1_11target_archE1030ELNS1_3gpuE2ELNS1_3repE0EEENS1_30default_config_static_selectorELNS0_4arch9wavefront6targetE0EEEvT1_.numbered_sgpr, 0
	.set _ZN7rocprim17ROCPRIM_400000_NS6detail17trampoline_kernelINS0_14default_configENS1_25partition_config_selectorILNS1_17partition_subalgoE6EiNS0_10empty_typeEbEEZZNS1_14partition_implILS5_6ELb0ES3_mN6thrust23THRUST_200600_302600_NS6detail15normal_iteratorINSA_10device_ptrIiEEEEPS6_SG_NS0_5tupleIJSF_S6_EEENSH_IJSG_SG_EEES6_PlJ6is_oddIiEEEE10hipError_tPvRmT3_T4_T5_T6_T7_T9_mT8_P12ihipStream_tbDpT10_ENKUlT_T0_E_clISt17integral_constantIbLb0EES16_EEDaS11_S12_EUlS11_E_NS1_11comp_targetILNS1_3genE8ELNS1_11target_archE1030ELNS1_3gpuE2ELNS1_3repE0EEENS1_30default_config_static_selectorELNS0_4arch9wavefront6targetE0EEEvT1_.num_named_barrier, 0
	.set _ZN7rocprim17ROCPRIM_400000_NS6detail17trampoline_kernelINS0_14default_configENS1_25partition_config_selectorILNS1_17partition_subalgoE6EiNS0_10empty_typeEbEEZZNS1_14partition_implILS5_6ELb0ES3_mN6thrust23THRUST_200600_302600_NS6detail15normal_iteratorINSA_10device_ptrIiEEEEPS6_SG_NS0_5tupleIJSF_S6_EEENSH_IJSG_SG_EEES6_PlJ6is_oddIiEEEE10hipError_tPvRmT3_T4_T5_T6_T7_T9_mT8_P12ihipStream_tbDpT10_ENKUlT_T0_E_clISt17integral_constantIbLb0EES16_EEDaS11_S12_EUlS11_E_NS1_11comp_targetILNS1_3genE8ELNS1_11target_archE1030ELNS1_3gpuE2ELNS1_3repE0EEENS1_30default_config_static_selectorELNS0_4arch9wavefront6targetE0EEEvT1_.private_seg_size, 0
	.set _ZN7rocprim17ROCPRIM_400000_NS6detail17trampoline_kernelINS0_14default_configENS1_25partition_config_selectorILNS1_17partition_subalgoE6EiNS0_10empty_typeEbEEZZNS1_14partition_implILS5_6ELb0ES3_mN6thrust23THRUST_200600_302600_NS6detail15normal_iteratorINSA_10device_ptrIiEEEEPS6_SG_NS0_5tupleIJSF_S6_EEENSH_IJSG_SG_EEES6_PlJ6is_oddIiEEEE10hipError_tPvRmT3_T4_T5_T6_T7_T9_mT8_P12ihipStream_tbDpT10_ENKUlT_T0_E_clISt17integral_constantIbLb0EES16_EEDaS11_S12_EUlS11_E_NS1_11comp_targetILNS1_3genE8ELNS1_11target_archE1030ELNS1_3gpuE2ELNS1_3repE0EEENS1_30default_config_static_selectorELNS0_4arch9wavefront6targetE0EEEvT1_.uses_vcc, 0
	.set _ZN7rocprim17ROCPRIM_400000_NS6detail17trampoline_kernelINS0_14default_configENS1_25partition_config_selectorILNS1_17partition_subalgoE6EiNS0_10empty_typeEbEEZZNS1_14partition_implILS5_6ELb0ES3_mN6thrust23THRUST_200600_302600_NS6detail15normal_iteratorINSA_10device_ptrIiEEEEPS6_SG_NS0_5tupleIJSF_S6_EEENSH_IJSG_SG_EEES6_PlJ6is_oddIiEEEE10hipError_tPvRmT3_T4_T5_T6_T7_T9_mT8_P12ihipStream_tbDpT10_ENKUlT_T0_E_clISt17integral_constantIbLb0EES16_EEDaS11_S12_EUlS11_E_NS1_11comp_targetILNS1_3genE8ELNS1_11target_archE1030ELNS1_3gpuE2ELNS1_3repE0EEENS1_30default_config_static_selectorELNS0_4arch9wavefront6targetE0EEEvT1_.uses_flat_scratch, 0
	.set _ZN7rocprim17ROCPRIM_400000_NS6detail17trampoline_kernelINS0_14default_configENS1_25partition_config_selectorILNS1_17partition_subalgoE6EiNS0_10empty_typeEbEEZZNS1_14partition_implILS5_6ELb0ES3_mN6thrust23THRUST_200600_302600_NS6detail15normal_iteratorINSA_10device_ptrIiEEEEPS6_SG_NS0_5tupleIJSF_S6_EEENSH_IJSG_SG_EEES6_PlJ6is_oddIiEEEE10hipError_tPvRmT3_T4_T5_T6_T7_T9_mT8_P12ihipStream_tbDpT10_ENKUlT_T0_E_clISt17integral_constantIbLb0EES16_EEDaS11_S12_EUlS11_E_NS1_11comp_targetILNS1_3genE8ELNS1_11target_archE1030ELNS1_3gpuE2ELNS1_3repE0EEENS1_30default_config_static_selectorELNS0_4arch9wavefront6targetE0EEEvT1_.has_dyn_sized_stack, 0
	.set _ZN7rocprim17ROCPRIM_400000_NS6detail17trampoline_kernelINS0_14default_configENS1_25partition_config_selectorILNS1_17partition_subalgoE6EiNS0_10empty_typeEbEEZZNS1_14partition_implILS5_6ELb0ES3_mN6thrust23THRUST_200600_302600_NS6detail15normal_iteratorINSA_10device_ptrIiEEEEPS6_SG_NS0_5tupleIJSF_S6_EEENSH_IJSG_SG_EEES6_PlJ6is_oddIiEEEE10hipError_tPvRmT3_T4_T5_T6_T7_T9_mT8_P12ihipStream_tbDpT10_ENKUlT_T0_E_clISt17integral_constantIbLb0EES16_EEDaS11_S12_EUlS11_E_NS1_11comp_targetILNS1_3genE8ELNS1_11target_archE1030ELNS1_3gpuE2ELNS1_3repE0EEENS1_30default_config_static_selectorELNS0_4arch9wavefront6targetE0EEEvT1_.has_recursion, 0
	.set _ZN7rocprim17ROCPRIM_400000_NS6detail17trampoline_kernelINS0_14default_configENS1_25partition_config_selectorILNS1_17partition_subalgoE6EiNS0_10empty_typeEbEEZZNS1_14partition_implILS5_6ELb0ES3_mN6thrust23THRUST_200600_302600_NS6detail15normal_iteratorINSA_10device_ptrIiEEEEPS6_SG_NS0_5tupleIJSF_S6_EEENSH_IJSG_SG_EEES6_PlJ6is_oddIiEEEE10hipError_tPvRmT3_T4_T5_T6_T7_T9_mT8_P12ihipStream_tbDpT10_ENKUlT_T0_E_clISt17integral_constantIbLb0EES16_EEDaS11_S12_EUlS11_E_NS1_11comp_targetILNS1_3genE8ELNS1_11target_archE1030ELNS1_3gpuE2ELNS1_3repE0EEENS1_30default_config_static_selectorELNS0_4arch9wavefront6targetE0EEEvT1_.has_indirect_call, 0
	.section	.AMDGPU.csdata,"",@progbits
; Kernel info:
; codeLenInByte = 0
; TotalNumSgprs: 0
; NumVgprs: 0
; ScratchSize: 0
; MemoryBound: 0
; FloatMode: 240
; IeeeMode: 1
; LDSByteSize: 0 bytes/workgroup (compile time only)
; SGPRBlocks: 0
; VGPRBlocks: 0
; NumSGPRsForWavesPerEU: 1
; NumVGPRsForWavesPerEU: 1
; Occupancy: 16
; WaveLimiterHint : 0
; COMPUTE_PGM_RSRC2:SCRATCH_EN: 0
; COMPUTE_PGM_RSRC2:USER_SGPR: 2
; COMPUTE_PGM_RSRC2:TRAP_HANDLER: 0
; COMPUTE_PGM_RSRC2:TGID_X_EN: 1
; COMPUTE_PGM_RSRC2:TGID_Y_EN: 0
; COMPUTE_PGM_RSRC2:TGID_Z_EN: 0
; COMPUTE_PGM_RSRC2:TIDIG_COMP_CNT: 0
	.section	.text._ZN7rocprim17ROCPRIM_400000_NS6detail17trampoline_kernelINS0_14default_configENS1_25transform_config_selectorImLb1EEEZNS1_14transform_implILb1ES3_S5_PmPlNS0_8identityIvEEEE10hipError_tT2_T3_mT4_P12ihipStream_tbEUlT_E_NS1_11comp_targetILNS1_3genE0ELNS1_11target_archE4294967295ELNS1_3gpuE0ELNS1_3repE0EEENS1_30default_config_static_selectorELNS0_4arch9wavefront6targetE0EEEvT1_,"axG",@progbits,_ZN7rocprim17ROCPRIM_400000_NS6detail17trampoline_kernelINS0_14default_configENS1_25transform_config_selectorImLb1EEEZNS1_14transform_implILb1ES3_S5_PmPlNS0_8identityIvEEEE10hipError_tT2_T3_mT4_P12ihipStream_tbEUlT_E_NS1_11comp_targetILNS1_3genE0ELNS1_11target_archE4294967295ELNS1_3gpuE0ELNS1_3repE0EEENS1_30default_config_static_selectorELNS0_4arch9wavefront6targetE0EEEvT1_,comdat
	.protected	_ZN7rocprim17ROCPRIM_400000_NS6detail17trampoline_kernelINS0_14default_configENS1_25transform_config_selectorImLb1EEEZNS1_14transform_implILb1ES3_S5_PmPlNS0_8identityIvEEEE10hipError_tT2_T3_mT4_P12ihipStream_tbEUlT_E_NS1_11comp_targetILNS1_3genE0ELNS1_11target_archE4294967295ELNS1_3gpuE0ELNS1_3repE0EEENS1_30default_config_static_selectorELNS0_4arch9wavefront6targetE0EEEvT1_ ; -- Begin function _ZN7rocprim17ROCPRIM_400000_NS6detail17trampoline_kernelINS0_14default_configENS1_25transform_config_selectorImLb1EEEZNS1_14transform_implILb1ES3_S5_PmPlNS0_8identityIvEEEE10hipError_tT2_T3_mT4_P12ihipStream_tbEUlT_E_NS1_11comp_targetILNS1_3genE0ELNS1_11target_archE4294967295ELNS1_3gpuE0ELNS1_3repE0EEENS1_30default_config_static_selectorELNS0_4arch9wavefront6targetE0EEEvT1_
	.globl	_ZN7rocprim17ROCPRIM_400000_NS6detail17trampoline_kernelINS0_14default_configENS1_25transform_config_selectorImLb1EEEZNS1_14transform_implILb1ES3_S5_PmPlNS0_8identityIvEEEE10hipError_tT2_T3_mT4_P12ihipStream_tbEUlT_E_NS1_11comp_targetILNS1_3genE0ELNS1_11target_archE4294967295ELNS1_3gpuE0ELNS1_3repE0EEENS1_30default_config_static_selectorELNS0_4arch9wavefront6targetE0EEEvT1_
	.p2align	8
	.type	_ZN7rocprim17ROCPRIM_400000_NS6detail17trampoline_kernelINS0_14default_configENS1_25transform_config_selectorImLb1EEEZNS1_14transform_implILb1ES3_S5_PmPlNS0_8identityIvEEEE10hipError_tT2_T3_mT4_P12ihipStream_tbEUlT_E_NS1_11comp_targetILNS1_3genE0ELNS1_11target_archE4294967295ELNS1_3gpuE0ELNS1_3repE0EEENS1_30default_config_static_selectorELNS0_4arch9wavefront6targetE0EEEvT1_,@function
_ZN7rocprim17ROCPRIM_400000_NS6detail17trampoline_kernelINS0_14default_configENS1_25transform_config_selectorImLb1EEEZNS1_14transform_implILb1ES3_S5_PmPlNS0_8identityIvEEEE10hipError_tT2_T3_mT4_P12ihipStream_tbEUlT_E_NS1_11comp_targetILNS1_3genE0ELNS1_11target_archE4294967295ELNS1_3gpuE0ELNS1_3repE0EEENS1_30default_config_static_selectorELNS0_4arch9wavefront6targetE0EEEvT1_: ; @_ZN7rocprim17ROCPRIM_400000_NS6detail17trampoline_kernelINS0_14default_configENS1_25transform_config_selectorImLb1EEEZNS1_14transform_implILb1ES3_S5_PmPlNS0_8identityIvEEEE10hipError_tT2_T3_mT4_P12ihipStream_tbEUlT_E_NS1_11comp_targetILNS1_3genE0ELNS1_11target_archE4294967295ELNS1_3gpuE0ELNS1_3repE0EEENS1_30default_config_static_selectorELNS0_4arch9wavefront6targetE0EEEvT1_
; %bb.0:
	.section	.rodata,"a",@progbits
	.p2align	6, 0x0
	.amdhsa_kernel _ZN7rocprim17ROCPRIM_400000_NS6detail17trampoline_kernelINS0_14default_configENS1_25transform_config_selectorImLb1EEEZNS1_14transform_implILb1ES3_S5_PmPlNS0_8identityIvEEEE10hipError_tT2_T3_mT4_P12ihipStream_tbEUlT_E_NS1_11comp_targetILNS1_3genE0ELNS1_11target_archE4294967295ELNS1_3gpuE0ELNS1_3repE0EEENS1_30default_config_static_selectorELNS0_4arch9wavefront6targetE0EEEvT1_
		.amdhsa_group_segment_fixed_size 0
		.amdhsa_private_segment_fixed_size 0
		.amdhsa_kernarg_size 40
		.amdhsa_user_sgpr_count 2
		.amdhsa_user_sgpr_dispatch_ptr 0
		.amdhsa_user_sgpr_queue_ptr 0
		.amdhsa_user_sgpr_kernarg_segment_ptr 1
		.amdhsa_user_sgpr_dispatch_id 0
		.amdhsa_user_sgpr_private_segment_size 0
		.amdhsa_wavefront_size32 1
		.amdhsa_uses_dynamic_stack 0
		.amdhsa_enable_private_segment 0
		.amdhsa_system_sgpr_workgroup_id_x 1
		.amdhsa_system_sgpr_workgroup_id_y 0
		.amdhsa_system_sgpr_workgroup_id_z 0
		.amdhsa_system_sgpr_workgroup_info 0
		.amdhsa_system_vgpr_workitem_id 0
		.amdhsa_next_free_vgpr 1
		.amdhsa_next_free_sgpr 1
		.amdhsa_reserve_vcc 0
		.amdhsa_float_round_mode_32 0
		.amdhsa_float_round_mode_16_64 0
		.amdhsa_float_denorm_mode_32 3
		.amdhsa_float_denorm_mode_16_64 3
		.amdhsa_fp16_overflow 0
		.amdhsa_workgroup_processor_mode 1
		.amdhsa_memory_ordered 1
		.amdhsa_forward_progress 1
		.amdhsa_inst_pref_size 0
		.amdhsa_round_robin_scheduling 0
		.amdhsa_exception_fp_ieee_invalid_op 0
		.amdhsa_exception_fp_denorm_src 0
		.amdhsa_exception_fp_ieee_div_zero 0
		.amdhsa_exception_fp_ieee_overflow 0
		.amdhsa_exception_fp_ieee_underflow 0
		.amdhsa_exception_fp_ieee_inexact 0
		.amdhsa_exception_int_div_zero 0
	.end_amdhsa_kernel
	.section	.text._ZN7rocprim17ROCPRIM_400000_NS6detail17trampoline_kernelINS0_14default_configENS1_25transform_config_selectorImLb1EEEZNS1_14transform_implILb1ES3_S5_PmPlNS0_8identityIvEEEE10hipError_tT2_T3_mT4_P12ihipStream_tbEUlT_E_NS1_11comp_targetILNS1_3genE0ELNS1_11target_archE4294967295ELNS1_3gpuE0ELNS1_3repE0EEENS1_30default_config_static_selectorELNS0_4arch9wavefront6targetE0EEEvT1_,"axG",@progbits,_ZN7rocprim17ROCPRIM_400000_NS6detail17trampoline_kernelINS0_14default_configENS1_25transform_config_selectorImLb1EEEZNS1_14transform_implILb1ES3_S5_PmPlNS0_8identityIvEEEE10hipError_tT2_T3_mT4_P12ihipStream_tbEUlT_E_NS1_11comp_targetILNS1_3genE0ELNS1_11target_archE4294967295ELNS1_3gpuE0ELNS1_3repE0EEENS1_30default_config_static_selectorELNS0_4arch9wavefront6targetE0EEEvT1_,comdat
.Lfunc_end12:
	.size	_ZN7rocprim17ROCPRIM_400000_NS6detail17trampoline_kernelINS0_14default_configENS1_25transform_config_selectorImLb1EEEZNS1_14transform_implILb1ES3_S5_PmPlNS0_8identityIvEEEE10hipError_tT2_T3_mT4_P12ihipStream_tbEUlT_E_NS1_11comp_targetILNS1_3genE0ELNS1_11target_archE4294967295ELNS1_3gpuE0ELNS1_3repE0EEENS1_30default_config_static_selectorELNS0_4arch9wavefront6targetE0EEEvT1_, .Lfunc_end12-_ZN7rocprim17ROCPRIM_400000_NS6detail17trampoline_kernelINS0_14default_configENS1_25transform_config_selectorImLb1EEEZNS1_14transform_implILb1ES3_S5_PmPlNS0_8identityIvEEEE10hipError_tT2_T3_mT4_P12ihipStream_tbEUlT_E_NS1_11comp_targetILNS1_3genE0ELNS1_11target_archE4294967295ELNS1_3gpuE0ELNS1_3repE0EEENS1_30default_config_static_selectorELNS0_4arch9wavefront6targetE0EEEvT1_
                                        ; -- End function
	.set _ZN7rocprim17ROCPRIM_400000_NS6detail17trampoline_kernelINS0_14default_configENS1_25transform_config_selectorImLb1EEEZNS1_14transform_implILb1ES3_S5_PmPlNS0_8identityIvEEEE10hipError_tT2_T3_mT4_P12ihipStream_tbEUlT_E_NS1_11comp_targetILNS1_3genE0ELNS1_11target_archE4294967295ELNS1_3gpuE0ELNS1_3repE0EEENS1_30default_config_static_selectorELNS0_4arch9wavefront6targetE0EEEvT1_.num_vgpr, 0
	.set _ZN7rocprim17ROCPRIM_400000_NS6detail17trampoline_kernelINS0_14default_configENS1_25transform_config_selectorImLb1EEEZNS1_14transform_implILb1ES3_S5_PmPlNS0_8identityIvEEEE10hipError_tT2_T3_mT4_P12ihipStream_tbEUlT_E_NS1_11comp_targetILNS1_3genE0ELNS1_11target_archE4294967295ELNS1_3gpuE0ELNS1_3repE0EEENS1_30default_config_static_selectorELNS0_4arch9wavefront6targetE0EEEvT1_.num_agpr, 0
	.set _ZN7rocprim17ROCPRIM_400000_NS6detail17trampoline_kernelINS0_14default_configENS1_25transform_config_selectorImLb1EEEZNS1_14transform_implILb1ES3_S5_PmPlNS0_8identityIvEEEE10hipError_tT2_T3_mT4_P12ihipStream_tbEUlT_E_NS1_11comp_targetILNS1_3genE0ELNS1_11target_archE4294967295ELNS1_3gpuE0ELNS1_3repE0EEENS1_30default_config_static_selectorELNS0_4arch9wavefront6targetE0EEEvT1_.numbered_sgpr, 0
	.set _ZN7rocprim17ROCPRIM_400000_NS6detail17trampoline_kernelINS0_14default_configENS1_25transform_config_selectorImLb1EEEZNS1_14transform_implILb1ES3_S5_PmPlNS0_8identityIvEEEE10hipError_tT2_T3_mT4_P12ihipStream_tbEUlT_E_NS1_11comp_targetILNS1_3genE0ELNS1_11target_archE4294967295ELNS1_3gpuE0ELNS1_3repE0EEENS1_30default_config_static_selectorELNS0_4arch9wavefront6targetE0EEEvT1_.num_named_barrier, 0
	.set _ZN7rocprim17ROCPRIM_400000_NS6detail17trampoline_kernelINS0_14default_configENS1_25transform_config_selectorImLb1EEEZNS1_14transform_implILb1ES3_S5_PmPlNS0_8identityIvEEEE10hipError_tT2_T3_mT4_P12ihipStream_tbEUlT_E_NS1_11comp_targetILNS1_3genE0ELNS1_11target_archE4294967295ELNS1_3gpuE0ELNS1_3repE0EEENS1_30default_config_static_selectorELNS0_4arch9wavefront6targetE0EEEvT1_.private_seg_size, 0
	.set _ZN7rocprim17ROCPRIM_400000_NS6detail17trampoline_kernelINS0_14default_configENS1_25transform_config_selectorImLb1EEEZNS1_14transform_implILb1ES3_S5_PmPlNS0_8identityIvEEEE10hipError_tT2_T3_mT4_P12ihipStream_tbEUlT_E_NS1_11comp_targetILNS1_3genE0ELNS1_11target_archE4294967295ELNS1_3gpuE0ELNS1_3repE0EEENS1_30default_config_static_selectorELNS0_4arch9wavefront6targetE0EEEvT1_.uses_vcc, 0
	.set _ZN7rocprim17ROCPRIM_400000_NS6detail17trampoline_kernelINS0_14default_configENS1_25transform_config_selectorImLb1EEEZNS1_14transform_implILb1ES3_S5_PmPlNS0_8identityIvEEEE10hipError_tT2_T3_mT4_P12ihipStream_tbEUlT_E_NS1_11comp_targetILNS1_3genE0ELNS1_11target_archE4294967295ELNS1_3gpuE0ELNS1_3repE0EEENS1_30default_config_static_selectorELNS0_4arch9wavefront6targetE0EEEvT1_.uses_flat_scratch, 0
	.set _ZN7rocprim17ROCPRIM_400000_NS6detail17trampoline_kernelINS0_14default_configENS1_25transform_config_selectorImLb1EEEZNS1_14transform_implILb1ES3_S5_PmPlNS0_8identityIvEEEE10hipError_tT2_T3_mT4_P12ihipStream_tbEUlT_E_NS1_11comp_targetILNS1_3genE0ELNS1_11target_archE4294967295ELNS1_3gpuE0ELNS1_3repE0EEENS1_30default_config_static_selectorELNS0_4arch9wavefront6targetE0EEEvT1_.has_dyn_sized_stack, 0
	.set _ZN7rocprim17ROCPRIM_400000_NS6detail17trampoline_kernelINS0_14default_configENS1_25transform_config_selectorImLb1EEEZNS1_14transform_implILb1ES3_S5_PmPlNS0_8identityIvEEEE10hipError_tT2_T3_mT4_P12ihipStream_tbEUlT_E_NS1_11comp_targetILNS1_3genE0ELNS1_11target_archE4294967295ELNS1_3gpuE0ELNS1_3repE0EEENS1_30default_config_static_selectorELNS0_4arch9wavefront6targetE0EEEvT1_.has_recursion, 0
	.set _ZN7rocprim17ROCPRIM_400000_NS6detail17trampoline_kernelINS0_14default_configENS1_25transform_config_selectorImLb1EEEZNS1_14transform_implILb1ES3_S5_PmPlNS0_8identityIvEEEE10hipError_tT2_T3_mT4_P12ihipStream_tbEUlT_E_NS1_11comp_targetILNS1_3genE0ELNS1_11target_archE4294967295ELNS1_3gpuE0ELNS1_3repE0EEENS1_30default_config_static_selectorELNS0_4arch9wavefront6targetE0EEEvT1_.has_indirect_call, 0
	.section	.AMDGPU.csdata,"",@progbits
; Kernel info:
; codeLenInByte = 0
; TotalNumSgprs: 0
; NumVgprs: 0
; ScratchSize: 0
; MemoryBound: 0
; FloatMode: 240
; IeeeMode: 1
; LDSByteSize: 0 bytes/workgroup (compile time only)
; SGPRBlocks: 0
; VGPRBlocks: 0
; NumSGPRsForWavesPerEU: 1
; NumVGPRsForWavesPerEU: 1
; Occupancy: 16
; WaveLimiterHint : 0
; COMPUTE_PGM_RSRC2:SCRATCH_EN: 0
; COMPUTE_PGM_RSRC2:USER_SGPR: 2
; COMPUTE_PGM_RSRC2:TRAP_HANDLER: 0
; COMPUTE_PGM_RSRC2:TGID_X_EN: 1
; COMPUTE_PGM_RSRC2:TGID_Y_EN: 0
; COMPUTE_PGM_RSRC2:TGID_Z_EN: 0
; COMPUTE_PGM_RSRC2:TIDIG_COMP_CNT: 0
	.section	.text._ZN7rocprim17ROCPRIM_400000_NS6detail17trampoline_kernelINS0_14default_configENS1_25transform_config_selectorImLb1EEEZNS1_14transform_implILb1ES3_S5_PmPlNS0_8identityIvEEEE10hipError_tT2_T3_mT4_P12ihipStream_tbEUlT_E_NS1_11comp_targetILNS1_3genE10ELNS1_11target_archE1201ELNS1_3gpuE5ELNS1_3repE0EEENS1_30default_config_static_selectorELNS0_4arch9wavefront6targetE0EEEvT1_,"axG",@progbits,_ZN7rocprim17ROCPRIM_400000_NS6detail17trampoline_kernelINS0_14default_configENS1_25transform_config_selectorImLb1EEEZNS1_14transform_implILb1ES3_S5_PmPlNS0_8identityIvEEEE10hipError_tT2_T3_mT4_P12ihipStream_tbEUlT_E_NS1_11comp_targetILNS1_3genE10ELNS1_11target_archE1201ELNS1_3gpuE5ELNS1_3repE0EEENS1_30default_config_static_selectorELNS0_4arch9wavefront6targetE0EEEvT1_,comdat
	.protected	_ZN7rocprim17ROCPRIM_400000_NS6detail17trampoline_kernelINS0_14default_configENS1_25transform_config_selectorImLb1EEEZNS1_14transform_implILb1ES3_S5_PmPlNS0_8identityIvEEEE10hipError_tT2_T3_mT4_P12ihipStream_tbEUlT_E_NS1_11comp_targetILNS1_3genE10ELNS1_11target_archE1201ELNS1_3gpuE5ELNS1_3repE0EEENS1_30default_config_static_selectorELNS0_4arch9wavefront6targetE0EEEvT1_ ; -- Begin function _ZN7rocprim17ROCPRIM_400000_NS6detail17trampoline_kernelINS0_14default_configENS1_25transform_config_selectorImLb1EEEZNS1_14transform_implILb1ES3_S5_PmPlNS0_8identityIvEEEE10hipError_tT2_T3_mT4_P12ihipStream_tbEUlT_E_NS1_11comp_targetILNS1_3genE10ELNS1_11target_archE1201ELNS1_3gpuE5ELNS1_3repE0EEENS1_30default_config_static_selectorELNS0_4arch9wavefront6targetE0EEEvT1_
	.globl	_ZN7rocprim17ROCPRIM_400000_NS6detail17trampoline_kernelINS0_14default_configENS1_25transform_config_selectorImLb1EEEZNS1_14transform_implILb1ES3_S5_PmPlNS0_8identityIvEEEE10hipError_tT2_T3_mT4_P12ihipStream_tbEUlT_E_NS1_11comp_targetILNS1_3genE10ELNS1_11target_archE1201ELNS1_3gpuE5ELNS1_3repE0EEENS1_30default_config_static_selectorELNS0_4arch9wavefront6targetE0EEEvT1_
	.p2align	8
	.type	_ZN7rocprim17ROCPRIM_400000_NS6detail17trampoline_kernelINS0_14default_configENS1_25transform_config_selectorImLb1EEEZNS1_14transform_implILb1ES3_S5_PmPlNS0_8identityIvEEEE10hipError_tT2_T3_mT4_P12ihipStream_tbEUlT_E_NS1_11comp_targetILNS1_3genE10ELNS1_11target_archE1201ELNS1_3gpuE5ELNS1_3repE0EEENS1_30default_config_static_selectorELNS0_4arch9wavefront6targetE0EEEvT1_,@function
_ZN7rocprim17ROCPRIM_400000_NS6detail17trampoline_kernelINS0_14default_configENS1_25transform_config_selectorImLb1EEEZNS1_14transform_implILb1ES3_S5_PmPlNS0_8identityIvEEEE10hipError_tT2_T3_mT4_P12ihipStream_tbEUlT_E_NS1_11comp_targetILNS1_3genE10ELNS1_11target_archE1201ELNS1_3gpuE5ELNS1_3repE0EEENS1_30default_config_static_selectorELNS0_4arch9wavefront6targetE0EEEvT1_: ; @_ZN7rocprim17ROCPRIM_400000_NS6detail17trampoline_kernelINS0_14default_configENS1_25transform_config_selectorImLb1EEEZNS1_14transform_implILb1ES3_S5_PmPlNS0_8identityIvEEEE10hipError_tT2_T3_mT4_P12ihipStream_tbEUlT_E_NS1_11comp_targetILNS1_3genE10ELNS1_11target_archE1201ELNS1_3gpuE5ELNS1_3repE0EEENS1_30default_config_static_selectorELNS0_4arch9wavefront6targetE0EEEvT1_
; %bb.0:
	s_clause 0x1
	s_load_b256 s[4:11], s[0:1], 0x0
	s_load_b32 s12, s[0:1], 0x28
	s_lshl_b32 s0, ttmp9, 11
	s_mov_b32 s1, 0
	s_wait_kmcnt 0x0
	s_mov_b32 s9, -1
	s_lshl_b64 s[2:3], s[6:7], 3
	s_add_co_i32 s12, s12, -1
	s_add_nc_u64 s[6:7], s[4:5], s[2:3]
	s_lshl_b64 s[4:5], s[0:1], 3
	s_add_nc_u64 s[2:3], s[10:11], s[2:3]
	s_cmp_lg_u32 ttmp9, s12
	s_add_nc_u64 s[6:7], s[6:7], s[4:5]
	s_cbranch_scc0 .LBB13_2
; %bb.1:
	v_lshlrev_b32_e32 v5, 4, v0
	s_add_nc_u64 s[10:11], s[2:3], s[4:5]
	s_mov_b32 s9, 0
	global_load_b128 v[1:4], v5, s[6:7] th:TH_LOAD_NT
	s_wait_loadcnt 0x0
	global_store_b128 v5, v[1:4], s[10:11]
.LBB13_2:
	s_and_not1_b32 vcc_lo, exec_lo, s9
	s_cbranch_vccnz .LBB13_11
; %bb.3:
	v_mov_b32_e32 v1, 0
	s_sub_co_i32 s1, s8, s0
	s_delay_alu instid0(SALU_CYCLE_1) | instskip(NEXT) | instid1(VALU_DEP_2)
	v_cmp_gt_u32_e32 vcc_lo, s1, v0
	v_dual_mov_b32 v2, v1 :: v_dual_mov_b32 v3, v1
	v_mov_b32_e32 v4, v1
	s_and_saveexec_b32 s0, vcc_lo
	s_cbranch_execz .LBB13_5
; %bb.4:
	v_dual_mov_b32 v5, v1 :: v_dual_lshlrev_b32 v2, 3, v0
	v_mov_b32_e32 v4, v1
	global_load_b64 v[2:3], v2, s[6:7]
	s_wait_loadcnt 0x0
	v_mov_b32_e32 v1, v2
	v_mov_b32_e32 v2, v3
	;; [unrolled: 1-line block ×4, first 2 shown]
.LBB13_5:
	s_wait_alu 0xfffe
	s_or_b32 exec_lo, exec_lo, s0
	v_or_b32_e32 v5, 0x400, v0
	s_delay_alu instid0(VALU_DEP_1) | instskip(SKIP_2) | instid1(SALU_CYCLE_1)
	v_cmp_gt_u32_e64 s0, s1, v5
	v_cmp_le_u32_e64 s1, s1, v5
	s_and_saveexec_b32 s8, s1
	s_xor_b32 s1, exec_lo, s8
	s_wait_alu 0xfffe
	s_and_not1_saveexec_b32 s1, s1
	s_cbranch_execz .LBB13_7
; %bb.6:
	v_lshlrev_b32_e32 v3, 3, v0
	global_load_b64 v[3:4], v3, s[6:7] offset:8192
.LBB13_7:
	s_wait_alu 0xfffe
	s_or_b32 exec_lo, exec_lo, s1
	v_dual_cndmask_b32 v5, 0, v1 :: v_dual_lshlrev_b32 v0, 3, v0
	s_add_nc_u64 s[2:3], s[2:3], s[4:5]
	v_cndmask_b32_e32 v6, 0, v2, vcc_lo
	s_delay_alu instid0(VALU_DEP_2)
	v_add_co_u32 v0, s1, s2, v0
	s_wait_alu 0xf1ff
	v_add_co_ci_u32_e64 v1, null, s3, 0, s1
	s_and_saveexec_b32 s1, vcc_lo
	s_cbranch_execz .LBB13_9
; %bb.8:
	global_store_b64 v[0:1], v[5:6], off
.LBB13_9:
	s_wait_alu 0xfffe
	s_or_b32 exec_lo, exec_lo, s1
	s_and_saveexec_b32 s1, s0
	s_cbranch_execz .LBB13_11
; %bb.10:
	s_wait_loadcnt 0x0
	v_cndmask_b32_e64 v4, 0, v4, s0
	v_cndmask_b32_e64 v3, 0, v3, s0
	global_store_b64 v[0:1], v[3:4], off offset:8192
.LBB13_11:
	s_endpgm
	.section	.rodata,"a",@progbits
	.p2align	6, 0x0
	.amdhsa_kernel _ZN7rocprim17ROCPRIM_400000_NS6detail17trampoline_kernelINS0_14default_configENS1_25transform_config_selectorImLb1EEEZNS1_14transform_implILb1ES3_S5_PmPlNS0_8identityIvEEEE10hipError_tT2_T3_mT4_P12ihipStream_tbEUlT_E_NS1_11comp_targetILNS1_3genE10ELNS1_11target_archE1201ELNS1_3gpuE5ELNS1_3repE0EEENS1_30default_config_static_selectorELNS0_4arch9wavefront6targetE0EEEvT1_
		.amdhsa_group_segment_fixed_size 0
		.amdhsa_private_segment_fixed_size 0
		.amdhsa_kernarg_size 296
		.amdhsa_user_sgpr_count 2
		.amdhsa_user_sgpr_dispatch_ptr 0
		.amdhsa_user_sgpr_queue_ptr 0
		.amdhsa_user_sgpr_kernarg_segment_ptr 1
		.amdhsa_user_sgpr_dispatch_id 0
		.amdhsa_user_sgpr_private_segment_size 0
		.amdhsa_wavefront_size32 1
		.amdhsa_uses_dynamic_stack 0
		.amdhsa_enable_private_segment 0
		.amdhsa_system_sgpr_workgroup_id_x 1
		.amdhsa_system_sgpr_workgroup_id_y 0
		.amdhsa_system_sgpr_workgroup_id_z 0
		.amdhsa_system_sgpr_workgroup_info 0
		.amdhsa_system_vgpr_workitem_id 0
		.amdhsa_next_free_vgpr 7
		.amdhsa_next_free_sgpr 13
		.amdhsa_reserve_vcc 1
		.amdhsa_float_round_mode_32 0
		.amdhsa_float_round_mode_16_64 0
		.amdhsa_float_denorm_mode_32 3
		.amdhsa_float_denorm_mode_16_64 3
		.amdhsa_fp16_overflow 0
		.amdhsa_workgroup_processor_mode 1
		.amdhsa_memory_ordered 1
		.amdhsa_forward_progress 1
		.amdhsa_inst_pref_size 4
		.amdhsa_round_robin_scheduling 0
		.amdhsa_exception_fp_ieee_invalid_op 0
		.amdhsa_exception_fp_denorm_src 0
		.amdhsa_exception_fp_ieee_div_zero 0
		.amdhsa_exception_fp_ieee_overflow 0
		.amdhsa_exception_fp_ieee_underflow 0
		.amdhsa_exception_fp_ieee_inexact 0
		.amdhsa_exception_int_div_zero 0
	.end_amdhsa_kernel
	.section	.text._ZN7rocprim17ROCPRIM_400000_NS6detail17trampoline_kernelINS0_14default_configENS1_25transform_config_selectorImLb1EEEZNS1_14transform_implILb1ES3_S5_PmPlNS0_8identityIvEEEE10hipError_tT2_T3_mT4_P12ihipStream_tbEUlT_E_NS1_11comp_targetILNS1_3genE10ELNS1_11target_archE1201ELNS1_3gpuE5ELNS1_3repE0EEENS1_30default_config_static_selectorELNS0_4arch9wavefront6targetE0EEEvT1_,"axG",@progbits,_ZN7rocprim17ROCPRIM_400000_NS6detail17trampoline_kernelINS0_14default_configENS1_25transform_config_selectorImLb1EEEZNS1_14transform_implILb1ES3_S5_PmPlNS0_8identityIvEEEE10hipError_tT2_T3_mT4_P12ihipStream_tbEUlT_E_NS1_11comp_targetILNS1_3genE10ELNS1_11target_archE1201ELNS1_3gpuE5ELNS1_3repE0EEENS1_30default_config_static_selectorELNS0_4arch9wavefront6targetE0EEEvT1_,comdat
.Lfunc_end13:
	.size	_ZN7rocprim17ROCPRIM_400000_NS6detail17trampoline_kernelINS0_14default_configENS1_25transform_config_selectorImLb1EEEZNS1_14transform_implILb1ES3_S5_PmPlNS0_8identityIvEEEE10hipError_tT2_T3_mT4_P12ihipStream_tbEUlT_E_NS1_11comp_targetILNS1_3genE10ELNS1_11target_archE1201ELNS1_3gpuE5ELNS1_3repE0EEENS1_30default_config_static_selectorELNS0_4arch9wavefront6targetE0EEEvT1_, .Lfunc_end13-_ZN7rocprim17ROCPRIM_400000_NS6detail17trampoline_kernelINS0_14default_configENS1_25transform_config_selectorImLb1EEEZNS1_14transform_implILb1ES3_S5_PmPlNS0_8identityIvEEEE10hipError_tT2_T3_mT4_P12ihipStream_tbEUlT_E_NS1_11comp_targetILNS1_3genE10ELNS1_11target_archE1201ELNS1_3gpuE5ELNS1_3repE0EEENS1_30default_config_static_selectorELNS0_4arch9wavefront6targetE0EEEvT1_
                                        ; -- End function
	.set _ZN7rocprim17ROCPRIM_400000_NS6detail17trampoline_kernelINS0_14default_configENS1_25transform_config_selectorImLb1EEEZNS1_14transform_implILb1ES3_S5_PmPlNS0_8identityIvEEEE10hipError_tT2_T3_mT4_P12ihipStream_tbEUlT_E_NS1_11comp_targetILNS1_3genE10ELNS1_11target_archE1201ELNS1_3gpuE5ELNS1_3repE0EEENS1_30default_config_static_selectorELNS0_4arch9wavefront6targetE0EEEvT1_.num_vgpr, 7
	.set _ZN7rocprim17ROCPRIM_400000_NS6detail17trampoline_kernelINS0_14default_configENS1_25transform_config_selectorImLb1EEEZNS1_14transform_implILb1ES3_S5_PmPlNS0_8identityIvEEEE10hipError_tT2_T3_mT4_P12ihipStream_tbEUlT_E_NS1_11comp_targetILNS1_3genE10ELNS1_11target_archE1201ELNS1_3gpuE5ELNS1_3repE0EEENS1_30default_config_static_selectorELNS0_4arch9wavefront6targetE0EEEvT1_.num_agpr, 0
	.set _ZN7rocprim17ROCPRIM_400000_NS6detail17trampoline_kernelINS0_14default_configENS1_25transform_config_selectorImLb1EEEZNS1_14transform_implILb1ES3_S5_PmPlNS0_8identityIvEEEE10hipError_tT2_T3_mT4_P12ihipStream_tbEUlT_E_NS1_11comp_targetILNS1_3genE10ELNS1_11target_archE1201ELNS1_3gpuE5ELNS1_3repE0EEENS1_30default_config_static_selectorELNS0_4arch9wavefront6targetE0EEEvT1_.numbered_sgpr, 13
	.set _ZN7rocprim17ROCPRIM_400000_NS6detail17trampoline_kernelINS0_14default_configENS1_25transform_config_selectorImLb1EEEZNS1_14transform_implILb1ES3_S5_PmPlNS0_8identityIvEEEE10hipError_tT2_T3_mT4_P12ihipStream_tbEUlT_E_NS1_11comp_targetILNS1_3genE10ELNS1_11target_archE1201ELNS1_3gpuE5ELNS1_3repE0EEENS1_30default_config_static_selectorELNS0_4arch9wavefront6targetE0EEEvT1_.num_named_barrier, 0
	.set _ZN7rocprim17ROCPRIM_400000_NS6detail17trampoline_kernelINS0_14default_configENS1_25transform_config_selectorImLb1EEEZNS1_14transform_implILb1ES3_S5_PmPlNS0_8identityIvEEEE10hipError_tT2_T3_mT4_P12ihipStream_tbEUlT_E_NS1_11comp_targetILNS1_3genE10ELNS1_11target_archE1201ELNS1_3gpuE5ELNS1_3repE0EEENS1_30default_config_static_selectorELNS0_4arch9wavefront6targetE0EEEvT1_.private_seg_size, 0
	.set _ZN7rocprim17ROCPRIM_400000_NS6detail17trampoline_kernelINS0_14default_configENS1_25transform_config_selectorImLb1EEEZNS1_14transform_implILb1ES3_S5_PmPlNS0_8identityIvEEEE10hipError_tT2_T3_mT4_P12ihipStream_tbEUlT_E_NS1_11comp_targetILNS1_3genE10ELNS1_11target_archE1201ELNS1_3gpuE5ELNS1_3repE0EEENS1_30default_config_static_selectorELNS0_4arch9wavefront6targetE0EEEvT1_.uses_vcc, 1
	.set _ZN7rocprim17ROCPRIM_400000_NS6detail17trampoline_kernelINS0_14default_configENS1_25transform_config_selectorImLb1EEEZNS1_14transform_implILb1ES3_S5_PmPlNS0_8identityIvEEEE10hipError_tT2_T3_mT4_P12ihipStream_tbEUlT_E_NS1_11comp_targetILNS1_3genE10ELNS1_11target_archE1201ELNS1_3gpuE5ELNS1_3repE0EEENS1_30default_config_static_selectorELNS0_4arch9wavefront6targetE0EEEvT1_.uses_flat_scratch, 0
	.set _ZN7rocprim17ROCPRIM_400000_NS6detail17trampoline_kernelINS0_14default_configENS1_25transform_config_selectorImLb1EEEZNS1_14transform_implILb1ES3_S5_PmPlNS0_8identityIvEEEE10hipError_tT2_T3_mT4_P12ihipStream_tbEUlT_E_NS1_11comp_targetILNS1_3genE10ELNS1_11target_archE1201ELNS1_3gpuE5ELNS1_3repE0EEENS1_30default_config_static_selectorELNS0_4arch9wavefront6targetE0EEEvT1_.has_dyn_sized_stack, 0
	.set _ZN7rocprim17ROCPRIM_400000_NS6detail17trampoline_kernelINS0_14default_configENS1_25transform_config_selectorImLb1EEEZNS1_14transform_implILb1ES3_S5_PmPlNS0_8identityIvEEEE10hipError_tT2_T3_mT4_P12ihipStream_tbEUlT_E_NS1_11comp_targetILNS1_3genE10ELNS1_11target_archE1201ELNS1_3gpuE5ELNS1_3repE0EEENS1_30default_config_static_selectorELNS0_4arch9wavefront6targetE0EEEvT1_.has_recursion, 0
	.set _ZN7rocprim17ROCPRIM_400000_NS6detail17trampoline_kernelINS0_14default_configENS1_25transform_config_selectorImLb1EEEZNS1_14transform_implILb1ES3_S5_PmPlNS0_8identityIvEEEE10hipError_tT2_T3_mT4_P12ihipStream_tbEUlT_E_NS1_11comp_targetILNS1_3genE10ELNS1_11target_archE1201ELNS1_3gpuE5ELNS1_3repE0EEENS1_30default_config_static_selectorELNS0_4arch9wavefront6targetE0EEEvT1_.has_indirect_call, 0
	.section	.AMDGPU.csdata,"",@progbits
; Kernel info:
; codeLenInByte = 388
; TotalNumSgprs: 15
; NumVgprs: 7
; ScratchSize: 0
; MemoryBound: 1
; FloatMode: 240
; IeeeMode: 1
; LDSByteSize: 0 bytes/workgroup (compile time only)
; SGPRBlocks: 0
; VGPRBlocks: 0
; NumSGPRsForWavesPerEU: 15
; NumVGPRsForWavesPerEU: 7
; Occupancy: 16
; WaveLimiterHint : 0
; COMPUTE_PGM_RSRC2:SCRATCH_EN: 0
; COMPUTE_PGM_RSRC2:USER_SGPR: 2
; COMPUTE_PGM_RSRC2:TRAP_HANDLER: 0
; COMPUTE_PGM_RSRC2:TGID_X_EN: 1
; COMPUTE_PGM_RSRC2:TGID_Y_EN: 0
; COMPUTE_PGM_RSRC2:TGID_Z_EN: 0
; COMPUTE_PGM_RSRC2:TIDIG_COMP_CNT: 0
	.section	.text._ZN7rocprim17ROCPRIM_400000_NS6detail17trampoline_kernelINS0_14default_configENS1_25transform_config_selectorImLb1EEEZNS1_14transform_implILb1ES3_S5_PmPlNS0_8identityIvEEEE10hipError_tT2_T3_mT4_P12ihipStream_tbEUlT_E_NS1_11comp_targetILNS1_3genE5ELNS1_11target_archE942ELNS1_3gpuE9ELNS1_3repE0EEENS1_30default_config_static_selectorELNS0_4arch9wavefront6targetE0EEEvT1_,"axG",@progbits,_ZN7rocprim17ROCPRIM_400000_NS6detail17trampoline_kernelINS0_14default_configENS1_25transform_config_selectorImLb1EEEZNS1_14transform_implILb1ES3_S5_PmPlNS0_8identityIvEEEE10hipError_tT2_T3_mT4_P12ihipStream_tbEUlT_E_NS1_11comp_targetILNS1_3genE5ELNS1_11target_archE942ELNS1_3gpuE9ELNS1_3repE0EEENS1_30default_config_static_selectorELNS0_4arch9wavefront6targetE0EEEvT1_,comdat
	.protected	_ZN7rocprim17ROCPRIM_400000_NS6detail17trampoline_kernelINS0_14default_configENS1_25transform_config_selectorImLb1EEEZNS1_14transform_implILb1ES3_S5_PmPlNS0_8identityIvEEEE10hipError_tT2_T3_mT4_P12ihipStream_tbEUlT_E_NS1_11comp_targetILNS1_3genE5ELNS1_11target_archE942ELNS1_3gpuE9ELNS1_3repE0EEENS1_30default_config_static_selectorELNS0_4arch9wavefront6targetE0EEEvT1_ ; -- Begin function _ZN7rocprim17ROCPRIM_400000_NS6detail17trampoline_kernelINS0_14default_configENS1_25transform_config_selectorImLb1EEEZNS1_14transform_implILb1ES3_S5_PmPlNS0_8identityIvEEEE10hipError_tT2_T3_mT4_P12ihipStream_tbEUlT_E_NS1_11comp_targetILNS1_3genE5ELNS1_11target_archE942ELNS1_3gpuE9ELNS1_3repE0EEENS1_30default_config_static_selectorELNS0_4arch9wavefront6targetE0EEEvT1_
	.globl	_ZN7rocprim17ROCPRIM_400000_NS6detail17trampoline_kernelINS0_14default_configENS1_25transform_config_selectorImLb1EEEZNS1_14transform_implILb1ES3_S5_PmPlNS0_8identityIvEEEE10hipError_tT2_T3_mT4_P12ihipStream_tbEUlT_E_NS1_11comp_targetILNS1_3genE5ELNS1_11target_archE942ELNS1_3gpuE9ELNS1_3repE0EEENS1_30default_config_static_selectorELNS0_4arch9wavefront6targetE0EEEvT1_
	.p2align	8
	.type	_ZN7rocprim17ROCPRIM_400000_NS6detail17trampoline_kernelINS0_14default_configENS1_25transform_config_selectorImLb1EEEZNS1_14transform_implILb1ES3_S5_PmPlNS0_8identityIvEEEE10hipError_tT2_T3_mT4_P12ihipStream_tbEUlT_E_NS1_11comp_targetILNS1_3genE5ELNS1_11target_archE942ELNS1_3gpuE9ELNS1_3repE0EEENS1_30default_config_static_selectorELNS0_4arch9wavefront6targetE0EEEvT1_,@function
_ZN7rocprim17ROCPRIM_400000_NS6detail17trampoline_kernelINS0_14default_configENS1_25transform_config_selectorImLb1EEEZNS1_14transform_implILb1ES3_S5_PmPlNS0_8identityIvEEEE10hipError_tT2_T3_mT4_P12ihipStream_tbEUlT_E_NS1_11comp_targetILNS1_3genE5ELNS1_11target_archE942ELNS1_3gpuE9ELNS1_3repE0EEENS1_30default_config_static_selectorELNS0_4arch9wavefront6targetE0EEEvT1_: ; @_ZN7rocprim17ROCPRIM_400000_NS6detail17trampoline_kernelINS0_14default_configENS1_25transform_config_selectorImLb1EEEZNS1_14transform_implILb1ES3_S5_PmPlNS0_8identityIvEEEE10hipError_tT2_T3_mT4_P12ihipStream_tbEUlT_E_NS1_11comp_targetILNS1_3genE5ELNS1_11target_archE942ELNS1_3gpuE9ELNS1_3repE0EEENS1_30default_config_static_selectorELNS0_4arch9wavefront6targetE0EEEvT1_
; %bb.0:
	.section	.rodata,"a",@progbits
	.p2align	6, 0x0
	.amdhsa_kernel _ZN7rocprim17ROCPRIM_400000_NS6detail17trampoline_kernelINS0_14default_configENS1_25transform_config_selectorImLb1EEEZNS1_14transform_implILb1ES3_S5_PmPlNS0_8identityIvEEEE10hipError_tT2_T3_mT4_P12ihipStream_tbEUlT_E_NS1_11comp_targetILNS1_3genE5ELNS1_11target_archE942ELNS1_3gpuE9ELNS1_3repE0EEENS1_30default_config_static_selectorELNS0_4arch9wavefront6targetE0EEEvT1_
		.amdhsa_group_segment_fixed_size 0
		.amdhsa_private_segment_fixed_size 0
		.amdhsa_kernarg_size 40
		.amdhsa_user_sgpr_count 2
		.amdhsa_user_sgpr_dispatch_ptr 0
		.amdhsa_user_sgpr_queue_ptr 0
		.amdhsa_user_sgpr_kernarg_segment_ptr 1
		.amdhsa_user_sgpr_dispatch_id 0
		.amdhsa_user_sgpr_private_segment_size 0
		.amdhsa_wavefront_size32 1
		.amdhsa_uses_dynamic_stack 0
		.amdhsa_enable_private_segment 0
		.amdhsa_system_sgpr_workgroup_id_x 1
		.amdhsa_system_sgpr_workgroup_id_y 0
		.amdhsa_system_sgpr_workgroup_id_z 0
		.amdhsa_system_sgpr_workgroup_info 0
		.amdhsa_system_vgpr_workitem_id 0
		.amdhsa_next_free_vgpr 1
		.amdhsa_next_free_sgpr 1
		.amdhsa_reserve_vcc 0
		.amdhsa_float_round_mode_32 0
		.amdhsa_float_round_mode_16_64 0
		.amdhsa_float_denorm_mode_32 3
		.amdhsa_float_denorm_mode_16_64 3
		.amdhsa_fp16_overflow 0
		.amdhsa_workgroup_processor_mode 1
		.amdhsa_memory_ordered 1
		.amdhsa_forward_progress 1
		.amdhsa_inst_pref_size 0
		.amdhsa_round_robin_scheduling 0
		.amdhsa_exception_fp_ieee_invalid_op 0
		.amdhsa_exception_fp_denorm_src 0
		.amdhsa_exception_fp_ieee_div_zero 0
		.amdhsa_exception_fp_ieee_overflow 0
		.amdhsa_exception_fp_ieee_underflow 0
		.amdhsa_exception_fp_ieee_inexact 0
		.amdhsa_exception_int_div_zero 0
	.end_amdhsa_kernel
	.section	.text._ZN7rocprim17ROCPRIM_400000_NS6detail17trampoline_kernelINS0_14default_configENS1_25transform_config_selectorImLb1EEEZNS1_14transform_implILb1ES3_S5_PmPlNS0_8identityIvEEEE10hipError_tT2_T3_mT4_P12ihipStream_tbEUlT_E_NS1_11comp_targetILNS1_3genE5ELNS1_11target_archE942ELNS1_3gpuE9ELNS1_3repE0EEENS1_30default_config_static_selectorELNS0_4arch9wavefront6targetE0EEEvT1_,"axG",@progbits,_ZN7rocprim17ROCPRIM_400000_NS6detail17trampoline_kernelINS0_14default_configENS1_25transform_config_selectorImLb1EEEZNS1_14transform_implILb1ES3_S5_PmPlNS0_8identityIvEEEE10hipError_tT2_T3_mT4_P12ihipStream_tbEUlT_E_NS1_11comp_targetILNS1_3genE5ELNS1_11target_archE942ELNS1_3gpuE9ELNS1_3repE0EEENS1_30default_config_static_selectorELNS0_4arch9wavefront6targetE0EEEvT1_,comdat
.Lfunc_end14:
	.size	_ZN7rocprim17ROCPRIM_400000_NS6detail17trampoline_kernelINS0_14default_configENS1_25transform_config_selectorImLb1EEEZNS1_14transform_implILb1ES3_S5_PmPlNS0_8identityIvEEEE10hipError_tT2_T3_mT4_P12ihipStream_tbEUlT_E_NS1_11comp_targetILNS1_3genE5ELNS1_11target_archE942ELNS1_3gpuE9ELNS1_3repE0EEENS1_30default_config_static_selectorELNS0_4arch9wavefront6targetE0EEEvT1_, .Lfunc_end14-_ZN7rocprim17ROCPRIM_400000_NS6detail17trampoline_kernelINS0_14default_configENS1_25transform_config_selectorImLb1EEEZNS1_14transform_implILb1ES3_S5_PmPlNS0_8identityIvEEEE10hipError_tT2_T3_mT4_P12ihipStream_tbEUlT_E_NS1_11comp_targetILNS1_3genE5ELNS1_11target_archE942ELNS1_3gpuE9ELNS1_3repE0EEENS1_30default_config_static_selectorELNS0_4arch9wavefront6targetE0EEEvT1_
                                        ; -- End function
	.set _ZN7rocprim17ROCPRIM_400000_NS6detail17trampoline_kernelINS0_14default_configENS1_25transform_config_selectorImLb1EEEZNS1_14transform_implILb1ES3_S5_PmPlNS0_8identityIvEEEE10hipError_tT2_T3_mT4_P12ihipStream_tbEUlT_E_NS1_11comp_targetILNS1_3genE5ELNS1_11target_archE942ELNS1_3gpuE9ELNS1_3repE0EEENS1_30default_config_static_selectorELNS0_4arch9wavefront6targetE0EEEvT1_.num_vgpr, 0
	.set _ZN7rocprim17ROCPRIM_400000_NS6detail17trampoline_kernelINS0_14default_configENS1_25transform_config_selectorImLb1EEEZNS1_14transform_implILb1ES3_S5_PmPlNS0_8identityIvEEEE10hipError_tT2_T3_mT4_P12ihipStream_tbEUlT_E_NS1_11comp_targetILNS1_3genE5ELNS1_11target_archE942ELNS1_3gpuE9ELNS1_3repE0EEENS1_30default_config_static_selectorELNS0_4arch9wavefront6targetE0EEEvT1_.num_agpr, 0
	.set _ZN7rocprim17ROCPRIM_400000_NS6detail17trampoline_kernelINS0_14default_configENS1_25transform_config_selectorImLb1EEEZNS1_14transform_implILb1ES3_S5_PmPlNS0_8identityIvEEEE10hipError_tT2_T3_mT4_P12ihipStream_tbEUlT_E_NS1_11comp_targetILNS1_3genE5ELNS1_11target_archE942ELNS1_3gpuE9ELNS1_3repE0EEENS1_30default_config_static_selectorELNS0_4arch9wavefront6targetE0EEEvT1_.numbered_sgpr, 0
	.set _ZN7rocprim17ROCPRIM_400000_NS6detail17trampoline_kernelINS0_14default_configENS1_25transform_config_selectorImLb1EEEZNS1_14transform_implILb1ES3_S5_PmPlNS0_8identityIvEEEE10hipError_tT2_T3_mT4_P12ihipStream_tbEUlT_E_NS1_11comp_targetILNS1_3genE5ELNS1_11target_archE942ELNS1_3gpuE9ELNS1_3repE0EEENS1_30default_config_static_selectorELNS0_4arch9wavefront6targetE0EEEvT1_.num_named_barrier, 0
	.set _ZN7rocprim17ROCPRIM_400000_NS6detail17trampoline_kernelINS0_14default_configENS1_25transform_config_selectorImLb1EEEZNS1_14transform_implILb1ES3_S5_PmPlNS0_8identityIvEEEE10hipError_tT2_T3_mT4_P12ihipStream_tbEUlT_E_NS1_11comp_targetILNS1_3genE5ELNS1_11target_archE942ELNS1_3gpuE9ELNS1_3repE0EEENS1_30default_config_static_selectorELNS0_4arch9wavefront6targetE0EEEvT1_.private_seg_size, 0
	.set _ZN7rocprim17ROCPRIM_400000_NS6detail17trampoline_kernelINS0_14default_configENS1_25transform_config_selectorImLb1EEEZNS1_14transform_implILb1ES3_S5_PmPlNS0_8identityIvEEEE10hipError_tT2_T3_mT4_P12ihipStream_tbEUlT_E_NS1_11comp_targetILNS1_3genE5ELNS1_11target_archE942ELNS1_3gpuE9ELNS1_3repE0EEENS1_30default_config_static_selectorELNS0_4arch9wavefront6targetE0EEEvT1_.uses_vcc, 0
	.set _ZN7rocprim17ROCPRIM_400000_NS6detail17trampoline_kernelINS0_14default_configENS1_25transform_config_selectorImLb1EEEZNS1_14transform_implILb1ES3_S5_PmPlNS0_8identityIvEEEE10hipError_tT2_T3_mT4_P12ihipStream_tbEUlT_E_NS1_11comp_targetILNS1_3genE5ELNS1_11target_archE942ELNS1_3gpuE9ELNS1_3repE0EEENS1_30default_config_static_selectorELNS0_4arch9wavefront6targetE0EEEvT1_.uses_flat_scratch, 0
	.set _ZN7rocprim17ROCPRIM_400000_NS6detail17trampoline_kernelINS0_14default_configENS1_25transform_config_selectorImLb1EEEZNS1_14transform_implILb1ES3_S5_PmPlNS0_8identityIvEEEE10hipError_tT2_T3_mT4_P12ihipStream_tbEUlT_E_NS1_11comp_targetILNS1_3genE5ELNS1_11target_archE942ELNS1_3gpuE9ELNS1_3repE0EEENS1_30default_config_static_selectorELNS0_4arch9wavefront6targetE0EEEvT1_.has_dyn_sized_stack, 0
	.set _ZN7rocprim17ROCPRIM_400000_NS6detail17trampoline_kernelINS0_14default_configENS1_25transform_config_selectorImLb1EEEZNS1_14transform_implILb1ES3_S5_PmPlNS0_8identityIvEEEE10hipError_tT2_T3_mT4_P12ihipStream_tbEUlT_E_NS1_11comp_targetILNS1_3genE5ELNS1_11target_archE942ELNS1_3gpuE9ELNS1_3repE0EEENS1_30default_config_static_selectorELNS0_4arch9wavefront6targetE0EEEvT1_.has_recursion, 0
	.set _ZN7rocprim17ROCPRIM_400000_NS6detail17trampoline_kernelINS0_14default_configENS1_25transform_config_selectorImLb1EEEZNS1_14transform_implILb1ES3_S5_PmPlNS0_8identityIvEEEE10hipError_tT2_T3_mT4_P12ihipStream_tbEUlT_E_NS1_11comp_targetILNS1_3genE5ELNS1_11target_archE942ELNS1_3gpuE9ELNS1_3repE0EEENS1_30default_config_static_selectorELNS0_4arch9wavefront6targetE0EEEvT1_.has_indirect_call, 0
	.section	.AMDGPU.csdata,"",@progbits
; Kernel info:
; codeLenInByte = 0
; TotalNumSgprs: 0
; NumVgprs: 0
; ScratchSize: 0
; MemoryBound: 0
; FloatMode: 240
; IeeeMode: 1
; LDSByteSize: 0 bytes/workgroup (compile time only)
; SGPRBlocks: 0
; VGPRBlocks: 0
; NumSGPRsForWavesPerEU: 1
; NumVGPRsForWavesPerEU: 1
; Occupancy: 16
; WaveLimiterHint : 0
; COMPUTE_PGM_RSRC2:SCRATCH_EN: 0
; COMPUTE_PGM_RSRC2:USER_SGPR: 2
; COMPUTE_PGM_RSRC2:TRAP_HANDLER: 0
; COMPUTE_PGM_RSRC2:TGID_X_EN: 1
; COMPUTE_PGM_RSRC2:TGID_Y_EN: 0
; COMPUTE_PGM_RSRC2:TGID_Z_EN: 0
; COMPUTE_PGM_RSRC2:TIDIG_COMP_CNT: 0
	.section	.text._ZN7rocprim17ROCPRIM_400000_NS6detail17trampoline_kernelINS0_14default_configENS1_25transform_config_selectorImLb1EEEZNS1_14transform_implILb1ES3_S5_PmPlNS0_8identityIvEEEE10hipError_tT2_T3_mT4_P12ihipStream_tbEUlT_E_NS1_11comp_targetILNS1_3genE4ELNS1_11target_archE910ELNS1_3gpuE8ELNS1_3repE0EEENS1_30default_config_static_selectorELNS0_4arch9wavefront6targetE0EEEvT1_,"axG",@progbits,_ZN7rocprim17ROCPRIM_400000_NS6detail17trampoline_kernelINS0_14default_configENS1_25transform_config_selectorImLb1EEEZNS1_14transform_implILb1ES3_S5_PmPlNS0_8identityIvEEEE10hipError_tT2_T3_mT4_P12ihipStream_tbEUlT_E_NS1_11comp_targetILNS1_3genE4ELNS1_11target_archE910ELNS1_3gpuE8ELNS1_3repE0EEENS1_30default_config_static_selectorELNS0_4arch9wavefront6targetE0EEEvT1_,comdat
	.protected	_ZN7rocprim17ROCPRIM_400000_NS6detail17trampoline_kernelINS0_14default_configENS1_25transform_config_selectorImLb1EEEZNS1_14transform_implILb1ES3_S5_PmPlNS0_8identityIvEEEE10hipError_tT2_T3_mT4_P12ihipStream_tbEUlT_E_NS1_11comp_targetILNS1_3genE4ELNS1_11target_archE910ELNS1_3gpuE8ELNS1_3repE0EEENS1_30default_config_static_selectorELNS0_4arch9wavefront6targetE0EEEvT1_ ; -- Begin function _ZN7rocprim17ROCPRIM_400000_NS6detail17trampoline_kernelINS0_14default_configENS1_25transform_config_selectorImLb1EEEZNS1_14transform_implILb1ES3_S5_PmPlNS0_8identityIvEEEE10hipError_tT2_T3_mT4_P12ihipStream_tbEUlT_E_NS1_11comp_targetILNS1_3genE4ELNS1_11target_archE910ELNS1_3gpuE8ELNS1_3repE0EEENS1_30default_config_static_selectorELNS0_4arch9wavefront6targetE0EEEvT1_
	.globl	_ZN7rocprim17ROCPRIM_400000_NS6detail17trampoline_kernelINS0_14default_configENS1_25transform_config_selectorImLb1EEEZNS1_14transform_implILb1ES3_S5_PmPlNS0_8identityIvEEEE10hipError_tT2_T3_mT4_P12ihipStream_tbEUlT_E_NS1_11comp_targetILNS1_3genE4ELNS1_11target_archE910ELNS1_3gpuE8ELNS1_3repE0EEENS1_30default_config_static_selectorELNS0_4arch9wavefront6targetE0EEEvT1_
	.p2align	8
	.type	_ZN7rocprim17ROCPRIM_400000_NS6detail17trampoline_kernelINS0_14default_configENS1_25transform_config_selectorImLb1EEEZNS1_14transform_implILb1ES3_S5_PmPlNS0_8identityIvEEEE10hipError_tT2_T3_mT4_P12ihipStream_tbEUlT_E_NS1_11comp_targetILNS1_3genE4ELNS1_11target_archE910ELNS1_3gpuE8ELNS1_3repE0EEENS1_30default_config_static_selectorELNS0_4arch9wavefront6targetE0EEEvT1_,@function
_ZN7rocprim17ROCPRIM_400000_NS6detail17trampoline_kernelINS0_14default_configENS1_25transform_config_selectorImLb1EEEZNS1_14transform_implILb1ES3_S5_PmPlNS0_8identityIvEEEE10hipError_tT2_T3_mT4_P12ihipStream_tbEUlT_E_NS1_11comp_targetILNS1_3genE4ELNS1_11target_archE910ELNS1_3gpuE8ELNS1_3repE0EEENS1_30default_config_static_selectorELNS0_4arch9wavefront6targetE0EEEvT1_: ; @_ZN7rocprim17ROCPRIM_400000_NS6detail17trampoline_kernelINS0_14default_configENS1_25transform_config_selectorImLb1EEEZNS1_14transform_implILb1ES3_S5_PmPlNS0_8identityIvEEEE10hipError_tT2_T3_mT4_P12ihipStream_tbEUlT_E_NS1_11comp_targetILNS1_3genE4ELNS1_11target_archE910ELNS1_3gpuE8ELNS1_3repE0EEENS1_30default_config_static_selectorELNS0_4arch9wavefront6targetE0EEEvT1_
; %bb.0:
	.section	.rodata,"a",@progbits
	.p2align	6, 0x0
	.amdhsa_kernel _ZN7rocprim17ROCPRIM_400000_NS6detail17trampoline_kernelINS0_14default_configENS1_25transform_config_selectorImLb1EEEZNS1_14transform_implILb1ES3_S5_PmPlNS0_8identityIvEEEE10hipError_tT2_T3_mT4_P12ihipStream_tbEUlT_E_NS1_11comp_targetILNS1_3genE4ELNS1_11target_archE910ELNS1_3gpuE8ELNS1_3repE0EEENS1_30default_config_static_selectorELNS0_4arch9wavefront6targetE0EEEvT1_
		.amdhsa_group_segment_fixed_size 0
		.amdhsa_private_segment_fixed_size 0
		.amdhsa_kernarg_size 40
		.amdhsa_user_sgpr_count 2
		.amdhsa_user_sgpr_dispatch_ptr 0
		.amdhsa_user_sgpr_queue_ptr 0
		.amdhsa_user_sgpr_kernarg_segment_ptr 1
		.amdhsa_user_sgpr_dispatch_id 0
		.amdhsa_user_sgpr_private_segment_size 0
		.amdhsa_wavefront_size32 1
		.amdhsa_uses_dynamic_stack 0
		.amdhsa_enable_private_segment 0
		.amdhsa_system_sgpr_workgroup_id_x 1
		.amdhsa_system_sgpr_workgroup_id_y 0
		.amdhsa_system_sgpr_workgroup_id_z 0
		.amdhsa_system_sgpr_workgroup_info 0
		.amdhsa_system_vgpr_workitem_id 0
		.amdhsa_next_free_vgpr 1
		.amdhsa_next_free_sgpr 1
		.amdhsa_reserve_vcc 0
		.amdhsa_float_round_mode_32 0
		.amdhsa_float_round_mode_16_64 0
		.amdhsa_float_denorm_mode_32 3
		.amdhsa_float_denorm_mode_16_64 3
		.amdhsa_fp16_overflow 0
		.amdhsa_workgroup_processor_mode 1
		.amdhsa_memory_ordered 1
		.amdhsa_forward_progress 1
		.amdhsa_inst_pref_size 0
		.amdhsa_round_robin_scheduling 0
		.amdhsa_exception_fp_ieee_invalid_op 0
		.amdhsa_exception_fp_denorm_src 0
		.amdhsa_exception_fp_ieee_div_zero 0
		.amdhsa_exception_fp_ieee_overflow 0
		.amdhsa_exception_fp_ieee_underflow 0
		.amdhsa_exception_fp_ieee_inexact 0
		.amdhsa_exception_int_div_zero 0
	.end_amdhsa_kernel
	.section	.text._ZN7rocprim17ROCPRIM_400000_NS6detail17trampoline_kernelINS0_14default_configENS1_25transform_config_selectorImLb1EEEZNS1_14transform_implILb1ES3_S5_PmPlNS0_8identityIvEEEE10hipError_tT2_T3_mT4_P12ihipStream_tbEUlT_E_NS1_11comp_targetILNS1_3genE4ELNS1_11target_archE910ELNS1_3gpuE8ELNS1_3repE0EEENS1_30default_config_static_selectorELNS0_4arch9wavefront6targetE0EEEvT1_,"axG",@progbits,_ZN7rocprim17ROCPRIM_400000_NS6detail17trampoline_kernelINS0_14default_configENS1_25transform_config_selectorImLb1EEEZNS1_14transform_implILb1ES3_S5_PmPlNS0_8identityIvEEEE10hipError_tT2_T3_mT4_P12ihipStream_tbEUlT_E_NS1_11comp_targetILNS1_3genE4ELNS1_11target_archE910ELNS1_3gpuE8ELNS1_3repE0EEENS1_30default_config_static_selectorELNS0_4arch9wavefront6targetE0EEEvT1_,comdat
.Lfunc_end15:
	.size	_ZN7rocprim17ROCPRIM_400000_NS6detail17trampoline_kernelINS0_14default_configENS1_25transform_config_selectorImLb1EEEZNS1_14transform_implILb1ES3_S5_PmPlNS0_8identityIvEEEE10hipError_tT2_T3_mT4_P12ihipStream_tbEUlT_E_NS1_11comp_targetILNS1_3genE4ELNS1_11target_archE910ELNS1_3gpuE8ELNS1_3repE0EEENS1_30default_config_static_selectorELNS0_4arch9wavefront6targetE0EEEvT1_, .Lfunc_end15-_ZN7rocprim17ROCPRIM_400000_NS6detail17trampoline_kernelINS0_14default_configENS1_25transform_config_selectorImLb1EEEZNS1_14transform_implILb1ES3_S5_PmPlNS0_8identityIvEEEE10hipError_tT2_T3_mT4_P12ihipStream_tbEUlT_E_NS1_11comp_targetILNS1_3genE4ELNS1_11target_archE910ELNS1_3gpuE8ELNS1_3repE0EEENS1_30default_config_static_selectorELNS0_4arch9wavefront6targetE0EEEvT1_
                                        ; -- End function
	.set _ZN7rocprim17ROCPRIM_400000_NS6detail17trampoline_kernelINS0_14default_configENS1_25transform_config_selectorImLb1EEEZNS1_14transform_implILb1ES3_S5_PmPlNS0_8identityIvEEEE10hipError_tT2_T3_mT4_P12ihipStream_tbEUlT_E_NS1_11comp_targetILNS1_3genE4ELNS1_11target_archE910ELNS1_3gpuE8ELNS1_3repE0EEENS1_30default_config_static_selectorELNS0_4arch9wavefront6targetE0EEEvT1_.num_vgpr, 0
	.set _ZN7rocprim17ROCPRIM_400000_NS6detail17trampoline_kernelINS0_14default_configENS1_25transform_config_selectorImLb1EEEZNS1_14transform_implILb1ES3_S5_PmPlNS0_8identityIvEEEE10hipError_tT2_T3_mT4_P12ihipStream_tbEUlT_E_NS1_11comp_targetILNS1_3genE4ELNS1_11target_archE910ELNS1_3gpuE8ELNS1_3repE0EEENS1_30default_config_static_selectorELNS0_4arch9wavefront6targetE0EEEvT1_.num_agpr, 0
	.set _ZN7rocprim17ROCPRIM_400000_NS6detail17trampoline_kernelINS0_14default_configENS1_25transform_config_selectorImLb1EEEZNS1_14transform_implILb1ES3_S5_PmPlNS0_8identityIvEEEE10hipError_tT2_T3_mT4_P12ihipStream_tbEUlT_E_NS1_11comp_targetILNS1_3genE4ELNS1_11target_archE910ELNS1_3gpuE8ELNS1_3repE0EEENS1_30default_config_static_selectorELNS0_4arch9wavefront6targetE0EEEvT1_.numbered_sgpr, 0
	.set _ZN7rocprim17ROCPRIM_400000_NS6detail17trampoline_kernelINS0_14default_configENS1_25transform_config_selectorImLb1EEEZNS1_14transform_implILb1ES3_S5_PmPlNS0_8identityIvEEEE10hipError_tT2_T3_mT4_P12ihipStream_tbEUlT_E_NS1_11comp_targetILNS1_3genE4ELNS1_11target_archE910ELNS1_3gpuE8ELNS1_3repE0EEENS1_30default_config_static_selectorELNS0_4arch9wavefront6targetE0EEEvT1_.num_named_barrier, 0
	.set _ZN7rocprim17ROCPRIM_400000_NS6detail17trampoline_kernelINS0_14default_configENS1_25transform_config_selectorImLb1EEEZNS1_14transform_implILb1ES3_S5_PmPlNS0_8identityIvEEEE10hipError_tT2_T3_mT4_P12ihipStream_tbEUlT_E_NS1_11comp_targetILNS1_3genE4ELNS1_11target_archE910ELNS1_3gpuE8ELNS1_3repE0EEENS1_30default_config_static_selectorELNS0_4arch9wavefront6targetE0EEEvT1_.private_seg_size, 0
	.set _ZN7rocprim17ROCPRIM_400000_NS6detail17trampoline_kernelINS0_14default_configENS1_25transform_config_selectorImLb1EEEZNS1_14transform_implILb1ES3_S5_PmPlNS0_8identityIvEEEE10hipError_tT2_T3_mT4_P12ihipStream_tbEUlT_E_NS1_11comp_targetILNS1_3genE4ELNS1_11target_archE910ELNS1_3gpuE8ELNS1_3repE0EEENS1_30default_config_static_selectorELNS0_4arch9wavefront6targetE0EEEvT1_.uses_vcc, 0
	.set _ZN7rocprim17ROCPRIM_400000_NS6detail17trampoline_kernelINS0_14default_configENS1_25transform_config_selectorImLb1EEEZNS1_14transform_implILb1ES3_S5_PmPlNS0_8identityIvEEEE10hipError_tT2_T3_mT4_P12ihipStream_tbEUlT_E_NS1_11comp_targetILNS1_3genE4ELNS1_11target_archE910ELNS1_3gpuE8ELNS1_3repE0EEENS1_30default_config_static_selectorELNS0_4arch9wavefront6targetE0EEEvT1_.uses_flat_scratch, 0
	.set _ZN7rocprim17ROCPRIM_400000_NS6detail17trampoline_kernelINS0_14default_configENS1_25transform_config_selectorImLb1EEEZNS1_14transform_implILb1ES3_S5_PmPlNS0_8identityIvEEEE10hipError_tT2_T3_mT4_P12ihipStream_tbEUlT_E_NS1_11comp_targetILNS1_3genE4ELNS1_11target_archE910ELNS1_3gpuE8ELNS1_3repE0EEENS1_30default_config_static_selectorELNS0_4arch9wavefront6targetE0EEEvT1_.has_dyn_sized_stack, 0
	.set _ZN7rocprim17ROCPRIM_400000_NS6detail17trampoline_kernelINS0_14default_configENS1_25transform_config_selectorImLb1EEEZNS1_14transform_implILb1ES3_S5_PmPlNS0_8identityIvEEEE10hipError_tT2_T3_mT4_P12ihipStream_tbEUlT_E_NS1_11comp_targetILNS1_3genE4ELNS1_11target_archE910ELNS1_3gpuE8ELNS1_3repE0EEENS1_30default_config_static_selectorELNS0_4arch9wavefront6targetE0EEEvT1_.has_recursion, 0
	.set _ZN7rocprim17ROCPRIM_400000_NS6detail17trampoline_kernelINS0_14default_configENS1_25transform_config_selectorImLb1EEEZNS1_14transform_implILb1ES3_S5_PmPlNS0_8identityIvEEEE10hipError_tT2_T3_mT4_P12ihipStream_tbEUlT_E_NS1_11comp_targetILNS1_3genE4ELNS1_11target_archE910ELNS1_3gpuE8ELNS1_3repE0EEENS1_30default_config_static_selectorELNS0_4arch9wavefront6targetE0EEEvT1_.has_indirect_call, 0
	.section	.AMDGPU.csdata,"",@progbits
; Kernel info:
; codeLenInByte = 0
; TotalNumSgprs: 0
; NumVgprs: 0
; ScratchSize: 0
; MemoryBound: 0
; FloatMode: 240
; IeeeMode: 1
; LDSByteSize: 0 bytes/workgroup (compile time only)
; SGPRBlocks: 0
; VGPRBlocks: 0
; NumSGPRsForWavesPerEU: 1
; NumVGPRsForWavesPerEU: 1
; Occupancy: 16
; WaveLimiterHint : 0
; COMPUTE_PGM_RSRC2:SCRATCH_EN: 0
; COMPUTE_PGM_RSRC2:USER_SGPR: 2
; COMPUTE_PGM_RSRC2:TRAP_HANDLER: 0
; COMPUTE_PGM_RSRC2:TGID_X_EN: 1
; COMPUTE_PGM_RSRC2:TGID_Y_EN: 0
; COMPUTE_PGM_RSRC2:TGID_Z_EN: 0
; COMPUTE_PGM_RSRC2:TIDIG_COMP_CNT: 0
	.section	.text._ZN7rocprim17ROCPRIM_400000_NS6detail17trampoline_kernelINS0_14default_configENS1_25transform_config_selectorImLb1EEEZNS1_14transform_implILb1ES3_S5_PmPlNS0_8identityIvEEEE10hipError_tT2_T3_mT4_P12ihipStream_tbEUlT_E_NS1_11comp_targetILNS1_3genE3ELNS1_11target_archE908ELNS1_3gpuE7ELNS1_3repE0EEENS1_30default_config_static_selectorELNS0_4arch9wavefront6targetE0EEEvT1_,"axG",@progbits,_ZN7rocprim17ROCPRIM_400000_NS6detail17trampoline_kernelINS0_14default_configENS1_25transform_config_selectorImLb1EEEZNS1_14transform_implILb1ES3_S5_PmPlNS0_8identityIvEEEE10hipError_tT2_T3_mT4_P12ihipStream_tbEUlT_E_NS1_11comp_targetILNS1_3genE3ELNS1_11target_archE908ELNS1_3gpuE7ELNS1_3repE0EEENS1_30default_config_static_selectorELNS0_4arch9wavefront6targetE0EEEvT1_,comdat
	.protected	_ZN7rocprim17ROCPRIM_400000_NS6detail17trampoline_kernelINS0_14default_configENS1_25transform_config_selectorImLb1EEEZNS1_14transform_implILb1ES3_S5_PmPlNS0_8identityIvEEEE10hipError_tT2_T3_mT4_P12ihipStream_tbEUlT_E_NS1_11comp_targetILNS1_3genE3ELNS1_11target_archE908ELNS1_3gpuE7ELNS1_3repE0EEENS1_30default_config_static_selectorELNS0_4arch9wavefront6targetE0EEEvT1_ ; -- Begin function _ZN7rocprim17ROCPRIM_400000_NS6detail17trampoline_kernelINS0_14default_configENS1_25transform_config_selectorImLb1EEEZNS1_14transform_implILb1ES3_S5_PmPlNS0_8identityIvEEEE10hipError_tT2_T3_mT4_P12ihipStream_tbEUlT_E_NS1_11comp_targetILNS1_3genE3ELNS1_11target_archE908ELNS1_3gpuE7ELNS1_3repE0EEENS1_30default_config_static_selectorELNS0_4arch9wavefront6targetE0EEEvT1_
	.globl	_ZN7rocprim17ROCPRIM_400000_NS6detail17trampoline_kernelINS0_14default_configENS1_25transform_config_selectorImLb1EEEZNS1_14transform_implILb1ES3_S5_PmPlNS0_8identityIvEEEE10hipError_tT2_T3_mT4_P12ihipStream_tbEUlT_E_NS1_11comp_targetILNS1_3genE3ELNS1_11target_archE908ELNS1_3gpuE7ELNS1_3repE0EEENS1_30default_config_static_selectorELNS0_4arch9wavefront6targetE0EEEvT1_
	.p2align	8
	.type	_ZN7rocprim17ROCPRIM_400000_NS6detail17trampoline_kernelINS0_14default_configENS1_25transform_config_selectorImLb1EEEZNS1_14transform_implILb1ES3_S5_PmPlNS0_8identityIvEEEE10hipError_tT2_T3_mT4_P12ihipStream_tbEUlT_E_NS1_11comp_targetILNS1_3genE3ELNS1_11target_archE908ELNS1_3gpuE7ELNS1_3repE0EEENS1_30default_config_static_selectorELNS0_4arch9wavefront6targetE0EEEvT1_,@function
_ZN7rocprim17ROCPRIM_400000_NS6detail17trampoline_kernelINS0_14default_configENS1_25transform_config_selectorImLb1EEEZNS1_14transform_implILb1ES3_S5_PmPlNS0_8identityIvEEEE10hipError_tT2_T3_mT4_P12ihipStream_tbEUlT_E_NS1_11comp_targetILNS1_3genE3ELNS1_11target_archE908ELNS1_3gpuE7ELNS1_3repE0EEENS1_30default_config_static_selectorELNS0_4arch9wavefront6targetE0EEEvT1_: ; @_ZN7rocprim17ROCPRIM_400000_NS6detail17trampoline_kernelINS0_14default_configENS1_25transform_config_selectorImLb1EEEZNS1_14transform_implILb1ES3_S5_PmPlNS0_8identityIvEEEE10hipError_tT2_T3_mT4_P12ihipStream_tbEUlT_E_NS1_11comp_targetILNS1_3genE3ELNS1_11target_archE908ELNS1_3gpuE7ELNS1_3repE0EEENS1_30default_config_static_selectorELNS0_4arch9wavefront6targetE0EEEvT1_
; %bb.0:
	.section	.rodata,"a",@progbits
	.p2align	6, 0x0
	.amdhsa_kernel _ZN7rocprim17ROCPRIM_400000_NS6detail17trampoline_kernelINS0_14default_configENS1_25transform_config_selectorImLb1EEEZNS1_14transform_implILb1ES3_S5_PmPlNS0_8identityIvEEEE10hipError_tT2_T3_mT4_P12ihipStream_tbEUlT_E_NS1_11comp_targetILNS1_3genE3ELNS1_11target_archE908ELNS1_3gpuE7ELNS1_3repE0EEENS1_30default_config_static_selectorELNS0_4arch9wavefront6targetE0EEEvT1_
		.amdhsa_group_segment_fixed_size 0
		.amdhsa_private_segment_fixed_size 0
		.amdhsa_kernarg_size 40
		.amdhsa_user_sgpr_count 2
		.amdhsa_user_sgpr_dispatch_ptr 0
		.amdhsa_user_sgpr_queue_ptr 0
		.amdhsa_user_sgpr_kernarg_segment_ptr 1
		.amdhsa_user_sgpr_dispatch_id 0
		.amdhsa_user_sgpr_private_segment_size 0
		.amdhsa_wavefront_size32 1
		.amdhsa_uses_dynamic_stack 0
		.amdhsa_enable_private_segment 0
		.amdhsa_system_sgpr_workgroup_id_x 1
		.amdhsa_system_sgpr_workgroup_id_y 0
		.amdhsa_system_sgpr_workgroup_id_z 0
		.amdhsa_system_sgpr_workgroup_info 0
		.amdhsa_system_vgpr_workitem_id 0
		.amdhsa_next_free_vgpr 1
		.amdhsa_next_free_sgpr 1
		.amdhsa_reserve_vcc 0
		.amdhsa_float_round_mode_32 0
		.amdhsa_float_round_mode_16_64 0
		.amdhsa_float_denorm_mode_32 3
		.amdhsa_float_denorm_mode_16_64 3
		.amdhsa_fp16_overflow 0
		.amdhsa_workgroup_processor_mode 1
		.amdhsa_memory_ordered 1
		.amdhsa_forward_progress 1
		.amdhsa_inst_pref_size 0
		.amdhsa_round_robin_scheduling 0
		.amdhsa_exception_fp_ieee_invalid_op 0
		.amdhsa_exception_fp_denorm_src 0
		.amdhsa_exception_fp_ieee_div_zero 0
		.amdhsa_exception_fp_ieee_overflow 0
		.amdhsa_exception_fp_ieee_underflow 0
		.amdhsa_exception_fp_ieee_inexact 0
		.amdhsa_exception_int_div_zero 0
	.end_amdhsa_kernel
	.section	.text._ZN7rocprim17ROCPRIM_400000_NS6detail17trampoline_kernelINS0_14default_configENS1_25transform_config_selectorImLb1EEEZNS1_14transform_implILb1ES3_S5_PmPlNS0_8identityIvEEEE10hipError_tT2_T3_mT4_P12ihipStream_tbEUlT_E_NS1_11comp_targetILNS1_3genE3ELNS1_11target_archE908ELNS1_3gpuE7ELNS1_3repE0EEENS1_30default_config_static_selectorELNS0_4arch9wavefront6targetE0EEEvT1_,"axG",@progbits,_ZN7rocprim17ROCPRIM_400000_NS6detail17trampoline_kernelINS0_14default_configENS1_25transform_config_selectorImLb1EEEZNS1_14transform_implILb1ES3_S5_PmPlNS0_8identityIvEEEE10hipError_tT2_T3_mT4_P12ihipStream_tbEUlT_E_NS1_11comp_targetILNS1_3genE3ELNS1_11target_archE908ELNS1_3gpuE7ELNS1_3repE0EEENS1_30default_config_static_selectorELNS0_4arch9wavefront6targetE0EEEvT1_,comdat
.Lfunc_end16:
	.size	_ZN7rocprim17ROCPRIM_400000_NS6detail17trampoline_kernelINS0_14default_configENS1_25transform_config_selectorImLb1EEEZNS1_14transform_implILb1ES3_S5_PmPlNS0_8identityIvEEEE10hipError_tT2_T3_mT4_P12ihipStream_tbEUlT_E_NS1_11comp_targetILNS1_3genE3ELNS1_11target_archE908ELNS1_3gpuE7ELNS1_3repE0EEENS1_30default_config_static_selectorELNS0_4arch9wavefront6targetE0EEEvT1_, .Lfunc_end16-_ZN7rocprim17ROCPRIM_400000_NS6detail17trampoline_kernelINS0_14default_configENS1_25transform_config_selectorImLb1EEEZNS1_14transform_implILb1ES3_S5_PmPlNS0_8identityIvEEEE10hipError_tT2_T3_mT4_P12ihipStream_tbEUlT_E_NS1_11comp_targetILNS1_3genE3ELNS1_11target_archE908ELNS1_3gpuE7ELNS1_3repE0EEENS1_30default_config_static_selectorELNS0_4arch9wavefront6targetE0EEEvT1_
                                        ; -- End function
	.set _ZN7rocprim17ROCPRIM_400000_NS6detail17trampoline_kernelINS0_14default_configENS1_25transform_config_selectorImLb1EEEZNS1_14transform_implILb1ES3_S5_PmPlNS0_8identityIvEEEE10hipError_tT2_T3_mT4_P12ihipStream_tbEUlT_E_NS1_11comp_targetILNS1_3genE3ELNS1_11target_archE908ELNS1_3gpuE7ELNS1_3repE0EEENS1_30default_config_static_selectorELNS0_4arch9wavefront6targetE0EEEvT1_.num_vgpr, 0
	.set _ZN7rocprim17ROCPRIM_400000_NS6detail17trampoline_kernelINS0_14default_configENS1_25transform_config_selectorImLb1EEEZNS1_14transform_implILb1ES3_S5_PmPlNS0_8identityIvEEEE10hipError_tT2_T3_mT4_P12ihipStream_tbEUlT_E_NS1_11comp_targetILNS1_3genE3ELNS1_11target_archE908ELNS1_3gpuE7ELNS1_3repE0EEENS1_30default_config_static_selectorELNS0_4arch9wavefront6targetE0EEEvT1_.num_agpr, 0
	.set _ZN7rocprim17ROCPRIM_400000_NS6detail17trampoline_kernelINS0_14default_configENS1_25transform_config_selectorImLb1EEEZNS1_14transform_implILb1ES3_S5_PmPlNS0_8identityIvEEEE10hipError_tT2_T3_mT4_P12ihipStream_tbEUlT_E_NS1_11comp_targetILNS1_3genE3ELNS1_11target_archE908ELNS1_3gpuE7ELNS1_3repE0EEENS1_30default_config_static_selectorELNS0_4arch9wavefront6targetE0EEEvT1_.numbered_sgpr, 0
	.set _ZN7rocprim17ROCPRIM_400000_NS6detail17trampoline_kernelINS0_14default_configENS1_25transform_config_selectorImLb1EEEZNS1_14transform_implILb1ES3_S5_PmPlNS0_8identityIvEEEE10hipError_tT2_T3_mT4_P12ihipStream_tbEUlT_E_NS1_11comp_targetILNS1_3genE3ELNS1_11target_archE908ELNS1_3gpuE7ELNS1_3repE0EEENS1_30default_config_static_selectorELNS0_4arch9wavefront6targetE0EEEvT1_.num_named_barrier, 0
	.set _ZN7rocprim17ROCPRIM_400000_NS6detail17trampoline_kernelINS0_14default_configENS1_25transform_config_selectorImLb1EEEZNS1_14transform_implILb1ES3_S5_PmPlNS0_8identityIvEEEE10hipError_tT2_T3_mT4_P12ihipStream_tbEUlT_E_NS1_11comp_targetILNS1_3genE3ELNS1_11target_archE908ELNS1_3gpuE7ELNS1_3repE0EEENS1_30default_config_static_selectorELNS0_4arch9wavefront6targetE0EEEvT1_.private_seg_size, 0
	.set _ZN7rocprim17ROCPRIM_400000_NS6detail17trampoline_kernelINS0_14default_configENS1_25transform_config_selectorImLb1EEEZNS1_14transform_implILb1ES3_S5_PmPlNS0_8identityIvEEEE10hipError_tT2_T3_mT4_P12ihipStream_tbEUlT_E_NS1_11comp_targetILNS1_3genE3ELNS1_11target_archE908ELNS1_3gpuE7ELNS1_3repE0EEENS1_30default_config_static_selectorELNS0_4arch9wavefront6targetE0EEEvT1_.uses_vcc, 0
	.set _ZN7rocprim17ROCPRIM_400000_NS6detail17trampoline_kernelINS0_14default_configENS1_25transform_config_selectorImLb1EEEZNS1_14transform_implILb1ES3_S5_PmPlNS0_8identityIvEEEE10hipError_tT2_T3_mT4_P12ihipStream_tbEUlT_E_NS1_11comp_targetILNS1_3genE3ELNS1_11target_archE908ELNS1_3gpuE7ELNS1_3repE0EEENS1_30default_config_static_selectorELNS0_4arch9wavefront6targetE0EEEvT1_.uses_flat_scratch, 0
	.set _ZN7rocprim17ROCPRIM_400000_NS6detail17trampoline_kernelINS0_14default_configENS1_25transform_config_selectorImLb1EEEZNS1_14transform_implILb1ES3_S5_PmPlNS0_8identityIvEEEE10hipError_tT2_T3_mT4_P12ihipStream_tbEUlT_E_NS1_11comp_targetILNS1_3genE3ELNS1_11target_archE908ELNS1_3gpuE7ELNS1_3repE0EEENS1_30default_config_static_selectorELNS0_4arch9wavefront6targetE0EEEvT1_.has_dyn_sized_stack, 0
	.set _ZN7rocprim17ROCPRIM_400000_NS6detail17trampoline_kernelINS0_14default_configENS1_25transform_config_selectorImLb1EEEZNS1_14transform_implILb1ES3_S5_PmPlNS0_8identityIvEEEE10hipError_tT2_T3_mT4_P12ihipStream_tbEUlT_E_NS1_11comp_targetILNS1_3genE3ELNS1_11target_archE908ELNS1_3gpuE7ELNS1_3repE0EEENS1_30default_config_static_selectorELNS0_4arch9wavefront6targetE0EEEvT1_.has_recursion, 0
	.set _ZN7rocprim17ROCPRIM_400000_NS6detail17trampoline_kernelINS0_14default_configENS1_25transform_config_selectorImLb1EEEZNS1_14transform_implILb1ES3_S5_PmPlNS0_8identityIvEEEE10hipError_tT2_T3_mT4_P12ihipStream_tbEUlT_E_NS1_11comp_targetILNS1_3genE3ELNS1_11target_archE908ELNS1_3gpuE7ELNS1_3repE0EEENS1_30default_config_static_selectorELNS0_4arch9wavefront6targetE0EEEvT1_.has_indirect_call, 0
	.section	.AMDGPU.csdata,"",@progbits
; Kernel info:
; codeLenInByte = 0
; TotalNumSgprs: 0
; NumVgprs: 0
; ScratchSize: 0
; MemoryBound: 0
; FloatMode: 240
; IeeeMode: 1
; LDSByteSize: 0 bytes/workgroup (compile time only)
; SGPRBlocks: 0
; VGPRBlocks: 0
; NumSGPRsForWavesPerEU: 1
; NumVGPRsForWavesPerEU: 1
; Occupancy: 16
; WaveLimiterHint : 0
; COMPUTE_PGM_RSRC2:SCRATCH_EN: 0
; COMPUTE_PGM_RSRC2:USER_SGPR: 2
; COMPUTE_PGM_RSRC2:TRAP_HANDLER: 0
; COMPUTE_PGM_RSRC2:TGID_X_EN: 1
; COMPUTE_PGM_RSRC2:TGID_Y_EN: 0
; COMPUTE_PGM_RSRC2:TGID_Z_EN: 0
; COMPUTE_PGM_RSRC2:TIDIG_COMP_CNT: 0
	.section	.text._ZN7rocprim17ROCPRIM_400000_NS6detail17trampoline_kernelINS0_14default_configENS1_25transform_config_selectorImLb1EEEZNS1_14transform_implILb1ES3_S5_PmPlNS0_8identityIvEEEE10hipError_tT2_T3_mT4_P12ihipStream_tbEUlT_E_NS1_11comp_targetILNS1_3genE2ELNS1_11target_archE906ELNS1_3gpuE6ELNS1_3repE0EEENS1_30default_config_static_selectorELNS0_4arch9wavefront6targetE0EEEvT1_,"axG",@progbits,_ZN7rocprim17ROCPRIM_400000_NS6detail17trampoline_kernelINS0_14default_configENS1_25transform_config_selectorImLb1EEEZNS1_14transform_implILb1ES3_S5_PmPlNS0_8identityIvEEEE10hipError_tT2_T3_mT4_P12ihipStream_tbEUlT_E_NS1_11comp_targetILNS1_3genE2ELNS1_11target_archE906ELNS1_3gpuE6ELNS1_3repE0EEENS1_30default_config_static_selectorELNS0_4arch9wavefront6targetE0EEEvT1_,comdat
	.protected	_ZN7rocprim17ROCPRIM_400000_NS6detail17trampoline_kernelINS0_14default_configENS1_25transform_config_selectorImLb1EEEZNS1_14transform_implILb1ES3_S5_PmPlNS0_8identityIvEEEE10hipError_tT2_T3_mT4_P12ihipStream_tbEUlT_E_NS1_11comp_targetILNS1_3genE2ELNS1_11target_archE906ELNS1_3gpuE6ELNS1_3repE0EEENS1_30default_config_static_selectorELNS0_4arch9wavefront6targetE0EEEvT1_ ; -- Begin function _ZN7rocprim17ROCPRIM_400000_NS6detail17trampoline_kernelINS0_14default_configENS1_25transform_config_selectorImLb1EEEZNS1_14transform_implILb1ES3_S5_PmPlNS0_8identityIvEEEE10hipError_tT2_T3_mT4_P12ihipStream_tbEUlT_E_NS1_11comp_targetILNS1_3genE2ELNS1_11target_archE906ELNS1_3gpuE6ELNS1_3repE0EEENS1_30default_config_static_selectorELNS0_4arch9wavefront6targetE0EEEvT1_
	.globl	_ZN7rocprim17ROCPRIM_400000_NS6detail17trampoline_kernelINS0_14default_configENS1_25transform_config_selectorImLb1EEEZNS1_14transform_implILb1ES3_S5_PmPlNS0_8identityIvEEEE10hipError_tT2_T3_mT4_P12ihipStream_tbEUlT_E_NS1_11comp_targetILNS1_3genE2ELNS1_11target_archE906ELNS1_3gpuE6ELNS1_3repE0EEENS1_30default_config_static_selectorELNS0_4arch9wavefront6targetE0EEEvT1_
	.p2align	8
	.type	_ZN7rocprim17ROCPRIM_400000_NS6detail17trampoline_kernelINS0_14default_configENS1_25transform_config_selectorImLb1EEEZNS1_14transform_implILb1ES3_S5_PmPlNS0_8identityIvEEEE10hipError_tT2_T3_mT4_P12ihipStream_tbEUlT_E_NS1_11comp_targetILNS1_3genE2ELNS1_11target_archE906ELNS1_3gpuE6ELNS1_3repE0EEENS1_30default_config_static_selectorELNS0_4arch9wavefront6targetE0EEEvT1_,@function
_ZN7rocprim17ROCPRIM_400000_NS6detail17trampoline_kernelINS0_14default_configENS1_25transform_config_selectorImLb1EEEZNS1_14transform_implILb1ES3_S5_PmPlNS0_8identityIvEEEE10hipError_tT2_T3_mT4_P12ihipStream_tbEUlT_E_NS1_11comp_targetILNS1_3genE2ELNS1_11target_archE906ELNS1_3gpuE6ELNS1_3repE0EEENS1_30default_config_static_selectorELNS0_4arch9wavefront6targetE0EEEvT1_: ; @_ZN7rocprim17ROCPRIM_400000_NS6detail17trampoline_kernelINS0_14default_configENS1_25transform_config_selectorImLb1EEEZNS1_14transform_implILb1ES3_S5_PmPlNS0_8identityIvEEEE10hipError_tT2_T3_mT4_P12ihipStream_tbEUlT_E_NS1_11comp_targetILNS1_3genE2ELNS1_11target_archE906ELNS1_3gpuE6ELNS1_3repE0EEENS1_30default_config_static_selectorELNS0_4arch9wavefront6targetE0EEEvT1_
; %bb.0:
	.section	.rodata,"a",@progbits
	.p2align	6, 0x0
	.amdhsa_kernel _ZN7rocprim17ROCPRIM_400000_NS6detail17trampoline_kernelINS0_14default_configENS1_25transform_config_selectorImLb1EEEZNS1_14transform_implILb1ES3_S5_PmPlNS0_8identityIvEEEE10hipError_tT2_T3_mT4_P12ihipStream_tbEUlT_E_NS1_11comp_targetILNS1_3genE2ELNS1_11target_archE906ELNS1_3gpuE6ELNS1_3repE0EEENS1_30default_config_static_selectorELNS0_4arch9wavefront6targetE0EEEvT1_
		.amdhsa_group_segment_fixed_size 0
		.amdhsa_private_segment_fixed_size 0
		.amdhsa_kernarg_size 40
		.amdhsa_user_sgpr_count 2
		.amdhsa_user_sgpr_dispatch_ptr 0
		.amdhsa_user_sgpr_queue_ptr 0
		.amdhsa_user_sgpr_kernarg_segment_ptr 1
		.amdhsa_user_sgpr_dispatch_id 0
		.amdhsa_user_sgpr_private_segment_size 0
		.amdhsa_wavefront_size32 1
		.amdhsa_uses_dynamic_stack 0
		.amdhsa_enable_private_segment 0
		.amdhsa_system_sgpr_workgroup_id_x 1
		.amdhsa_system_sgpr_workgroup_id_y 0
		.amdhsa_system_sgpr_workgroup_id_z 0
		.amdhsa_system_sgpr_workgroup_info 0
		.amdhsa_system_vgpr_workitem_id 0
		.amdhsa_next_free_vgpr 1
		.amdhsa_next_free_sgpr 1
		.amdhsa_reserve_vcc 0
		.amdhsa_float_round_mode_32 0
		.amdhsa_float_round_mode_16_64 0
		.amdhsa_float_denorm_mode_32 3
		.amdhsa_float_denorm_mode_16_64 3
		.amdhsa_fp16_overflow 0
		.amdhsa_workgroup_processor_mode 1
		.amdhsa_memory_ordered 1
		.amdhsa_forward_progress 1
		.amdhsa_inst_pref_size 0
		.amdhsa_round_robin_scheduling 0
		.amdhsa_exception_fp_ieee_invalid_op 0
		.amdhsa_exception_fp_denorm_src 0
		.amdhsa_exception_fp_ieee_div_zero 0
		.amdhsa_exception_fp_ieee_overflow 0
		.amdhsa_exception_fp_ieee_underflow 0
		.amdhsa_exception_fp_ieee_inexact 0
		.amdhsa_exception_int_div_zero 0
	.end_amdhsa_kernel
	.section	.text._ZN7rocprim17ROCPRIM_400000_NS6detail17trampoline_kernelINS0_14default_configENS1_25transform_config_selectorImLb1EEEZNS1_14transform_implILb1ES3_S5_PmPlNS0_8identityIvEEEE10hipError_tT2_T3_mT4_P12ihipStream_tbEUlT_E_NS1_11comp_targetILNS1_3genE2ELNS1_11target_archE906ELNS1_3gpuE6ELNS1_3repE0EEENS1_30default_config_static_selectorELNS0_4arch9wavefront6targetE0EEEvT1_,"axG",@progbits,_ZN7rocprim17ROCPRIM_400000_NS6detail17trampoline_kernelINS0_14default_configENS1_25transform_config_selectorImLb1EEEZNS1_14transform_implILb1ES3_S5_PmPlNS0_8identityIvEEEE10hipError_tT2_T3_mT4_P12ihipStream_tbEUlT_E_NS1_11comp_targetILNS1_3genE2ELNS1_11target_archE906ELNS1_3gpuE6ELNS1_3repE0EEENS1_30default_config_static_selectorELNS0_4arch9wavefront6targetE0EEEvT1_,comdat
.Lfunc_end17:
	.size	_ZN7rocprim17ROCPRIM_400000_NS6detail17trampoline_kernelINS0_14default_configENS1_25transform_config_selectorImLb1EEEZNS1_14transform_implILb1ES3_S5_PmPlNS0_8identityIvEEEE10hipError_tT2_T3_mT4_P12ihipStream_tbEUlT_E_NS1_11comp_targetILNS1_3genE2ELNS1_11target_archE906ELNS1_3gpuE6ELNS1_3repE0EEENS1_30default_config_static_selectorELNS0_4arch9wavefront6targetE0EEEvT1_, .Lfunc_end17-_ZN7rocprim17ROCPRIM_400000_NS6detail17trampoline_kernelINS0_14default_configENS1_25transform_config_selectorImLb1EEEZNS1_14transform_implILb1ES3_S5_PmPlNS0_8identityIvEEEE10hipError_tT2_T3_mT4_P12ihipStream_tbEUlT_E_NS1_11comp_targetILNS1_3genE2ELNS1_11target_archE906ELNS1_3gpuE6ELNS1_3repE0EEENS1_30default_config_static_selectorELNS0_4arch9wavefront6targetE0EEEvT1_
                                        ; -- End function
	.set _ZN7rocprim17ROCPRIM_400000_NS6detail17trampoline_kernelINS0_14default_configENS1_25transform_config_selectorImLb1EEEZNS1_14transform_implILb1ES3_S5_PmPlNS0_8identityIvEEEE10hipError_tT2_T3_mT4_P12ihipStream_tbEUlT_E_NS1_11comp_targetILNS1_3genE2ELNS1_11target_archE906ELNS1_3gpuE6ELNS1_3repE0EEENS1_30default_config_static_selectorELNS0_4arch9wavefront6targetE0EEEvT1_.num_vgpr, 0
	.set _ZN7rocprim17ROCPRIM_400000_NS6detail17trampoline_kernelINS0_14default_configENS1_25transform_config_selectorImLb1EEEZNS1_14transform_implILb1ES3_S5_PmPlNS0_8identityIvEEEE10hipError_tT2_T3_mT4_P12ihipStream_tbEUlT_E_NS1_11comp_targetILNS1_3genE2ELNS1_11target_archE906ELNS1_3gpuE6ELNS1_3repE0EEENS1_30default_config_static_selectorELNS0_4arch9wavefront6targetE0EEEvT1_.num_agpr, 0
	.set _ZN7rocprim17ROCPRIM_400000_NS6detail17trampoline_kernelINS0_14default_configENS1_25transform_config_selectorImLb1EEEZNS1_14transform_implILb1ES3_S5_PmPlNS0_8identityIvEEEE10hipError_tT2_T3_mT4_P12ihipStream_tbEUlT_E_NS1_11comp_targetILNS1_3genE2ELNS1_11target_archE906ELNS1_3gpuE6ELNS1_3repE0EEENS1_30default_config_static_selectorELNS0_4arch9wavefront6targetE0EEEvT1_.numbered_sgpr, 0
	.set _ZN7rocprim17ROCPRIM_400000_NS6detail17trampoline_kernelINS0_14default_configENS1_25transform_config_selectorImLb1EEEZNS1_14transform_implILb1ES3_S5_PmPlNS0_8identityIvEEEE10hipError_tT2_T3_mT4_P12ihipStream_tbEUlT_E_NS1_11comp_targetILNS1_3genE2ELNS1_11target_archE906ELNS1_3gpuE6ELNS1_3repE0EEENS1_30default_config_static_selectorELNS0_4arch9wavefront6targetE0EEEvT1_.num_named_barrier, 0
	.set _ZN7rocprim17ROCPRIM_400000_NS6detail17trampoline_kernelINS0_14default_configENS1_25transform_config_selectorImLb1EEEZNS1_14transform_implILb1ES3_S5_PmPlNS0_8identityIvEEEE10hipError_tT2_T3_mT4_P12ihipStream_tbEUlT_E_NS1_11comp_targetILNS1_3genE2ELNS1_11target_archE906ELNS1_3gpuE6ELNS1_3repE0EEENS1_30default_config_static_selectorELNS0_4arch9wavefront6targetE0EEEvT1_.private_seg_size, 0
	.set _ZN7rocprim17ROCPRIM_400000_NS6detail17trampoline_kernelINS0_14default_configENS1_25transform_config_selectorImLb1EEEZNS1_14transform_implILb1ES3_S5_PmPlNS0_8identityIvEEEE10hipError_tT2_T3_mT4_P12ihipStream_tbEUlT_E_NS1_11comp_targetILNS1_3genE2ELNS1_11target_archE906ELNS1_3gpuE6ELNS1_3repE0EEENS1_30default_config_static_selectorELNS0_4arch9wavefront6targetE0EEEvT1_.uses_vcc, 0
	.set _ZN7rocprim17ROCPRIM_400000_NS6detail17trampoline_kernelINS0_14default_configENS1_25transform_config_selectorImLb1EEEZNS1_14transform_implILb1ES3_S5_PmPlNS0_8identityIvEEEE10hipError_tT2_T3_mT4_P12ihipStream_tbEUlT_E_NS1_11comp_targetILNS1_3genE2ELNS1_11target_archE906ELNS1_3gpuE6ELNS1_3repE0EEENS1_30default_config_static_selectorELNS0_4arch9wavefront6targetE0EEEvT1_.uses_flat_scratch, 0
	.set _ZN7rocprim17ROCPRIM_400000_NS6detail17trampoline_kernelINS0_14default_configENS1_25transform_config_selectorImLb1EEEZNS1_14transform_implILb1ES3_S5_PmPlNS0_8identityIvEEEE10hipError_tT2_T3_mT4_P12ihipStream_tbEUlT_E_NS1_11comp_targetILNS1_3genE2ELNS1_11target_archE906ELNS1_3gpuE6ELNS1_3repE0EEENS1_30default_config_static_selectorELNS0_4arch9wavefront6targetE0EEEvT1_.has_dyn_sized_stack, 0
	.set _ZN7rocprim17ROCPRIM_400000_NS6detail17trampoline_kernelINS0_14default_configENS1_25transform_config_selectorImLb1EEEZNS1_14transform_implILb1ES3_S5_PmPlNS0_8identityIvEEEE10hipError_tT2_T3_mT4_P12ihipStream_tbEUlT_E_NS1_11comp_targetILNS1_3genE2ELNS1_11target_archE906ELNS1_3gpuE6ELNS1_3repE0EEENS1_30default_config_static_selectorELNS0_4arch9wavefront6targetE0EEEvT1_.has_recursion, 0
	.set _ZN7rocprim17ROCPRIM_400000_NS6detail17trampoline_kernelINS0_14default_configENS1_25transform_config_selectorImLb1EEEZNS1_14transform_implILb1ES3_S5_PmPlNS0_8identityIvEEEE10hipError_tT2_T3_mT4_P12ihipStream_tbEUlT_E_NS1_11comp_targetILNS1_3genE2ELNS1_11target_archE906ELNS1_3gpuE6ELNS1_3repE0EEENS1_30default_config_static_selectorELNS0_4arch9wavefront6targetE0EEEvT1_.has_indirect_call, 0
	.section	.AMDGPU.csdata,"",@progbits
; Kernel info:
; codeLenInByte = 0
; TotalNumSgprs: 0
; NumVgprs: 0
; ScratchSize: 0
; MemoryBound: 0
; FloatMode: 240
; IeeeMode: 1
; LDSByteSize: 0 bytes/workgroup (compile time only)
; SGPRBlocks: 0
; VGPRBlocks: 0
; NumSGPRsForWavesPerEU: 1
; NumVGPRsForWavesPerEU: 1
; Occupancy: 16
; WaveLimiterHint : 0
; COMPUTE_PGM_RSRC2:SCRATCH_EN: 0
; COMPUTE_PGM_RSRC2:USER_SGPR: 2
; COMPUTE_PGM_RSRC2:TRAP_HANDLER: 0
; COMPUTE_PGM_RSRC2:TGID_X_EN: 1
; COMPUTE_PGM_RSRC2:TGID_Y_EN: 0
; COMPUTE_PGM_RSRC2:TGID_Z_EN: 0
; COMPUTE_PGM_RSRC2:TIDIG_COMP_CNT: 0
	.section	.text._ZN7rocprim17ROCPRIM_400000_NS6detail17trampoline_kernelINS0_14default_configENS1_25transform_config_selectorImLb1EEEZNS1_14transform_implILb1ES3_S5_PmPlNS0_8identityIvEEEE10hipError_tT2_T3_mT4_P12ihipStream_tbEUlT_E_NS1_11comp_targetILNS1_3genE9ELNS1_11target_archE1100ELNS1_3gpuE3ELNS1_3repE0EEENS1_30default_config_static_selectorELNS0_4arch9wavefront6targetE0EEEvT1_,"axG",@progbits,_ZN7rocprim17ROCPRIM_400000_NS6detail17trampoline_kernelINS0_14default_configENS1_25transform_config_selectorImLb1EEEZNS1_14transform_implILb1ES3_S5_PmPlNS0_8identityIvEEEE10hipError_tT2_T3_mT4_P12ihipStream_tbEUlT_E_NS1_11comp_targetILNS1_3genE9ELNS1_11target_archE1100ELNS1_3gpuE3ELNS1_3repE0EEENS1_30default_config_static_selectorELNS0_4arch9wavefront6targetE0EEEvT1_,comdat
	.protected	_ZN7rocprim17ROCPRIM_400000_NS6detail17trampoline_kernelINS0_14default_configENS1_25transform_config_selectorImLb1EEEZNS1_14transform_implILb1ES3_S5_PmPlNS0_8identityIvEEEE10hipError_tT2_T3_mT4_P12ihipStream_tbEUlT_E_NS1_11comp_targetILNS1_3genE9ELNS1_11target_archE1100ELNS1_3gpuE3ELNS1_3repE0EEENS1_30default_config_static_selectorELNS0_4arch9wavefront6targetE0EEEvT1_ ; -- Begin function _ZN7rocprim17ROCPRIM_400000_NS6detail17trampoline_kernelINS0_14default_configENS1_25transform_config_selectorImLb1EEEZNS1_14transform_implILb1ES3_S5_PmPlNS0_8identityIvEEEE10hipError_tT2_T3_mT4_P12ihipStream_tbEUlT_E_NS1_11comp_targetILNS1_3genE9ELNS1_11target_archE1100ELNS1_3gpuE3ELNS1_3repE0EEENS1_30default_config_static_selectorELNS0_4arch9wavefront6targetE0EEEvT1_
	.globl	_ZN7rocprim17ROCPRIM_400000_NS6detail17trampoline_kernelINS0_14default_configENS1_25transform_config_selectorImLb1EEEZNS1_14transform_implILb1ES3_S5_PmPlNS0_8identityIvEEEE10hipError_tT2_T3_mT4_P12ihipStream_tbEUlT_E_NS1_11comp_targetILNS1_3genE9ELNS1_11target_archE1100ELNS1_3gpuE3ELNS1_3repE0EEENS1_30default_config_static_selectorELNS0_4arch9wavefront6targetE0EEEvT1_
	.p2align	8
	.type	_ZN7rocprim17ROCPRIM_400000_NS6detail17trampoline_kernelINS0_14default_configENS1_25transform_config_selectorImLb1EEEZNS1_14transform_implILb1ES3_S5_PmPlNS0_8identityIvEEEE10hipError_tT2_T3_mT4_P12ihipStream_tbEUlT_E_NS1_11comp_targetILNS1_3genE9ELNS1_11target_archE1100ELNS1_3gpuE3ELNS1_3repE0EEENS1_30default_config_static_selectorELNS0_4arch9wavefront6targetE0EEEvT1_,@function
_ZN7rocprim17ROCPRIM_400000_NS6detail17trampoline_kernelINS0_14default_configENS1_25transform_config_selectorImLb1EEEZNS1_14transform_implILb1ES3_S5_PmPlNS0_8identityIvEEEE10hipError_tT2_T3_mT4_P12ihipStream_tbEUlT_E_NS1_11comp_targetILNS1_3genE9ELNS1_11target_archE1100ELNS1_3gpuE3ELNS1_3repE0EEENS1_30default_config_static_selectorELNS0_4arch9wavefront6targetE0EEEvT1_: ; @_ZN7rocprim17ROCPRIM_400000_NS6detail17trampoline_kernelINS0_14default_configENS1_25transform_config_selectorImLb1EEEZNS1_14transform_implILb1ES3_S5_PmPlNS0_8identityIvEEEE10hipError_tT2_T3_mT4_P12ihipStream_tbEUlT_E_NS1_11comp_targetILNS1_3genE9ELNS1_11target_archE1100ELNS1_3gpuE3ELNS1_3repE0EEENS1_30default_config_static_selectorELNS0_4arch9wavefront6targetE0EEEvT1_
; %bb.0:
	.section	.rodata,"a",@progbits
	.p2align	6, 0x0
	.amdhsa_kernel _ZN7rocprim17ROCPRIM_400000_NS6detail17trampoline_kernelINS0_14default_configENS1_25transform_config_selectorImLb1EEEZNS1_14transform_implILb1ES3_S5_PmPlNS0_8identityIvEEEE10hipError_tT2_T3_mT4_P12ihipStream_tbEUlT_E_NS1_11comp_targetILNS1_3genE9ELNS1_11target_archE1100ELNS1_3gpuE3ELNS1_3repE0EEENS1_30default_config_static_selectorELNS0_4arch9wavefront6targetE0EEEvT1_
		.amdhsa_group_segment_fixed_size 0
		.amdhsa_private_segment_fixed_size 0
		.amdhsa_kernarg_size 40
		.amdhsa_user_sgpr_count 2
		.amdhsa_user_sgpr_dispatch_ptr 0
		.amdhsa_user_sgpr_queue_ptr 0
		.amdhsa_user_sgpr_kernarg_segment_ptr 1
		.amdhsa_user_sgpr_dispatch_id 0
		.amdhsa_user_sgpr_private_segment_size 0
		.amdhsa_wavefront_size32 1
		.amdhsa_uses_dynamic_stack 0
		.amdhsa_enable_private_segment 0
		.amdhsa_system_sgpr_workgroup_id_x 1
		.amdhsa_system_sgpr_workgroup_id_y 0
		.amdhsa_system_sgpr_workgroup_id_z 0
		.amdhsa_system_sgpr_workgroup_info 0
		.amdhsa_system_vgpr_workitem_id 0
		.amdhsa_next_free_vgpr 1
		.amdhsa_next_free_sgpr 1
		.amdhsa_reserve_vcc 0
		.amdhsa_float_round_mode_32 0
		.amdhsa_float_round_mode_16_64 0
		.amdhsa_float_denorm_mode_32 3
		.amdhsa_float_denorm_mode_16_64 3
		.amdhsa_fp16_overflow 0
		.amdhsa_workgroup_processor_mode 1
		.amdhsa_memory_ordered 1
		.amdhsa_forward_progress 1
		.amdhsa_inst_pref_size 0
		.amdhsa_round_robin_scheduling 0
		.amdhsa_exception_fp_ieee_invalid_op 0
		.amdhsa_exception_fp_denorm_src 0
		.amdhsa_exception_fp_ieee_div_zero 0
		.amdhsa_exception_fp_ieee_overflow 0
		.amdhsa_exception_fp_ieee_underflow 0
		.amdhsa_exception_fp_ieee_inexact 0
		.amdhsa_exception_int_div_zero 0
	.end_amdhsa_kernel
	.section	.text._ZN7rocprim17ROCPRIM_400000_NS6detail17trampoline_kernelINS0_14default_configENS1_25transform_config_selectorImLb1EEEZNS1_14transform_implILb1ES3_S5_PmPlNS0_8identityIvEEEE10hipError_tT2_T3_mT4_P12ihipStream_tbEUlT_E_NS1_11comp_targetILNS1_3genE9ELNS1_11target_archE1100ELNS1_3gpuE3ELNS1_3repE0EEENS1_30default_config_static_selectorELNS0_4arch9wavefront6targetE0EEEvT1_,"axG",@progbits,_ZN7rocprim17ROCPRIM_400000_NS6detail17trampoline_kernelINS0_14default_configENS1_25transform_config_selectorImLb1EEEZNS1_14transform_implILb1ES3_S5_PmPlNS0_8identityIvEEEE10hipError_tT2_T3_mT4_P12ihipStream_tbEUlT_E_NS1_11comp_targetILNS1_3genE9ELNS1_11target_archE1100ELNS1_3gpuE3ELNS1_3repE0EEENS1_30default_config_static_selectorELNS0_4arch9wavefront6targetE0EEEvT1_,comdat
.Lfunc_end18:
	.size	_ZN7rocprim17ROCPRIM_400000_NS6detail17trampoline_kernelINS0_14default_configENS1_25transform_config_selectorImLb1EEEZNS1_14transform_implILb1ES3_S5_PmPlNS0_8identityIvEEEE10hipError_tT2_T3_mT4_P12ihipStream_tbEUlT_E_NS1_11comp_targetILNS1_3genE9ELNS1_11target_archE1100ELNS1_3gpuE3ELNS1_3repE0EEENS1_30default_config_static_selectorELNS0_4arch9wavefront6targetE0EEEvT1_, .Lfunc_end18-_ZN7rocprim17ROCPRIM_400000_NS6detail17trampoline_kernelINS0_14default_configENS1_25transform_config_selectorImLb1EEEZNS1_14transform_implILb1ES3_S5_PmPlNS0_8identityIvEEEE10hipError_tT2_T3_mT4_P12ihipStream_tbEUlT_E_NS1_11comp_targetILNS1_3genE9ELNS1_11target_archE1100ELNS1_3gpuE3ELNS1_3repE0EEENS1_30default_config_static_selectorELNS0_4arch9wavefront6targetE0EEEvT1_
                                        ; -- End function
	.set _ZN7rocprim17ROCPRIM_400000_NS6detail17trampoline_kernelINS0_14default_configENS1_25transform_config_selectorImLb1EEEZNS1_14transform_implILb1ES3_S5_PmPlNS0_8identityIvEEEE10hipError_tT2_T3_mT4_P12ihipStream_tbEUlT_E_NS1_11comp_targetILNS1_3genE9ELNS1_11target_archE1100ELNS1_3gpuE3ELNS1_3repE0EEENS1_30default_config_static_selectorELNS0_4arch9wavefront6targetE0EEEvT1_.num_vgpr, 0
	.set _ZN7rocprim17ROCPRIM_400000_NS6detail17trampoline_kernelINS0_14default_configENS1_25transform_config_selectorImLb1EEEZNS1_14transform_implILb1ES3_S5_PmPlNS0_8identityIvEEEE10hipError_tT2_T3_mT4_P12ihipStream_tbEUlT_E_NS1_11comp_targetILNS1_3genE9ELNS1_11target_archE1100ELNS1_3gpuE3ELNS1_3repE0EEENS1_30default_config_static_selectorELNS0_4arch9wavefront6targetE0EEEvT1_.num_agpr, 0
	.set _ZN7rocprim17ROCPRIM_400000_NS6detail17trampoline_kernelINS0_14default_configENS1_25transform_config_selectorImLb1EEEZNS1_14transform_implILb1ES3_S5_PmPlNS0_8identityIvEEEE10hipError_tT2_T3_mT4_P12ihipStream_tbEUlT_E_NS1_11comp_targetILNS1_3genE9ELNS1_11target_archE1100ELNS1_3gpuE3ELNS1_3repE0EEENS1_30default_config_static_selectorELNS0_4arch9wavefront6targetE0EEEvT1_.numbered_sgpr, 0
	.set _ZN7rocprim17ROCPRIM_400000_NS6detail17trampoline_kernelINS0_14default_configENS1_25transform_config_selectorImLb1EEEZNS1_14transform_implILb1ES3_S5_PmPlNS0_8identityIvEEEE10hipError_tT2_T3_mT4_P12ihipStream_tbEUlT_E_NS1_11comp_targetILNS1_3genE9ELNS1_11target_archE1100ELNS1_3gpuE3ELNS1_3repE0EEENS1_30default_config_static_selectorELNS0_4arch9wavefront6targetE0EEEvT1_.num_named_barrier, 0
	.set _ZN7rocprim17ROCPRIM_400000_NS6detail17trampoline_kernelINS0_14default_configENS1_25transform_config_selectorImLb1EEEZNS1_14transform_implILb1ES3_S5_PmPlNS0_8identityIvEEEE10hipError_tT2_T3_mT4_P12ihipStream_tbEUlT_E_NS1_11comp_targetILNS1_3genE9ELNS1_11target_archE1100ELNS1_3gpuE3ELNS1_3repE0EEENS1_30default_config_static_selectorELNS0_4arch9wavefront6targetE0EEEvT1_.private_seg_size, 0
	.set _ZN7rocprim17ROCPRIM_400000_NS6detail17trampoline_kernelINS0_14default_configENS1_25transform_config_selectorImLb1EEEZNS1_14transform_implILb1ES3_S5_PmPlNS0_8identityIvEEEE10hipError_tT2_T3_mT4_P12ihipStream_tbEUlT_E_NS1_11comp_targetILNS1_3genE9ELNS1_11target_archE1100ELNS1_3gpuE3ELNS1_3repE0EEENS1_30default_config_static_selectorELNS0_4arch9wavefront6targetE0EEEvT1_.uses_vcc, 0
	.set _ZN7rocprim17ROCPRIM_400000_NS6detail17trampoline_kernelINS0_14default_configENS1_25transform_config_selectorImLb1EEEZNS1_14transform_implILb1ES3_S5_PmPlNS0_8identityIvEEEE10hipError_tT2_T3_mT4_P12ihipStream_tbEUlT_E_NS1_11comp_targetILNS1_3genE9ELNS1_11target_archE1100ELNS1_3gpuE3ELNS1_3repE0EEENS1_30default_config_static_selectorELNS0_4arch9wavefront6targetE0EEEvT1_.uses_flat_scratch, 0
	.set _ZN7rocprim17ROCPRIM_400000_NS6detail17trampoline_kernelINS0_14default_configENS1_25transform_config_selectorImLb1EEEZNS1_14transform_implILb1ES3_S5_PmPlNS0_8identityIvEEEE10hipError_tT2_T3_mT4_P12ihipStream_tbEUlT_E_NS1_11comp_targetILNS1_3genE9ELNS1_11target_archE1100ELNS1_3gpuE3ELNS1_3repE0EEENS1_30default_config_static_selectorELNS0_4arch9wavefront6targetE0EEEvT1_.has_dyn_sized_stack, 0
	.set _ZN7rocprim17ROCPRIM_400000_NS6detail17trampoline_kernelINS0_14default_configENS1_25transform_config_selectorImLb1EEEZNS1_14transform_implILb1ES3_S5_PmPlNS0_8identityIvEEEE10hipError_tT2_T3_mT4_P12ihipStream_tbEUlT_E_NS1_11comp_targetILNS1_3genE9ELNS1_11target_archE1100ELNS1_3gpuE3ELNS1_3repE0EEENS1_30default_config_static_selectorELNS0_4arch9wavefront6targetE0EEEvT1_.has_recursion, 0
	.set _ZN7rocprim17ROCPRIM_400000_NS6detail17trampoline_kernelINS0_14default_configENS1_25transform_config_selectorImLb1EEEZNS1_14transform_implILb1ES3_S5_PmPlNS0_8identityIvEEEE10hipError_tT2_T3_mT4_P12ihipStream_tbEUlT_E_NS1_11comp_targetILNS1_3genE9ELNS1_11target_archE1100ELNS1_3gpuE3ELNS1_3repE0EEENS1_30default_config_static_selectorELNS0_4arch9wavefront6targetE0EEEvT1_.has_indirect_call, 0
	.section	.AMDGPU.csdata,"",@progbits
; Kernel info:
; codeLenInByte = 0
; TotalNumSgprs: 0
; NumVgprs: 0
; ScratchSize: 0
; MemoryBound: 0
; FloatMode: 240
; IeeeMode: 1
; LDSByteSize: 0 bytes/workgroup (compile time only)
; SGPRBlocks: 0
; VGPRBlocks: 0
; NumSGPRsForWavesPerEU: 1
; NumVGPRsForWavesPerEU: 1
; Occupancy: 16
; WaveLimiterHint : 0
; COMPUTE_PGM_RSRC2:SCRATCH_EN: 0
; COMPUTE_PGM_RSRC2:USER_SGPR: 2
; COMPUTE_PGM_RSRC2:TRAP_HANDLER: 0
; COMPUTE_PGM_RSRC2:TGID_X_EN: 1
; COMPUTE_PGM_RSRC2:TGID_Y_EN: 0
; COMPUTE_PGM_RSRC2:TGID_Z_EN: 0
; COMPUTE_PGM_RSRC2:TIDIG_COMP_CNT: 0
	.section	.text._ZN7rocprim17ROCPRIM_400000_NS6detail17trampoline_kernelINS0_14default_configENS1_25transform_config_selectorImLb1EEEZNS1_14transform_implILb1ES3_S5_PmPlNS0_8identityIvEEEE10hipError_tT2_T3_mT4_P12ihipStream_tbEUlT_E_NS1_11comp_targetILNS1_3genE8ELNS1_11target_archE1030ELNS1_3gpuE2ELNS1_3repE0EEENS1_30default_config_static_selectorELNS0_4arch9wavefront6targetE0EEEvT1_,"axG",@progbits,_ZN7rocprim17ROCPRIM_400000_NS6detail17trampoline_kernelINS0_14default_configENS1_25transform_config_selectorImLb1EEEZNS1_14transform_implILb1ES3_S5_PmPlNS0_8identityIvEEEE10hipError_tT2_T3_mT4_P12ihipStream_tbEUlT_E_NS1_11comp_targetILNS1_3genE8ELNS1_11target_archE1030ELNS1_3gpuE2ELNS1_3repE0EEENS1_30default_config_static_selectorELNS0_4arch9wavefront6targetE0EEEvT1_,comdat
	.protected	_ZN7rocprim17ROCPRIM_400000_NS6detail17trampoline_kernelINS0_14default_configENS1_25transform_config_selectorImLb1EEEZNS1_14transform_implILb1ES3_S5_PmPlNS0_8identityIvEEEE10hipError_tT2_T3_mT4_P12ihipStream_tbEUlT_E_NS1_11comp_targetILNS1_3genE8ELNS1_11target_archE1030ELNS1_3gpuE2ELNS1_3repE0EEENS1_30default_config_static_selectorELNS0_4arch9wavefront6targetE0EEEvT1_ ; -- Begin function _ZN7rocprim17ROCPRIM_400000_NS6detail17trampoline_kernelINS0_14default_configENS1_25transform_config_selectorImLb1EEEZNS1_14transform_implILb1ES3_S5_PmPlNS0_8identityIvEEEE10hipError_tT2_T3_mT4_P12ihipStream_tbEUlT_E_NS1_11comp_targetILNS1_3genE8ELNS1_11target_archE1030ELNS1_3gpuE2ELNS1_3repE0EEENS1_30default_config_static_selectorELNS0_4arch9wavefront6targetE0EEEvT1_
	.globl	_ZN7rocprim17ROCPRIM_400000_NS6detail17trampoline_kernelINS0_14default_configENS1_25transform_config_selectorImLb1EEEZNS1_14transform_implILb1ES3_S5_PmPlNS0_8identityIvEEEE10hipError_tT2_T3_mT4_P12ihipStream_tbEUlT_E_NS1_11comp_targetILNS1_3genE8ELNS1_11target_archE1030ELNS1_3gpuE2ELNS1_3repE0EEENS1_30default_config_static_selectorELNS0_4arch9wavefront6targetE0EEEvT1_
	.p2align	8
	.type	_ZN7rocprim17ROCPRIM_400000_NS6detail17trampoline_kernelINS0_14default_configENS1_25transform_config_selectorImLb1EEEZNS1_14transform_implILb1ES3_S5_PmPlNS0_8identityIvEEEE10hipError_tT2_T3_mT4_P12ihipStream_tbEUlT_E_NS1_11comp_targetILNS1_3genE8ELNS1_11target_archE1030ELNS1_3gpuE2ELNS1_3repE0EEENS1_30default_config_static_selectorELNS0_4arch9wavefront6targetE0EEEvT1_,@function
_ZN7rocprim17ROCPRIM_400000_NS6detail17trampoline_kernelINS0_14default_configENS1_25transform_config_selectorImLb1EEEZNS1_14transform_implILb1ES3_S5_PmPlNS0_8identityIvEEEE10hipError_tT2_T3_mT4_P12ihipStream_tbEUlT_E_NS1_11comp_targetILNS1_3genE8ELNS1_11target_archE1030ELNS1_3gpuE2ELNS1_3repE0EEENS1_30default_config_static_selectorELNS0_4arch9wavefront6targetE0EEEvT1_: ; @_ZN7rocprim17ROCPRIM_400000_NS6detail17trampoline_kernelINS0_14default_configENS1_25transform_config_selectorImLb1EEEZNS1_14transform_implILb1ES3_S5_PmPlNS0_8identityIvEEEE10hipError_tT2_T3_mT4_P12ihipStream_tbEUlT_E_NS1_11comp_targetILNS1_3genE8ELNS1_11target_archE1030ELNS1_3gpuE2ELNS1_3repE0EEENS1_30default_config_static_selectorELNS0_4arch9wavefront6targetE0EEEvT1_
; %bb.0:
	.section	.rodata,"a",@progbits
	.p2align	6, 0x0
	.amdhsa_kernel _ZN7rocprim17ROCPRIM_400000_NS6detail17trampoline_kernelINS0_14default_configENS1_25transform_config_selectorImLb1EEEZNS1_14transform_implILb1ES3_S5_PmPlNS0_8identityIvEEEE10hipError_tT2_T3_mT4_P12ihipStream_tbEUlT_E_NS1_11comp_targetILNS1_3genE8ELNS1_11target_archE1030ELNS1_3gpuE2ELNS1_3repE0EEENS1_30default_config_static_selectorELNS0_4arch9wavefront6targetE0EEEvT1_
		.amdhsa_group_segment_fixed_size 0
		.amdhsa_private_segment_fixed_size 0
		.amdhsa_kernarg_size 40
		.amdhsa_user_sgpr_count 2
		.amdhsa_user_sgpr_dispatch_ptr 0
		.amdhsa_user_sgpr_queue_ptr 0
		.amdhsa_user_sgpr_kernarg_segment_ptr 1
		.amdhsa_user_sgpr_dispatch_id 0
		.amdhsa_user_sgpr_private_segment_size 0
		.amdhsa_wavefront_size32 1
		.amdhsa_uses_dynamic_stack 0
		.amdhsa_enable_private_segment 0
		.amdhsa_system_sgpr_workgroup_id_x 1
		.amdhsa_system_sgpr_workgroup_id_y 0
		.amdhsa_system_sgpr_workgroup_id_z 0
		.amdhsa_system_sgpr_workgroup_info 0
		.amdhsa_system_vgpr_workitem_id 0
		.amdhsa_next_free_vgpr 1
		.amdhsa_next_free_sgpr 1
		.amdhsa_reserve_vcc 0
		.amdhsa_float_round_mode_32 0
		.amdhsa_float_round_mode_16_64 0
		.amdhsa_float_denorm_mode_32 3
		.amdhsa_float_denorm_mode_16_64 3
		.amdhsa_fp16_overflow 0
		.amdhsa_workgroup_processor_mode 1
		.amdhsa_memory_ordered 1
		.amdhsa_forward_progress 1
		.amdhsa_inst_pref_size 0
		.amdhsa_round_robin_scheduling 0
		.amdhsa_exception_fp_ieee_invalid_op 0
		.amdhsa_exception_fp_denorm_src 0
		.amdhsa_exception_fp_ieee_div_zero 0
		.amdhsa_exception_fp_ieee_overflow 0
		.amdhsa_exception_fp_ieee_underflow 0
		.amdhsa_exception_fp_ieee_inexact 0
		.amdhsa_exception_int_div_zero 0
	.end_amdhsa_kernel
	.section	.text._ZN7rocprim17ROCPRIM_400000_NS6detail17trampoline_kernelINS0_14default_configENS1_25transform_config_selectorImLb1EEEZNS1_14transform_implILb1ES3_S5_PmPlNS0_8identityIvEEEE10hipError_tT2_T3_mT4_P12ihipStream_tbEUlT_E_NS1_11comp_targetILNS1_3genE8ELNS1_11target_archE1030ELNS1_3gpuE2ELNS1_3repE0EEENS1_30default_config_static_selectorELNS0_4arch9wavefront6targetE0EEEvT1_,"axG",@progbits,_ZN7rocprim17ROCPRIM_400000_NS6detail17trampoline_kernelINS0_14default_configENS1_25transform_config_selectorImLb1EEEZNS1_14transform_implILb1ES3_S5_PmPlNS0_8identityIvEEEE10hipError_tT2_T3_mT4_P12ihipStream_tbEUlT_E_NS1_11comp_targetILNS1_3genE8ELNS1_11target_archE1030ELNS1_3gpuE2ELNS1_3repE0EEENS1_30default_config_static_selectorELNS0_4arch9wavefront6targetE0EEEvT1_,comdat
.Lfunc_end19:
	.size	_ZN7rocprim17ROCPRIM_400000_NS6detail17trampoline_kernelINS0_14default_configENS1_25transform_config_selectorImLb1EEEZNS1_14transform_implILb1ES3_S5_PmPlNS0_8identityIvEEEE10hipError_tT2_T3_mT4_P12ihipStream_tbEUlT_E_NS1_11comp_targetILNS1_3genE8ELNS1_11target_archE1030ELNS1_3gpuE2ELNS1_3repE0EEENS1_30default_config_static_selectorELNS0_4arch9wavefront6targetE0EEEvT1_, .Lfunc_end19-_ZN7rocprim17ROCPRIM_400000_NS6detail17trampoline_kernelINS0_14default_configENS1_25transform_config_selectorImLb1EEEZNS1_14transform_implILb1ES3_S5_PmPlNS0_8identityIvEEEE10hipError_tT2_T3_mT4_P12ihipStream_tbEUlT_E_NS1_11comp_targetILNS1_3genE8ELNS1_11target_archE1030ELNS1_3gpuE2ELNS1_3repE0EEENS1_30default_config_static_selectorELNS0_4arch9wavefront6targetE0EEEvT1_
                                        ; -- End function
	.set _ZN7rocprim17ROCPRIM_400000_NS6detail17trampoline_kernelINS0_14default_configENS1_25transform_config_selectorImLb1EEEZNS1_14transform_implILb1ES3_S5_PmPlNS0_8identityIvEEEE10hipError_tT2_T3_mT4_P12ihipStream_tbEUlT_E_NS1_11comp_targetILNS1_3genE8ELNS1_11target_archE1030ELNS1_3gpuE2ELNS1_3repE0EEENS1_30default_config_static_selectorELNS0_4arch9wavefront6targetE0EEEvT1_.num_vgpr, 0
	.set _ZN7rocprim17ROCPRIM_400000_NS6detail17trampoline_kernelINS0_14default_configENS1_25transform_config_selectorImLb1EEEZNS1_14transform_implILb1ES3_S5_PmPlNS0_8identityIvEEEE10hipError_tT2_T3_mT4_P12ihipStream_tbEUlT_E_NS1_11comp_targetILNS1_3genE8ELNS1_11target_archE1030ELNS1_3gpuE2ELNS1_3repE0EEENS1_30default_config_static_selectorELNS0_4arch9wavefront6targetE0EEEvT1_.num_agpr, 0
	.set _ZN7rocprim17ROCPRIM_400000_NS6detail17trampoline_kernelINS0_14default_configENS1_25transform_config_selectorImLb1EEEZNS1_14transform_implILb1ES3_S5_PmPlNS0_8identityIvEEEE10hipError_tT2_T3_mT4_P12ihipStream_tbEUlT_E_NS1_11comp_targetILNS1_3genE8ELNS1_11target_archE1030ELNS1_3gpuE2ELNS1_3repE0EEENS1_30default_config_static_selectorELNS0_4arch9wavefront6targetE0EEEvT1_.numbered_sgpr, 0
	.set _ZN7rocprim17ROCPRIM_400000_NS6detail17trampoline_kernelINS0_14default_configENS1_25transform_config_selectorImLb1EEEZNS1_14transform_implILb1ES3_S5_PmPlNS0_8identityIvEEEE10hipError_tT2_T3_mT4_P12ihipStream_tbEUlT_E_NS1_11comp_targetILNS1_3genE8ELNS1_11target_archE1030ELNS1_3gpuE2ELNS1_3repE0EEENS1_30default_config_static_selectorELNS0_4arch9wavefront6targetE0EEEvT1_.num_named_barrier, 0
	.set _ZN7rocprim17ROCPRIM_400000_NS6detail17trampoline_kernelINS0_14default_configENS1_25transform_config_selectorImLb1EEEZNS1_14transform_implILb1ES3_S5_PmPlNS0_8identityIvEEEE10hipError_tT2_T3_mT4_P12ihipStream_tbEUlT_E_NS1_11comp_targetILNS1_3genE8ELNS1_11target_archE1030ELNS1_3gpuE2ELNS1_3repE0EEENS1_30default_config_static_selectorELNS0_4arch9wavefront6targetE0EEEvT1_.private_seg_size, 0
	.set _ZN7rocprim17ROCPRIM_400000_NS6detail17trampoline_kernelINS0_14default_configENS1_25transform_config_selectorImLb1EEEZNS1_14transform_implILb1ES3_S5_PmPlNS0_8identityIvEEEE10hipError_tT2_T3_mT4_P12ihipStream_tbEUlT_E_NS1_11comp_targetILNS1_3genE8ELNS1_11target_archE1030ELNS1_3gpuE2ELNS1_3repE0EEENS1_30default_config_static_selectorELNS0_4arch9wavefront6targetE0EEEvT1_.uses_vcc, 0
	.set _ZN7rocprim17ROCPRIM_400000_NS6detail17trampoline_kernelINS0_14default_configENS1_25transform_config_selectorImLb1EEEZNS1_14transform_implILb1ES3_S5_PmPlNS0_8identityIvEEEE10hipError_tT2_T3_mT4_P12ihipStream_tbEUlT_E_NS1_11comp_targetILNS1_3genE8ELNS1_11target_archE1030ELNS1_3gpuE2ELNS1_3repE0EEENS1_30default_config_static_selectorELNS0_4arch9wavefront6targetE0EEEvT1_.uses_flat_scratch, 0
	.set _ZN7rocprim17ROCPRIM_400000_NS6detail17trampoline_kernelINS0_14default_configENS1_25transform_config_selectorImLb1EEEZNS1_14transform_implILb1ES3_S5_PmPlNS0_8identityIvEEEE10hipError_tT2_T3_mT4_P12ihipStream_tbEUlT_E_NS1_11comp_targetILNS1_3genE8ELNS1_11target_archE1030ELNS1_3gpuE2ELNS1_3repE0EEENS1_30default_config_static_selectorELNS0_4arch9wavefront6targetE0EEEvT1_.has_dyn_sized_stack, 0
	.set _ZN7rocprim17ROCPRIM_400000_NS6detail17trampoline_kernelINS0_14default_configENS1_25transform_config_selectorImLb1EEEZNS1_14transform_implILb1ES3_S5_PmPlNS0_8identityIvEEEE10hipError_tT2_T3_mT4_P12ihipStream_tbEUlT_E_NS1_11comp_targetILNS1_3genE8ELNS1_11target_archE1030ELNS1_3gpuE2ELNS1_3repE0EEENS1_30default_config_static_selectorELNS0_4arch9wavefront6targetE0EEEvT1_.has_recursion, 0
	.set _ZN7rocprim17ROCPRIM_400000_NS6detail17trampoline_kernelINS0_14default_configENS1_25transform_config_selectorImLb1EEEZNS1_14transform_implILb1ES3_S5_PmPlNS0_8identityIvEEEE10hipError_tT2_T3_mT4_P12ihipStream_tbEUlT_E_NS1_11comp_targetILNS1_3genE8ELNS1_11target_archE1030ELNS1_3gpuE2ELNS1_3repE0EEENS1_30default_config_static_selectorELNS0_4arch9wavefront6targetE0EEEvT1_.has_indirect_call, 0
	.section	.AMDGPU.csdata,"",@progbits
; Kernel info:
; codeLenInByte = 0
; TotalNumSgprs: 0
; NumVgprs: 0
; ScratchSize: 0
; MemoryBound: 0
; FloatMode: 240
; IeeeMode: 1
; LDSByteSize: 0 bytes/workgroup (compile time only)
; SGPRBlocks: 0
; VGPRBlocks: 0
; NumSGPRsForWavesPerEU: 1
; NumVGPRsForWavesPerEU: 1
; Occupancy: 16
; WaveLimiterHint : 0
; COMPUTE_PGM_RSRC2:SCRATCH_EN: 0
; COMPUTE_PGM_RSRC2:USER_SGPR: 2
; COMPUTE_PGM_RSRC2:TRAP_HANDLER: 0
; COMPUTE_PGM_RSRC2:TGID_X_EN: 1
; COMPUTE_PGM_RSRC2:TGID_Y_EN: 0
; COMPUTE_PGM_RSRC2:TGID_Z_EN: 0
; COMPUTE_PGM_RSRC2:TIDIG_COMP_CNT: 0
	.section	.text._ZN7rocprim17ROCPRIM_400000_NS6detail31init_lookback_scan_state_kernelINS1_19lookback_scan_stateImLb1ELb1EEENS1_16block_id_wrapperIjLb1EEEEEvT_jT0_jPNS7_10value_typeE,"axG",@progbits,_ZN7rocprim17ROCPRIM_400000_NS6detail31init_lookback_scan_state_kernelINS1_19lookback_scan_stateImLb1ELb1EEENS1_16block_id_wrapperIjLb1EEEEEvT_jT0_jPNS7_10value_typeE,comdat
	.protected	_ZN7rocprim17ROCPRIM_400000_NS6detail31init_lookback_scan_state_kernelINS1_19lookback_scan_stateImLb1ELb1EEENS1_16block_id_wrapperIjLb1EEEEEvT_jT0_jPNS7_10value_typeE ; -- Begin function _ZN7rocprim17ROCPRIM_400000_NS6detail31init_lookback_scan_state_kernelINS1_19lookback_scan_stateImLb1ELb1EEENS1_16block_id_wrapperIjLb1EEEEEvT_jT0_jPNS7_10value_typeE
	.globl	_ZN7rocprim17ROCPRIM_400000_NS6detail31init_lookback_scan_state_kernelINS1_19lookback_scan_stateImLb1ELb1EEENS1_16block_id_wrapperIjLb1EEEEEvT_jT0_jPNS7_10value_typeE
	.p2align	8
	.type	_ZN7rocprim17ROCPRIM_400000_NS6detail31init_lookback_scan_state_kernelINS1_19lookback_scan_stateImLb1ELb1EEENS1_16block_id_wrapperIjLb1EEEEEvT_jT0_jPNS7_10value_typeE,@function
_ZN7rocprim17ROCPRIM_400000_NS6detail31init_lookback_scan_state_kernelINS1_19lookback_scan_stateImLb1ELb1EEENS1_16block_id_wrapperIjLb1EEEEEvT_jT0_jPNS7_10value_typeE: ; @_ZN7rocprim17ROCPRIM_400000_NS6detail31init_lookback_scan_state_kernelINS1_19lookback_scan_stateImLb1ELb1EEENS1_16block_id_wrapperIjLb1EEEEEvT_jT0_jPNS7_10value_typeE
; %bb.0:
	s_clause 0x2
	s_load_b32 s7, s[0:1], 0x34
	s_load_b64 s[2:3], s[0:1], 0x20
	s_load_b96 s[4:6], s[0:1], 0x0
	s_wait_kmcnt 0x0
	s_and_b32 s7, s7, 0xffff
	s_cmp_eq_u64 s[2:3], 0
	v_mad_co_u64_u32 v[0:1], null, ttmp9, s7, v[0:1]
	s_cbranch_scc1 .LBB20_10
; %bb.1:
	s_load_b32 s8, s[0:1], 0x18
	s_mov_b32 s9, 0
	s_wait_kmcnt 0x0
	s_cmp_lt_u32 s8, s6
	s_cselect_b32 s7, s8, 0
	s_wait_alu 0xfffe
	v_cmp_eq_u32_e32 vcc_lo, s7, v0
	s_and_saveexec_b32 s7, vcc_lo
	s_cbranch_execz .LBB20_9
; %bb.2:
	s_add_co_i32 s8, s8, 32
	s_mov_b32 s10, exec_lo
	s_lshl_b64 s[8:9], s[8:9], 4
	v_mov_b32_e32 v5, 0
	s_add_nc_u64 s[8:9], s[4:5], s[8:9]
	s_delay_alu instid0(SALU_CYCLE_1) | instskip(SKIP_2) | instid1(VALU_DEP_1)
	v_dual_mov_b32 v1, s8 :: v_dual_mov_b32 v2, s9
	;;#ASMSTART
	global_load_b128 v[1:4], v[1:2] off scope:SCOPE_DEV	
s_wait_loadcnt 0x0
	;;#ASMEND
	v_and_b32_e32 v4, 0xff, v3
	v_cmpx_eq_u64_e32 0, v[4:5]
	s_cbranch_execz .LBB20_8
; %bb.3:
	v_dual_mov_b32 v6, s8 :: v_dual_mov_b32 v7, s9
	s_mov_b32 s9, 1
	s_mov_b32 s8, 0
.LBB20_4:                               ; =>This Loop Header: Depth=1
                                        ;     Child Loop BB20_5 Depth 2
	s_wait_alu 0xfffe
	s_mov_b32 s11, s9
.LBB20_5:                               ;   Parent Loop BB20_4 Depth=1
                                        ; =>  This Inner Loop Header: Depth=2
	s_delay_alu instid0(SALU_CYCLE_1)
	s_add_co_i32 s11, s11, -1
	s_sleep 1
	s_cmp_eq_u32 s11, 0
	s_cbranch_scc0 .LBB20_5
; %bb.6:                                ;   in Loop: Header=BB20_4 Depth=1
	;;#ASMSTART
	global_load_b128 v[1:4], v[6:7] off scope:SCOPE_DEV	
s_wait_loadcnt 0x0
	;;#ASMEND
	v_and_b32_e32 v4, 0xff, v3
	s_cmp_lt_u32 s9, 32
	s_cselect_b32 s11, -1, 0
	s_delay_alu instid0(SALU_CYCLE_1) | instskip(NEXT) | instid1(VALU_DEP_1)
	s_cmp_lg_u32 s11, 0
	v_cmp_ne_u64_e32 vcc_lo, 0, v[4:5]
	s_add_co_ci_u32 s9, s9, 0
	s_or_b32 s8, vcc_lo, s8
	s_wait_alu 0xfffe
	s_and_not1_b32 exec_lo, exec_lo, s8
	s_cbranch_execnz .LBB20_4
; %bb.7:
	s_or_b32 exec_lo, exec_lo, s8
.LBB20_8:
	s_delay_alu instid0(SALU_CYCLE_1)
	s_or_b32 exec_lo, exec_lo, s10
	v_mov_b32_e32 v3, 0
	global_store_b64 v3, v[1:2], s[2:3]
.LBB20_9:
	s_wait_alu 0xfffe
	s_or_b32 exec_lo, exec_lo, s7
.LBB20_10:
	s_delay_alu instid0(SALU_CYCLE_1)
	s_mov_b32 s2, exec_lo
	v_cmpx_eq_u32_e32 0, v0
	s_cbranch_execz .LBB20_12
; %bb.11:
	s_load_b64 s[0:1], s[0:1], 0x10
	v_mov_b32_e32 v1, 0
	s_wait_kmcnt 0x0
	global_store_b32 v1, v1, s[0:1]
.LBB20_12:
	s_or_b32 exec_lo, exec_lo, s2
	s_delay_alu instid0(SALU_CYCLE_1)
	s_mov_b32 s0, exec_lo
	v_cmpx_gt_u32_e64 s6, v0
	s_cbranch_execz .LBB20_14
; %bb.13:
	v_dual_mov_b32 v2, 0 :: v_dual_add_nc_u32 v1, 32, v0
	s_delay_alu instid0(VALU_DEP_1) | instskip(SKIP_2) | instid1(VALU_DEP_3)
	v_lshlrev_b64_e32 v[4:5], 4, v[1:2]
	v_mov_b32_e32 v1, v2
	v_mov_b32_e32 v3, v2
	v_add_co_u32 v6, vcc_lo, s4, v4
	s_delay_alu instid0(VALU_DEP_1)
	v_add_co_ci_u32_e64 v7, null, s5, v5, vcc_lo
	v_mov_b32_e32 v4, v2
	global_store_b128 v[6:7], v[1:4], off
.LBB20_14:
	s_wait_alu 0xfffe
	s_or_b32 exec_lo, exec_lo, s0
	s_delay_alu instid0(SALU_CYCLE_1)
	s_mov_b32 s0, exec_lo
	v_cmpx_gt_u32_e32 32, v0
	s_cbranch_execz .LBB20_16
; %bb.15:
	v_dual_mov_b32 v1, 0 :: v_dual_mov_b32 v2, 0xff
	s_delay_alu instid0(VALU_DEP_1) | instskip(SKIP_1) | instid1(VALU_DEP_2)
	v_lshlrev_b64_e32 v[3:4], 4, v[0:1]
	v_mov_b32_e32 v0, v1
	v_add_co_u32 v5, vcc_lo, s4, v3
	s_wait_alu 0xfffd
	s_delay_alu instid0(VALU_DEP_3)
	v_add_co_ci_u32_e64 v6, null, s5, v4, vcc_lo
	v_mov_b32_e32 v3, v1
	global_store_b128 v[5:6], v[0:3], off
.LBB20_16:
	s_endpgm
	.section	.rodata,"a",@progbits
	.p2align	6, 0x0
	.amdhsa_kernel _ZN7rocprim17ROCPRIM_400000_NS6detail31init_lookback_scan_state_kernelINS1_19lookback_scan_stateImLb1ELb1EEENS1_16block_id_wrapperIjLb1EEEEEvT_jT0_jPNS7_10value_typeE
		.amdhsa_group_segment_fixed_size 0
		.amdhsa_private_segment_fixed_size 0
		.amdhsa_kernarg_size 296
		.amdhsa_user_sgpr_count 2
		.amdhsa_user_sgpr_dispatch_ptr 0
		.amdhsa_user_sgpr_queue_ptr 0
		.amdhsa_user_sgpr_kernarg_segment_ptr 1
		.amdhsa_user_sgpr_dispatch_id 0
		.amdhsa_user_sgpr_private_segment_size 0
		.amdhsa_wavefront_size32 1
		.amdhsa_uses_dynamic_stack 0
		.amdhsa_enable_private_segment 0
		.amdhsa_system_sgpr_workgroup_id_x 1
		.amdhsa_system_sgpr_workgroup_id_y 0
		.amdhsa_system_sgpr_workgroup_id_z 0
		.amdhsa_system_sgpr_workgroup_info 0
		.amdhsa_system_vgpr_workitem_id 0
		.amdhsa_next_free_vgpr 8
		.amdhsa_next_free_sgpr 12
		.amdhsa_reserve_vcc 1
		.amdhsa_float_round_mode_32 0
		.amdhsa_float_round_mode_16_64 0
		.amdhsa_float_denorm_mode_32 3
		.amdhsa_float_denorm_mode_16_64 3
		.amdhsa_fp16_overflow 0
		.amdhsa_workgroup_processor_mode 1
		.amdhsa_memory_ordered 1
		.amdhsa_forward_progress 1
		.amdhsa_inst_pref_size 4
		.amdhsa_round_robin_scheduling 0
		.amdhsa_exception_fp_ieee_invalid_op 0
		.amdhsa_exception_fp_denorm_src 0
		.amdhsa_exception_fp_ieee_div_zero 0
		.amdhsa_exception_fp_ieee_overflow 0
		.amdhsa_exception_fp_ieee_underflow 0
		.amdhsa_exception_fp_ieee_inexact 0
		.amdhsa_exception_int_div_zero 0
	.end_amdhsa_kernel
	.section	.text._ZN7rocprim17ROCPRIM_400000_NS6detail31init_lookback_scan_state_kernelINS1_19lookback_scan_stateImLb1ELb1EEENS1_16block_id_wrapperIjLb1EEEEEvT_jT0_jPNS7_10value_typeE,"axG",@progbits,_ZN7rocprim17ROCPRIM_400000_NS6detail31init_lookback_scan_state_kernelINS1_19lookback_scan_stateImLb1ELb1EEENS1_16block_id_wrapperIjLb1EEEEEvT_jT0_jPNS7_10value_typeE,comdat
.Lfunc_end20:
	.size	_ZN7rocprim17ROCPRIM_400000_NS6detail31init_lookback_scan_state_kernelINS1_19lookback_scan_stateImLb1ELb1EEENS1_16block_id_wrapperIjLb1EEEEEvT_jT0_jPNS7_10value_typeE, .Lfunc_end20-_ZN7rocprim17ROCPRIM_400000_NS6detail31init_lookback_scan_state_kernelINS1_19lookback_scan_stateImLb1ELb1EEENS1_16block_id_wrapperIjLb1EEEEEvT_jT0_jPNS7_10value_typeE
                                        ; -- End function
	.set _ZN7rocprim17ROCPRIM_400000_NS6detail31init_lookback_scan_state_kernelINS1_19lookback_scan_stateImLb1ELb1EEENS1_16block_id_wrapperIjLb1EEEEEvT_jT0_jPNS7_10value_typeE.num_vgpr, 8
	.set _ZN7rocprim17ROCPRIM_400000_NS6detail31init_lookback_scan_state_kernelINS1_19lookback_scan_stateImLb1ELb1EEENS1_16block_id_wrapperIjLb1EEEEEvT_jT0_jPNS7_10value_typeE.num_agpr, 0
	.set _ZN7rocprim17ROCPRIM_400000_NS6detail31init_lookback_scan_state_kernelINS1_19lookback_scan_stateImLb1ELb1EEENS1_16block_id_wrapperIjLb1EEEEEvT_jT0_jPNS7_10value_typeE.numbered_sgpr, 12
	.set _ZN7rocprim17ROCPRIM_400000_NS6detail31init_lookback_scan_state_kernelINS1_19lookback_scan_stateImLb1ELb1EEENS1_16block_id_wrapperIjLb1EEEEEvT_jT0_jPNS7_10value_typeE.num_named_barrier, 0
	.set _ZN7rocprim17ROCPRIM_400000_NS6detail31init_lookback_scan_state_kernelINS1_19lookback_scan_stateImLb1ELb1EEENS1_16block_id_wrapperIjLb1EEEEEvT_jT0_jPNS7_10value_typeE.private_seg_size, 0
	.set _ZN7rocprim17ROCPRIM_400000_NS6detail31init_lookback_scan_state_kernelINS1_19lookback_scan_stateImLb1ELb1EEENS1_16block_id_wrapperIjLb1EEEEEvT_jT0_jPNS7_10value_typeE.uses_vcc, 1
	.set _ZN7rocprim17ROCPRIM_400000_NS6detail31init_lookback_scan_state_kernelINS1_19lookback_scan_stateImLb1ELb1EEENS1_16block_id_wrapperIjLb1EEEEEvT_jT0_jPNS7_10value_typeE.uses_flat_scratch, 0
	.set _ZN7rocprim17ROCPRIM_400000_NS6detail31init_lookback_scan_state_kernelINS1_19lookback_scan_stateImLb1ELb1EEENS1_16block_id_wrapperIjLb1EEEEEvT_jT0_jPNS7_10value_typeE.has_dyn_sized_stack, 0
	.set _ZN7rocprim17ROCPRIM_400000_NS6detail31init_lookback_scan_state_kernelINS1_19lookback_scan_stateImLb1ELb1EEENS1_16block_id_wrapperIjLb1EEEEEvT_jT0_jPNS7_10value_typeE.has_recursion, 0
	.set _ZN7rocprim17ROCPRIM_400000_NS6detail31init_lookback_scan_state_kernelINS1_19lookback_scan_stateImLb1ELb1EEENS1_16block_id_wrapperIjLb1EEEEEvT_jT0_jPNS7_10value_typeE.has_indirect_call, 0
	.section	.AMDGPU.csdata,"",@progbits
; Kernel info:
; codeLenInByte = 492
; TotalNumSgprs: 14
; NumVgprs: 8
; ScratchSize: 0
; MemoryBound: 0
; FloatMode: 240
; IeeeMode: 1
; LDSByteSize: 0 bytes/workgroup (compile time only)
; SGPRBlocks: 0
; VGPRBlocks: 0
; NumSGPRsForWavesPerEU: 14
; NumVGPRsForWavesPerEU: 8
; Occupancy: 16
; WaveLimiterHint : 0
; COMPUTE_PGM_RSRC2:SCRATCH_EN: 0
; COMPUTE_PGM_RSRC2:USER_SGPR: 2
; COMPUTE_PGM_RSRC2:TRAP_HANDLER: 0
; COMPUTE_PGM_RSRC2:TGID_X_EN: 1
; COMPUTE_PGM_RSRC2:TGID_Y_EN: 0
; COMPUTE_PGM_RSRC2:TGID_Z_EN: 0
; COMPUTE_PGM_RSRC2:TIDIG_COMP_CNT: 0
	.section	.text._ZN7rocprim17ROCPRIM_400000_NS6detail17trampoline_kernelINS0_14default_configENS1_25partition_config_selectorILNS1_17partition_subalgoE6EiNS0_10empty_typeEbEEZZNS1_14partition_implILS5_6ELb0ES3_mN6thrust23THRUST_200600_302600_NS6detail15normal_iteratorINSA_10device_ptrIiEEEEPS6_SG_NS0_5tupleIJSF_S6_EEENSH_IJSG_SG_EEES6_PlJ6is_oddIiEEEE10hipError_tPvRmT3_T4_T5_T6_T7_T9_mT8_P12ihipStream_tbDpT10_ENKUlT_T0_E_clISt17integral_constantIbLb1EES16_EEDaS11_S12_EUlS11_E_NS1_11comp_targetILNS1_3genE0ELNS1_11target_archE4294967295ELNS1_3gpuE0ELNS1_3repE0EEENS1_30default_config_static_selectorELNS0_4arch9wavefront6targetE0EEEvT1_,"axG",@progbits,_ZN7rocprim17ROCPRIM_400000_NS6detail17trampoline_kernelINS0_14default_configENS1_25partition_config_selectorILNS1_17partition_subalgoE6EiNS0_10empty_typeEbEEZZNS1_14partition_implILS5_6ELb0ES3_mN6thrust23THRUST_200600_302600_NS6detail15normal_iteratorINSA_10device_ptrIiEEEEPS6_SG_NS0_5tupleIJSF_S6_EEENSH_IJSG_SG_EEES6_PlJ6is_oddIiEEEE10hipError_tPvRmT3_T4_T5_T6_T7_T9_mT8_P12ihipStream_tbDpT10_ENKUlT_T0_E_clISt17integral_constantIbLb1EES16_EEDaS11_S12_EUlS11_E_NS1_11comp_targetILNS1_3genE0ELNS1_11target_archE4294967295ELNS1_3gpuE0ELNS1_3repE0EEENS1_30default_config_static_selectorELNS0_4arch9wavefront6targetE0EEEvT1_,comdat
	.protected	_ZN7rocprim17ROCPRIM_400000_NS6detail17trampoline_kernelINS0_14default_configENS1_25partition_config_selectorILNS1_17partition_subalgoE6EiNS0_10empty_typeEbEEZZNS1_14partition_implILS5_6ELb0ES3_mN6thrust23THRUST_200600_302600_NS6detail15normal_iteratorINSA_10device_ptrIiEEEEPS6_SG_NS0_5tupleIJSF_S6_EEENSH_IJSG_SG_EEES6_PlJ6is_oddIiEEEE10hipError_tPvRmT3_T4_T5_T6_T7_T9_mT8_P12ihipStream_tbDpT10_ENKUlT_T0_E_clISt17integral_constantIbLb1EES16_EEDaS11_S12_EUlS11_E_NS1_11comp_targetILNS1_3genE0ELNS1_11target_archE4294967295ELNS1_3gpuE0ELNS1_3repE0EEENS1_30default_config_static_selectorELNS0_4arch9wavefront6targetE0EEEvT1_ ; -- Begin function _ZN7rocprim17ROCPRIM_400000_NS6detail17trampoline_kernelINS0_14default_configENS1_25partition_config_selectorILNS1_17partition_subalgoE6EiNS0_10empty_typeEbEEZZNS1_14partition_implILS5_6ELb0ES3_mN6thrust23THRUST_200600_302600_NS6detail15normal_iteratorINSA_10device_ptrIiEEEEPS6_SG_NS0_5tupleIJSF_S6_EEENSH_IJSG_SG_EEES6_PlJ6is_oddIiEEEE10hipError_tPvRmT3_T4_T5_T6_T7_T9_mT8_P12ihipStream_tbDpT10_ENKUlT_T0_E_clISt17integral_constantIbLb1EES16_EEDaS11_S12_EUlS11_E_NS1_11comp_targetILNS1_3genE0ELNS1_11target_archE4294967295ELNS1_3gpuE0ELNS1_3repE0EEENS1_30default_config_static_selectorELNS0_4arch9wavefront6targetE0EEEvT1_
	.globl	_ZN7rocprim17ROCPRIM_400000_NS6detail17trampoline_kernelINS0_14default_configENS1_25partition_config_selectorILNS1_17partition_subalgoE6EiNS0_10empty_typeEbEEZZNS1_14partition_implILS5_6ELb0ES3_mN6thrust23THRUST_200600_302600_NS6detail15normal_iteratorINSA_10device_ptrIiEEEEPS6_SG_NS0_5tupleIJSF_S6_EEENSH_IJSG_SG_EEES6_PlJ6is_oddIiEEEE10hipError_tPvRmT3_T4_T5_T6_T7_T9_mT8_P12ihipStream_tbDpT10_ENKUlT_T0_E_clISt17integral_constantIbLb1EES16_EEDaS11_S12_EUlS11_E_NS1_11comp_targetILNS1_3genE0ELNS1_11target_archE4294967295ELNS1_3gpuE0ELNS1_3repE0EEENS1_30default_config_static_selectorELNS0_4arch9wavefront6targetE0EEEvT1_
	.p2align	8
	.type	_ZN7rocprim17ROCPRIM_400000_NS6detail17trampoline_kernelINS0_14default_configENS1_25partition_config_selectorILNS1_17partition_subalgoE6EiNS0_10empty_typeEbEEZZNS1_14partition_implILS5_6ELb0ES3_mN6thrust23THRUST_200600_302600_NS6detail15normal_iteratorINSA_10device_ptrIiEEEEPS6_SG_NS0_5tupleIJSF_S6_EEENSH_IJSG_SG_EEES6_PlJ6is_oddIiEEEE10hipError_tPvRmT3_T4_T5_T6_T7_T9_mT8_P12ihipStream_tbDpT10_ENKUlT_T0_E_clISt17integral_constantIbLb1EES16_EEDaS11_S12_EUlS11_E_NS1_11comp_targetILNS1_3genE0ELNS1_11target_archE4294967295ELNS1_3gpuE0ELNS1_3repE0EEENS1_30default_config_static_selectorELNS0_4arch9wavefront6targetE0EEEvT1_,@function
_ZN7rocprim17ROCPRIM_400000_NS6detail17trampoline_kernelINS0_14default_configENS1_25partition_config_selectorILNS1_17partition_subalgoE6EiNS0_10empty_typeEbEEZZNS1_14partition_implILS5_6ELb0ES3_mN6thrust23THRUST_200600_302600_NS6detail15normal_iteratorINSA_10device_ptrIiEEEEPS6_SG_NS0_5tupleIJSF_S6_EEENSH_IJSG_SG_EEES6_PlJ6is_oddIiEEEE10hipError_tPvRmT3_T4_T5_T6_T7_T9_mT8_P12ihipStream_tbDpT10_ENKUlT_T0_E_clISt17integral_constantIbLb1EES16_EEDaS11_S12_EUlS11_E_NS1_11comp_targetILNS1_3genE0ELNS1_11target_archE4294967295ELNS1_3gpuE0ELNS1_3repE0EEENS1_30default_config_static_selectorELNS0_4arch9wavefront6targetE0EEEvT1_: ; @_ZN7rocprim17ROCPRIM_400000_NS6detail17trampoline_kernelINS0_14default_configENS1_25partition_config_selectorILNS1_17partition_subalgoE6EiNS0_10empty_typeEbEEZZNS1_14partition_implILS5_6ELb0ES3_mN6thrust23THRUST_200600_302600_NS6detail15normal_iteratorINSA_10device_ptrIiEEEEPS6_SG_NS0_5tupleIJSF_S6_EEENSH_IJSG_SG_EEES6_PlJ6is_oddIiEEEE10hipError_tPvRmT3_T4_T5_T6_T7_T9_mT8_P12ihipStream_tbDpT10_ENKUlT_T0_E_clISt17integral_constantIbLb1EES16_EEDaS11_S12_EUlS11_E_NS1_11comp_targetILNS1_3genE0ELNS1_11target_archE4294967295ELNS1_3gpuE0ELNS1_3repE0EEENS1_30default_config_static_selectorELNS0_4arch9wavefront6targetE0EEEvT1_
; %bb.0:
	.section	.rodata,"a",@progbits
	.p2align	6, 0x0
	.amdhsa_kernel _ZN7rocprim17ROCPRIM_400000_NS6detail17trampoline_kernelINS0_14default_configENS1_25partition_config_selectorILNS1_17partition_subalgoE6EiNS0_10empty_typeEbEEZZNS1_14partition_implILS5_6ELb0ES3_mN6thrust23THRUST_200600_302600_NS6detail15normal_iteratorINSA_10device_ptrIiEEEEPS6_SG_NS0_5tupleIJSF_S6_EEENSH_IJSG_SG_EEES6_PlJ6is_oddIiEEEE10hipError_tPvRmT3_T4_T5_T6_T7_T9_mT8_P12ihipStream_tbDpT10_ENKUlT_T0_E_clISt17integral_constantIbLb1EES16_EEDaS11_S12_EUlS11_E_NS1_11comp_targetILNS1_3genE0ELNS1_11target_archE4294967295ELNS1_3gpuE0ELNS1_3repE0EEENS1_30default_config_static_selectorELNS0_4arch9wavefront6targetE0EEEvT1_
		.amdhsa_group_segment_fixed_size 0
		.amdhsa_private_segment_fixed_size 0
		.amdhsa_kernarg_size 128
		.amdhsa_user_sgpr_count 2
		.amdhsa_user_sgpr_dispatch_ptr 0
		.amdhsa_user_sgpr_queue_ptr 0
		.amdhsa_user_sgpr_kernarg_segment_ptr 1
		.amdhsa_user_sgpr_dispatch_id 0
		.amdhsa_user_sgpr_private_segment_size 0
		.amdhsa_wavefront_size32 1
		.amdhsa_uses_dynamic_stack 0
		.amdhsa_enable_private_segment 0
		.amdhsa_system_sgpr_workgroup_id_x 1
		.amdhsa_system_sgpr_workgroup_id_y 0
		.amdhsa_system_sgpr_workgroup_id_z 0
		.amdhsa_system_sgpr_workgroup_info 0
		.amdhsa_system_vgpr_workitem_id 0
		.amdhsa_next_free_vgpr 1
		.amdhsa_next_free_sgpr 1
		.amdhsa_reserve_vcc 0
		.amdhsa_float_round_mode_32 0
		.amdhsa_float_round_mode_16_64 0
		.amdhsa_float_denorm_mode_32 3
		.amdhsa_float_denorm_mode_16_64 3
		.amdhsa_fp16_overflow 0
		.amdhsa_workgroup_processor_mode 1
		.amdhsa_memory_ordered 1
		.amdhsa_forward_progress 1
		.amdhsa_inst_pref_size 0
		.amdhsa_round_robin_scheduling 0
		.amdhsa_exception_fp_ieee_invalid_op 0
		.amdhsa_exception_fp_denorm_src 0
		.amdhsa_exception_fp_ieee_div_zero 0
		.amdhsa_exception_fp_ieee_overflow 0
		.amdhsa_exception_fp_ieee_underflow 0
		.amdhsa_exception_fp_ieee_inexact 0
		.amdhsa_exception_int_div_zero 0
	.end_amdhsa_kernel
	.section	.text._ZN7rocprim17ROCPRIM_400000_NS6detail17trampoline_kernelINS0_14default_configENS1_25partition_config_selectorILNS1_17partition_subalgoE6EiNS0_10empty_typeEbEEZZNS1_14partition_implILS5_6ELb0ES3_mN6thrust23THRUST_200600_302600_NS6detail15normal_iteratorINSA_10device_ptrIiEEEEPS6_SG_NS0_5tupleIJSF_S6_EEENSH_IJSG_SG_EEES6_PlJ6is_oddIiEEEE10hipError_tPvRmT3_T4_T5_T6_T7_T9_mT8_P12ihipStream_tbDpT10_ENKUlT_T0_E_clISt17integral_constantIbLb1EES16_EEDaS11_S12_EUlS11_E_NS1_11comp_targetILNS1_3genE0ELNS1_11target_archE4294967295ELNS1_3gpuE0ELNS1_3repE0EEENS1_30default_config_static_selectorELNS0_4arch9wavefront6targetE0EEEvT1_,"axG",@progbits,_ZN7rocprim17ROCPRIM_400000_NS6detail17trampoline_kernelINS0_14default_configENS1_25partition_config_selectorILNS1_17partition_subalgoE6EiNS0_10empty_typeEbEEZZNS1_14partition_implILS5_6ELb0ES3_mN6thrust23THRUST_200600_302600_NS6detail15normal_iteratorINSA_10device_ptrIiEEEEPS6_SG_NS0_5tupleIJSF_S6_EEENSH_IJSG_SG_EEES6_PlJ6is_oddIiEEEE10hipError_tPvRmT3_T4_T5_T6_T7_T9_mT8_P12ihipStream_tbDpT10_ENKUlT_T0_E_clISt17integral_constantIbLb1EES16_EEDaS11_S12_EUlS11_E_NS1_11comp_targetILNS1_3genE0ELNS1_11target_archE4294967295ELNS1_3gpuE0ELNS1_3repE0EEENS1_30default_config_static_selectorELNS0_4arch9wavefront6targetE0EEEvT1_,comdat
.Lfunc_end21:
	.size	_ZN7rocprim17ROCPRIM_400000_NS6detail17trampoline_kernelINS0_14default_configENS1_25partition_config_selectorILNS1_17partition_subalgoE6EiNS0_10empty_typeEbEEZZNS1_14partition_implILS5_6ELb0ES3_mN6thrust23THRUST_200600_302600_NS6detail15normal_iteratorINSA_10device_ptrIiEEEEPS6_SG_NS0_5tupleIJSF_S6_EEENSH_IJSG_SG_EEES6_PlJ6is_oddIiEEEE10hipError_tPvRmT3_T4_T5_T6_T7_T9_mT8_P12ihipStream_tbDpT10_ENKUlT_T0_E_clISt17integral_constantIbLb1EES16_EEDaS11_S12_EUlS11_E_NS1_11comp_targetILNS1_3genE0ELNS1_11target_archE4294967295ELNS1_3gpuE0ELNS1_3repE0EEENS1_30default_config_static_selectorELNS0_4arch9wavefront6targetE0EEEvT1_, .Lfunc_end21-_ZN7rocprim17ROCPRIM_400000_NS6detail17trampoline_kernelINS0_14default_configENS1_25partition_config_selectorILNS1_17partition_subalgoE6EiNS0_10empty_typeEbEEZZNS1_14partition_implILS5_6ELb0ES3_mN6thrust23THRUST_200600_302600_NS6detail15normal_iteratorINSA_10device_ptrIiEEEEPS6_SG_NS0_5tupleIJSF_S6_EEENSH_IJSG_SG_EEES6_PlJ6is_oddIiEEEE10hipError_tPvRmT3_T4_T5_T6_T7_T9_mT8_P12ihipStream_tbDpT10_ENKUlT_T0_E_clISt17integral_constantIbLb1EES16_EEDaS11_S12_EUlS11_E_NS1_11comp_targetILNS1_3genE0ELNS1_11target_archE4294967295ELNS1_3gpuE0ELNS1_3repE0EEENS1_30default_config_static_selectorELNS0_4arch9wavefront6targetE0EEEvT1_
                                        ; -- End function
	.set _ZN7rocprim17ROCPRIM_400000_NS6detail17trampoline_kernelINS0_14default_configENS1_25partition_config_selectorILNS1_17partition_subalgoE6EiNS0_10empty_typeEbEEZZNS1_14partition_implILS5_6ELb0ES3_mN6thrust23THRUST_200600_302600_NS6detail15normal_iteratorINSA_10device_ptrIiEEEEPS6_SG_NS0_5tupleIJSF_S6_EEENSH_IJSG_SG_EEES6_PlJ6is_oddIiEEEE10hipError_tPvRmT3_T4_T5_T6_T7_T9_mT8_P12ihipStream_tbDpT10_ENKUlT_T0_E_clISt17integral_constantIbLb1EES16_EEDaS11_S12_EUlS11_E_NS1_11comp_targetILNS1_3genE0ELNS1_11target_archE4294967295ELNS1_3gpuE0ELNS1_3repE0EEENS1_30default_config_static_selectorELNS0_4arch9wavefront6targetE0EEEvT1_.num_vgpr, 0
	.set _ZN7rocprim17ROCPRIM_400000_NS6detail17trampoline_kernelINS0_14default_configENS1_25partition_config_selectorILNS1_17partition_subalgoE6EiNS0_10empty_typeEbEEZZNS1_14partition_implILS5_6ELb0ES3_mN6thrust23THRUST_200600_302600_NS6detail15normal_iteratorINSA_10device_ptrIiEEEEPS6_SG_NS0_5tupleIJSF_S6_EEENSH_IJSG_SG_EEES6_PlJ6is_oddIiEEEE10hipError_tPvRmT3_T4_T5_T6_T7_T9_mT8_P12ihipStream_tbDpT10_ENKUlT_T0_E_clISt17integral_constantIbLb1EES16_EEDaS11_S12_EUlS11_E_NS1_11comp_targetILNS1_3genE0ELNS1_11target_archE4294967295ELNS1_3gpuE0ELNS1_3repE0EEENS1_30default_config_static_selectorELNS0_4arch9wavefront6targetE0EEEvT1_.num_agpr, 0
	.set _ZN7rocprim17ROCPRIM_400000_NS6detail17trampoline_kernelINS0_14default_configENS1_25partition_config_selectorILNS1_17partition_subalgoE6EiNS0_10empty_typeEbEEZZNS1_14partition_implILS5_6ELb0ES3_mN6thrust23THRUST_200600_302600_NS6detail15normal_iteratorINSA_10device_ptrIiEEEEPS6_SG_NS0_5tupleIJSF_S6_EEENSH_IJSG_SG_EEES6_PlJ6is_oddIiEEEE10hipError_tPvRmT3_T4_T5_T6_T7_T9_mT8_P12ihipStream_tbDpT10_ENKUlT_T0_E_clISt17integral_constantIbLb1EES16_EEDaS11_S12_EUlS11_E_NS1_11comp_targetILNS1_3genE0ELNS1_11target_archE4294967295ELNS1_3gpuE0ELNS1_3repE0EEENS1_30default_config_static_selectorELNS0_4arch9wavefront6targetE0EEEvT1_.numbered_sgpr, 0
	.set _ZN7rocprim17ROCPRIM_400000_NS6detail17trampoline_kernelINS0_14default_configENS1_25partition_config_selectorILNS1_17partition_subalgoE6EiNS0_10empty_typeEbEEZZNS1_14partition_implILS5_6ELb0ES3_mN6thrust23THRUST_200600_302600_NS6detail15normal_iteratorINSA_10device_ptrIiEEEEPS6_SG_NS0_5tupleIJSF_S6_EEENSH_IJSG_SG_EEES6_PlJ6is_oddIiEEEE10hipError_tPvRmT3_T4_T5_T6_T7_T9_mT8_P12ihipStream_tbDpT10_ENKUlT_T0_E_clISt17integral_constantIbLb1EES16_EEDaS11_S12_EUlS11_E_NS1_11comp_targetILNS1_3genE0ELNS1_11target_archE4294967295ELNS1_3gpuE0ELNS1_3repE0EEENS1_30default_config_static_selectorELNS0_4arch9wavefront6targetE0EEEvT1_.num_named_barrier, 0
	.set _ZN7rocprim17ROCPRIM_400000_NS6detail17trampoline_kernelINS0_14default_configENS1_25partition_config_selectorILNS1_17partition_subalgoE6EiNS0_10empty_typeEbEEZZNS1_14partition_implILS5_6ELb0ES3_mN6thrust23THRUST_200600_302600_NS6detail15normal_iteratorINSA_10device_ptrIiEEEEPS6_SG_NS0_5tupleIJSF_S6_EEENSH_IJSG_SG_EEES6_PlJ6is_oddIiEEEE10hipError_tPvRmT3_T4_T5_T6_T7_T9_mT8_P12ihipStream_tbDpT10_ENKUlT_T0_E_clISt17integral_constantIbLb1EES16_EEDaS11_S12_EUlS11_E_NS1_11comp_targetILNS1_3genE0ELNS1_11target_archE4294967295ELNS1_3gpuE0ELNS1_3repE0EEENS1_30default_config_static_selectorELNS0_4arch9wavefront6targetE0EEEvT1_.private_seg_size, 0
	.set _ZN7rocprim17ROCPRIM_400000_NS6detail17trampoline_kernelINS0_14default_configENS1_25partition_config_selectorILNS1_17partition_subalgoE6EiNS0_10empty_typeEbEEZZNS1_14partition_implILS5_6ELb0ES3_mN6thrust23THRUST_200600_302600_NS6detail15normal_iteratorINSA_10device_ptrIiEEEEPS6_SG_NS0_5tupleIJSF_S6_EEENSH_IJSG_SG_EEES6_PlJ6is_oddIiEEEE10hipError_tPvRmT3_T4_T5_T6_T7_T9_mT8_P12ihipStream_tbDpT10_ENKUlT_T0_E_clISt17integral_constantIbLb1EES16_EEDaS11_S12_EUlS11_E_NS1_11comp_targetILNS1_3genE0ELNS1_11target_archE4294967295ELNS1_3gpuE0ELNS1_3repE0EEENS1_30default_config_static_selectorELNS0_4arch9wavefront6targetE0EEEvT1_.uses_vcc, 0
	.set _ZN7rocprim17ROCPRIM_400000_NS6detail17trampoline_kernelINS0_14default_configENS1_25partition_config_selectorILNS1_17partition_subalgoE6EiNS0_10empty_typeEbEEZZNS1_14partition_implILS5_6ELb0ES3_mN6thrust23THRUST_200600_302600_NS6detail15normal_iteratorINSA_10device_ptrIiEEEEPS6_SG_NS0_5tupleIJSF_S6_EEENSH_IJSG_SG_EEES6_PlJ6is_oddIiEEEE10hipError_tPvRmT3_T4_T5_T6_T7_T9_mT8_P12ihipStream_tbDpT10_ENKUlT_T0_E_clISt17integral_constantIbLb1EES16_EEDaS11_S12_EUlS11_E_NS1_11comp_targetILNS1_3genE0ELNS1_11target_archE4294967295ELNS1_3gpuE0ELNS1_3repE0EEENS1_30default_config_static_selectorELNS0_4arch9wavefront6targetE0EEEvT1_.uses_flat_scratch, 0
	.set _ZN7rocprim17ROCPRIM_400000_NS6detail17trampoline_kernelINS0_14default_configENS1_25partition_config_selectorILNS1_17partition_subalgoE6EiNS0_10empty_typeEbEEZZNS1_14partition_implILS5_6ELb0ES3_mN6thrust23THRUST_200600_302600_NS6detail15normal_iteratorINSA_10device_ptrIiEEEEPS6_SG_NS0_5tupleIJSF_S6_EEENSH_IJSG_SG_EEES6_PlJ6is_oddIiEEEE10hipError_tPvRmT3_T4_T5_T6_T7_T9_mT8_P12ihipStream_tbDpT10_ENKUlT_T0_E_clISt17integral_constantIbLb1EES16_EEDaS11_S12_EUlS11_E_NS1_11comp_targetILNS1_3genE0ELNS1_11target_archE4294967295ELNS1_3gpuE0ELNS1_3repE0EEENS1_30default_config_static_selectorELNS0_4arch9wavefront6targetE0EEEvT1_.has_dyn_sized_stack, 0
	.set _ZN7rocprim17ROCPRIM_400000_NS6detail17trampoline_kernelINS0_14default_configENS1_25partition_config_selectorILNS1_17partition_subalgoE6EiNS0_10empty_typeEbEEZZNS1_14partition_implILS5_6ELb0ES3_mN6thrust23THRUST_200600_302600_NS6detail15normal_iteratorINSA_10device_ptrIiEEEEPS6_SG_NS0_5tupleIJSF_S6_EEENSH_IJSG_SG_EEES6_PlJ6is_oddIiEEEE10hipError_tPvRmT3_T4_T5_T6_T7_T9_mT8_P12ihipStream_tbDpT10_ENKUlT_T0_E_clISt17integral_constantIbLb1EES16_EEDaS11_S12_EUlS11_E_NS1_11comp_targetILNS1_3genE0ELNS1_11target_archE4294967295ELNS1_3gpuE0ELNS1_3repE0EEENS1_30default_config_static_selectorELNS0_4arch9wavefront6targetE0EEEvT1_.has_recursion, 0
	.set _ZN7rocprim17ROCPRIM_400000_NS6detail17trampoline_kernelINS0_14default_configENS1_25partition_config_selectorILNS1_17partition_subalgoE6EiNS0_10empty_typeEbEEZZNS1_14partition_implILS5_6ELb0ES3_mN6thrust23THRUST_200600_302600_NS6detail15normal_iteratorINSA_10device_ptrIiEEEEPS6_SG_NS0_5tupleIJSF_S6_EEENSH_IJSG_SG_EEES6_PlJ6is_oddIiEEEE10hipError_tPvRmT3_T4_T5_T6_T7_T9_mT8_P12ihipStream_tbDpT10_ENKUlT_T0_E_clISt17integral_constantIbLb1EES16_EEDaS11_S12_EUlS11_E_NS1_11comp_targetILNS1_3genE0ELNS1_11target_archE4294967295ELNS1_3gpuE0ELNS1_3repE0EEENS1_30default_config_static_selectorELNS0_4arch9wavefront6targetE0EEEvT1_.has_indirect_call, 0
	.section	.AMDGPU.csdata,"",@progbits
; Kernel info:
; codeLenInByte = 0
; TotalNumSgprs: 0
; NumVgprs: 0
; ScratchSize: 0
; MemoryBound: 0
; FloatMode: 240
; IeeeMode: 1
; LDSByteSize: 0 bytes/workgroup (compile time only)
; SGPRBlocks: 0
; VGPRBlocks: 0
; NumSGPRsForWavesPerEU: 1
; NumVGPRsForWavesPerEU: 1
; Occupancy: 16
; WaveLimiterHint : 0
; COMPUTE_PGM_RSRC2:SCRATCH_EN: 0
; COMPUTE_PGM_RSRC2:USER_SGPR: 2
; COMPUTE_PGM_RSRC2:TRAP_HANDLER: 0
; COMPUTE_PGM_RSRC2:TGID_X_EN: 1
; COMPUTE_PGM_RSRC2:TGID_Y_EN: 0
; COMPUTE_PGM_RSRC2:TGID_Z_EN: 0
; COMPUTE_PGM_RSRC2:TIDIG_COMP_CNT: 0
	.section	.text._ZN7rocprim17ROCPRIM_400000_NS6detail17trampoline_kernelINS0_14default_configENS1_25partition_config_selectorILNS1_17partition_subalgoE6EiNS0_10empty_typeEbEEZZNS1_14partition_implILS5_6ELb0ES3_mN6thrust23THRUST_200600_302600_NS6detail15normal_iteratorINSA_10device_ptrIiEEEEPS6_SG_NS0_5tupleIJSF_S6_EEENSH_IJSG_SG_EEES6_PlJ6is_oddIiEEEE10hipError_tPvRmT3_T4_T5_T6_T7_T9_mT8_P12ihipStream_tbDpT10_ENKUlT_T0_E_clISt17integral_constantIbLb1EES16_EEDaS11_S12_EUlS11_E_NS1_11comp_targetILNS1_3genE5ELNS1_11target_archE942ELNS1_3gpuE9ELNS1_3repE0EEENS1_30default_config_static_selectorELNS0_4arch9wavefront6targetE0EEEvT1_,"axG",@progbits,_ZN7rocprim17ROCPRIM_400000_NS6detail17trampoline_kernelINS0_14default_configENS1_25partition_config_selectorILNS1_17partition_subalgoE6EiNS0_10empty_typeEbEEZZNS1_14partition_implILS5_6ELb0ES3_mN6thrust23THRUST_200600_302600_NS6detail15normal_iteratorINSA_10device_ptrIiEEEEPS6_SG_NS0_5tupleIJSF_S6_EEENSH_IJSG_SG_EEES6_PlJ6is_oddIiEEEE10hipError_tPvRmT3_T4_T5_T6_T7_T9_mT8_P12ihipStream_tbDpT10_ENKUlT_T0_E_clISt17integral_constantIbLb1EES16_EEDaS11_S12_EUlS11_E_NS1_11comp_targetILNS1_3genE5ELNS1_11target_archE942ELNS1_3gpuE9ELNS1_3repE0EEENS1_30default_config_static_selectorELNS0_4arch9wavefront6targetE0EEEvT1_,comdat
	.protected	_ZN7rocprim17ROCPRIM_400000_NS6detail17trampoline_kernelINS0_14default_configENS1_25partition_config_selectorILNS1_17partition_subalgoE6EiNS0_10empty_typeEbEEZZNS1_14partition_implILS5_6ELb0ES3_mN6thrust23THRUST_200600_302600_NS6detail15normal_iteratorINSA_10device_ptrIiEEEEPS6_SG_NS0_5tupleIJSF_S6_EEENSH_IJSG_SG_EEES6_PlJ6is_oddIiEEEE10hipError_tPvRmT3_T4_T5_T6_T7_T9_mT8_P12ihipStream_tbDpT10_ENKUlT_T0_E_clISt17integral_constantIbLb1EES16_EEDaS11_S12_EUlS11_E_NS1_11comp_targetILNS1_3genE5ELNS1_11target_archE942ELNS1_3gpuE9ELNS1_3repE0EEENS1_30default_config_static_selectorELNS0_4arch9wavefront6targetE0EEEvT1_ ; -- Begin function _ZN7rocprim17ROCPRIM_400000_NS6detail17trampoline_kernelINS0_14default_configENS1_25partition_config_selectorILNS1_17partition_subalgoE6EiNS0_10empty_typeEbEEZZNS1_14partition_implILS5_6ELb0ES3_mN6thrust23THRUST_200600_302600_NS6detail15normal_iteratorINSA_10device_ptrIiEEEEPS6_SG_NS0_5tupleIJSF_S6_EEENSH_IJSG_SG_EEES6_PlJ6is_oddIiEEEE10hipError_tPvRmT3_T4_T5_T6_T7_T9_mT8_P12ihipStream_tbDpT10_ENKUlT_T0_E_clISt17integral_constantIbLb1EES16_EEDaS11_S12_EUlS11_E_NS1_11comp_targetILNS1_3genE5ELNS1_11target_archE942ELNS1_3gpuE9ELNS1_3repE0EEENS1_30default_config_static_selectorELNS0_4arch9wavefront6targetE0EEEvT1_
	.globl	_ZN7rocprim17ROCPRIM_400000_NS6detail17trampoline_kernelINS0_14default_configENS1_25partition_config_selectorILNS1_17partition_subalgoE6EiNS0_10empty_typeEbEEZZNS1_14partition_implILS5_6ELb0ES3_mN6thrust23THRUST_200600_302600_NS6detail15normal_iteratorINSA_10device_ptrIiEEEEPS6_SG_NS0_5tupleIJSF_S6_EEENSH_IJSG_SG_EEES6_PlJ6is_oddIiEEEE10hipError_tPvRmT3_T4_T5_T6_T7_T9_mT8_P12ihipStream_tbDpT10_ENKUlT_T0_E_clISt17integral_constantIbLb1EES16_EEDaS11_S12_EUlS11_E_NS1_11comp_targetILNS1_3genE5ELNS1_11target_archE942ELNS1_3gpuE9ELNS1_3repE0EEENS1_30default_config_static_selectorELNS0_4arch9wavefront6targetE0EEEvT1_
	.p2align	8
	.type	_ZN7rocprim17ROCPRIM_400000_NS6detail17trampoline_kernelINS0_14default_configENS1_25partition_config_selectorILNS1_17partition_subalgoE6EiNS0_10empty_typeEbEEZZNS1_14partition_implILS5_6ELb0ES3_mN6thrust23THRUST_200600_302600_NS6detail15normal_iteratorINSA_10device_ptrIiEEEEPS6_SG_NS0_5tupleIJSF_S6_EEENSH_IJSG_SG_EEES6_PlJ6is_oddIiEEEE10hipError_tPvRmT3_T4_T5_T6_T7_T9_mT8_P12ihipStream_tbDpT10_ENKUlT_T0_E_clISt17integral_constantIbLb1EES16_EEDaS11_S12_EUlS11_E_NS1_11comp_targetILNS1_3genE5ELNS1_11target_archE942ELNS1_3gpuE9ELNS1_3repE0EEENS1_30default_config_static_selectorELNS0_4arch9wavefront6targetE0EEEvT1_,@function
_ZN7rocprim17ROCPRIM_400000_NS6detail17trampoline_kernelINS0_14default_configENS1_25partition_config_selectorILNS1_17partition_subalgoE6EiNS0_10empty_typeEbEEZZNS1_14partition_implILS5_6ELb0ES3_mN6thrust23THRUST_200600_302600_NS6detail15normal_iteratorINSA_10device_ptrIiEEEEPS6_SG_NS0_5tupleIJSF_S6_EEENSH_IJSG_SG_EEES6_PlJ6is_oddIiEEEE10hipError_tPvRmT3_T4_T5_T6_T7_T9_mT8_P12ihipStream_tbDpT10_ENKUlT_T0_E_clISt17integral_constantIbLb1EES16_EEDaS11_S12_EUlS11_E_NS1_11comp_targetILNS1_3genE5ELNS1_11target_archE942ELNS1_3gpuE9ELNS1_3repE0EEENS1_30default_config_static_selectorELNS0_4arch9wavefront6targetE0EEEvT1_: ; @_ZN7rocprim17ROCPRIM_400000_NS6detail17trampoline_kernelINS0_14default_configENS1_25partition_config_selectorILNS1_17partition_subalgoE6EiNS0_10empty_typeEbEEZZNS1_14partition_implILS5_6ELb0ES3_mN6thrust23THRUST_200600_302600_NS6detail15normal_iteratorINSA_10device_ptrIiEEEEPS6_SG_NS0_5tupleIJSF_S6_EEENSH_IJSG_SG_EEES6_PlJ6is_oddIiEEEE10hipError_tPvRmT3_T4_T5_T6_T7_T9_mT8_P12ihipStream_tbDpT10_ENKUlT_T0_E_clISt17integral_constantIbLb1EES16_EEDaS11_S12_EUlS11_E_NS1_11comp_targetILNS1_3genE5ELNS1_11target_archE942ELNS1_3gpuE9ELNS1_3repE0EEENS1_30default_config_static_selectorELNS0_4arch9wavefront6targetE0EEEvT1_
; %bb.0:
	.section	.rodata,"a",@progbits
	.p2align	6, 0x0
	.amdhsa_kernel _ZN7rocprim17ROCPRIM_400000_NS6detail17trampoline_kernelINS0_14default_configENS1_25partition_config_selectorILNS1_17partition_subalgoE6EiNS0_10empty_typeEbEEZZNS1_14partition_implILS5_6ELb0ES3_mN6thrust23THRUST_200600_302600_NS6detail15normal_iteratorINSA_10device_ptrIiEEEEPS6_SG_NS0_5tupleIJSF_S6_EEENSH_IJSG_SG_EEES6_PlJ6is_oddIiEEEE10hipError_tPvRmT3_T4_T5_T6_T7_T9_mT8_P12ihipStream_tbDpT10_ENKUlT_T0_E_clISt17integral_constantIbLb1EES16_EEDaS11_S12_EUlS11_E_NS1_11comp_targetILNS1_3genE5ELNS1_11target_archE942ELNS1_3gpuE9ELNS1_3repE0EEENS1_30default_config_static_selectorELNS0_4arch9wavefront6targetE0EEEvT1_
		.amdhsa_group_segment_fixed_size 0
		.amdhsa_private_segment_fixed_size 0
		.amdhsa_kernarg_size 128
		.amdhsa_user_sgpr_count 2
		.amdhsa_user_sgpr_dispatch_ptr 0
		.amdhsa_user_sgpr_queue_ptr 0
		.amdhsa_user_sgpr_kernarg_segment_ptr 1
		.amdhsa_user_sgpr_dispatch_id 0
		.amdhsa_user_sgpr_private_segment_size 0
		.amdhsa_wavefront_size32 1
		.amdhsa_uses_dynamic_stack 0
		.amdhsa_enable_private_segment 0
		.amdhsa_system_sgpr_workgroup_id_x 1
		.amdhsa_system_sgpr_workgroup_id_y 0
		.amdhsa_system_sgpr_workgroup_id_z 0
		.amdhsa_system_sgpr_workgroup_info 0
		.amdhsa_system_vgpr_workitem_id 0
		.amdhsa_next_free_vgpr 1
		.amdhsa_next_free_sgpr 1
		.amdhsa_reserve_vcc 0
		.amdhsa_float_round_mode_32 0
		.amdhsa_float_round_mode_16_64 0
		.amdhsa_float_denorm_mode_32 3
		.amdhsa_float_denorm_mode_16_64 3
		.amdhsa_fp16_overflow 0
		.amdhsa_workgroup_processor_mode 1
		.amdhsa_memory_ordered 1
		.amdhsa_forward_progress 1
		.amdhsa_inst_pref_size 0
		.amdhsa_round_robin_scheduling 0
		.amdhsa_exception_fp_ieee_invalid_op 0
		.amdhsa_exception_fp_denorm_src 0
		.amdhsa_exception_fp_ieee_div_zero 0
		.amdhsa_exception_fp_ieee_overflow 0
		.amdhsa_exception_fp_ieee_underflow 0
		.amdhsa_exception_fp_ieee_inexact 0
		.amdhsa_exception_int_div_zero 0
	.end_amdhsa_kernel
	.section	.text._ZN7rocprim17ROCPRIM_400000_NS6detail17trampoline_kernelINS0_14default_configENS1_25partition_config_selectorILNS1_17partition_subalgoE6EiNS0_10empty_typeEbEEZZNS1_14partition_implILS5_6ELb0ES3_mN6thrust23THRUST_200600_302600_NS6detail15normal_iteratorINSA_10device_ptrIiEEEEPS6_SG_NS0_5tupleIJSF_S6_EEENSH_IJSG_SG_EEES6_PlJ6is_oddIiEEEE10hipError_tPvRmT3_T4_T5_T6_T7_T9_mT8_P12ihipStream_tbDpT10_ENKUlT_T0_E_clISt17integral_constantIbLb1EES16_EEDaS11_S12_EUlS11_E_NS1_11comp_targetILNS1_3genE5ELNS1_11target_archE942ELNS1_3gpuE9ELNS1_3repE0EEENS1_30default_config_static_selectorELNS0_4arch9wavefront6targetE0EEEvT1_,"axG",@progbits,_ZN7rocprim17ROCPRIM_400000_NS6detail17trampoline_kernelINS0_14default_configENS1_25partition_config_selectorILNS1_17partition_subalgoE6EiNS0_10empty_typeEbEEZZNS1_14partition_implILS5_6ELb0ES3_mN6thrust23THRUST_200600_302600_NS6detail15normal_iteratorINSA_10device_ptrIiEEEEPS6_SG_NS0_5tupleIJSF_S6_EEENSH_IJSG_SG_EEES6_PlJ6is_oddIiEEEE10hipError_tPvRmT3_T4_T5_T6_T7_T9_mT8_P12ihipStream_tbDpT10_ENKUlT_T0_E_clISt17integral_constantIbLb1EES16_EEDaS11_S12_EUlS11_E_NS1_11comp_targetILNS1_3genE5ELNS1_11target_archE942ELNS1_3gpuE9ELNS1_3repE0EEENS1_30default_config_static_selectorELNS0_4arch9wavefront6targetE0EEEvT1_,comdat
.Lfunc_end22:
	.size	_ZN7rocprim17ROCPRIM_400000_NS6detail17trampoline_kernelINS0_14default_configENS1_25partition_config_selectorILNS1_17partition_subalgoE6EiNS0_10empty_typeEbEEZZNS1_14partition_implILS5_6ELb0ES3_mN6thrust23THRUST_200600_302600_NS6detail15normal_iteratorINSA_10device_ptrIiEEEEPS6_SG_NS0_5tupleIJSF_S6_EEENSH_IJSG_SG_EEES6_PlJ6is_oddIiEEEE10hipError_tPvRmT3_T4_T5_T6_T7_T9_mT8_P12ihipStream_tbDpT10_ENKUlT_T0_E_clISt17integral_constantIbLb1EES16_EEDaS11_S12_EUlS11_E_NS1_11comp_targetILNS1_3genE5ELNS1_11target_archE942ELNS1_3gpuE9ELNS1_3repE0EEENS1_30default_config_static_selectorELNS0_4arch9wavefront6targetE0EEEvT1_, .Lfunc_end22-_ZN7rocprim17ROCPRIM_400000_NS6detail17trampoline_kernelINS0_14default_configENS1_25partition_config_selectorILNS1_17partition_subalgoE6EiNS0_10empty_typeEbEEZZNS1_14partition_implILS5_6ELb0ES3_mN6thrust23THRUST_200600_302600_NS6detail15normal_iteratorINSA_10device_ptrIiEEEEPS6_SG_NS0_5tupleIJSF_S6_EEENSH_IJSG_SG_EEES6_PlJ6is_oddIiEEEE10hipError_tPvRmT3_T4_T5_T6_T7_T9_mT8_P12ihipStream_tbDpT10_ENKUlT_T0_E_clISt17integral_constantIbLb1EES16_EEDaS11_S12_EUlS11_E_NS1_11comp_targetILNS1_3genE5ELNS1_11target_archE942ELNS1_3gpuE9ELNS1_3repE0EEENS1_30default_config_static_selectorELNS0_4arch9wavefront6targetE0EEEvT1_
                                        ; -- End function
	.set _ZN7rocprim17ROCPRIM_400000_NS6detail17trampoline_kernelINS0_14default_configENS1_25partition_config_selectorILNS1_17partition_subalgoE6EiNS0_10empty_typeEbEEZZNS1_14partition_implILS5_6ELb0ES3_mN6thrust23THRUST_200600_302600_NS6detail15normal_iteratorINSA_10device_ptrIiEEEEPS6_SG_NS0_5tupleIJSF_S6_EEENSH_IJSG_SG_EEES6_PlJ6is_oddIiEEEE10hipError_tPvRmT3_T4_T5_T6_T7_T9_mT8_P12ihipStream_tbDpT10_ENKUlT_T0_E_clISt17integral_constantIbLb1EES16_EEDaS11_S12_EUlS11_E_NS1_11comp_targetILNS1_3genE5ELNS1_11target_archE942ELNS1_3gpuE9ELNS1_3repE0EEENS1_30default_config_static_selectorELNS0_4arch9wavefront6targetE0EEEvT1_.num_vgpr, 0
	.set _ZN7rocprim17ROCPRIM_400000_NS6detail17trampoline_kernelINS0_14default_configENS1_25partition_config_selectorILNS1_17partition_subalgoE6EiNS0_10empty_typeEbEEZZNS1_14partition_implILS5_6ELb0ES3_mN6thrust23THRUST_200600_302600_NS6detail15normal_iteratorINSA_10device_ptrIiEEEEPS6_SG_NS0_5tupleIJSF_S6_EEENSH_IJSG_SG_EEES6_PlJ6is_oddIiEEEE10hipError_tPvRmT3_T4_T5_T6_T7_T9_mT8_P12ihipStream_tbDpT10_ENKUlT_T0_E_clISt17integral_constantIbLb1EES16_EEDaS11_S12_EUlS11_E_NS1_11comp_targetILNS1_3genE5ELNS1_11target_archE942ELNS1_3gpuE9ELNS1_3repE0EEENS1_30default_config_static_selectorELNS0_4arch9wavefront6targetE0EEEvT1_.num_agpr, 0
	.set _ZN7rocprim17ROCPRIM_400000_NS6detail17trampoline_kernelINS0_14default_configENS1_25partition_config_selectorILNS1_17partition_subalgoE6EiNS0_10empty_typeEbEEZZNS1_14partition_implILS5_6ELb0ES3_mN6thrust23THRUST_200600_302600_NS6detail15normal_iteratorINSA_10device_ptrIiEEEEPS6_SG_NS0_5tupleIJSF_S6_EEENSH_IJSG_SG_EEES6_PlJ6is_oddIiEEEE10hipError_tPvRmT3_T4_T5_T6_T7_T9_mT8_P12ihipStream_tbDpT10_ENKUlT_T0_E_clISt17integral_constantIbLb1EES16_EEDaS11_S12_EUlS11_E_NS1_11comp_targetILNS1_3genE5ELNS1_11target_archE942ELNS1_3gpuE9ELNS1_3repE0EEENS1_30default_config_static_selectorELNS0_4arch9wavefront6targetE0EEEvT1_.numbered_sgpr, 0
	.set _ZN7rocprim17ROCPRIM_400000_NS6detail17trampoline_kernelINS0_14default_configENS1_25partition_config_selectorILNS1_17partition_subalgoE6EiNS0_10empty_typeEbEEZZNS1_14partition_implILS5_6ELb0ES3_mN6thrust23THRUST_200600_302600_NS6detail15normal_iteratorINSA_10device_ptrIiEEEEPS6_SG_NS0_5tupleIJSF_S6_EEENSH_IJSG_SG_EEES6_PlJ6is_oddIiEEEE10hipError_tPvRmT3_T4_T5_T6_T7_T9_mT8_P12ihipStream_tbDpT10_ENKUlT_T0_E_clISt17integral_constantIbLb1EES16_EEDaS11_S12_EUlS11_E_NS1_11comp_targetILNS1_3genE5ELNS1_11target_archE942ELNS1_3gpuE9ELNS1_3repE0EEENS1_30default_config_static_selectorELNS0_4arch9wavefront6targetE0EEEvT1_.num_named_barrier, 0
	.set _ZN7rocprim17ROCPRIM_400000_NS6detail17trampoline_kernelINS0_14default_configENS1_25partition_config_selectorILNS1_17partition_subalgoE6EiNS0_10empty_typeEbEEZZNS1_14partition_implILS5_6ELb0ES3_mN6thrust23THRUST_200600_302600_NS6detail15normal_iteratorINSA_10device_ptrIiEEEEPS6_SG_NS0_5tupleIJSF_S6_EEENSH_IJSG_SG_EEES6_PlJ6is_oddIiEEEE10hipError_tPvRmT3_T4_T5_T6_T7_T9_mT8_P12ihipStream_tbDpT10_ENKUlT_T0_E_clISt17integral_constantIbLb1EES16_EEDaS11_S12_EUlS11_E_NS1_11comp_targetILNS1_3genE5ELNS1_11target_archE942ELNS1_3gpuE9ELNS1_3repE0EEENS1_30default_config_static_selectorELNS0_4arch9wavefront6targetE0EEEvT1_.private_seg_size, 0
	.set _ZN7rocprim17ROCPRIM_400000_NS6detail17trampoline_kernelINS0_14default_configENS1_25partition_config_selectorILNS1_17partition_subalgoE6EiNS0_10empty_typeEbEEZZNS1_14partition_implILS5_6ELb0ES3_mN6thrust23THRUST_200600_302600_NS6detail15normal_iteratorINSA_10device_ptrIiEEEEPS6_SG_NS0_5tupleIJSF_S6_EEENSH_IJSG_SG_EEES6_PlJ6is_oddIiEEEE10hipError_tPvRmT3_T4_T5_T6_T7_T9_mT8_P12ihipStream_tbDpT10_ENKUlT_T0_E_clISt17integral_constantIbLb1EES16_EEDaS11_S12_EUlS11_E_NS1_11comp_targetILNS1_3genE5ELNS1_11target_archE942ELNS1_3gpuE9ELNS1_3repE0EEENS1_30default_config_static_selectorELNS0_4arch9wavefront6targetE0EEEvT1_.uses_vcc, 0
	.set _ZN7rocprim17ROCPRIM_400000_NS6detail17trampoline_kernelINS0_14default_configENS1_25partition_config_selectorILNS1_17partition_subalgoE6EiNS0_10empty_typeEbEEZZNS1_14partition_implILS5_6ELb0ES3_mN6thrust23THRUST_200600_302600_NS6detail15normal_iteratorINSA_10device_ptrIiEEEEPS6_SG_NS0_5tupleIJSF_S6_EEENSH_IJSG_SG_EEES6_PlJ6is_oddIiEEEE10hipError_tPvRmT3_T4_T5_T6_T7_T9_mT8_P12ihipStream_tbDpT10_ENKUlT_T0_E_clISt17integral_constantIbLb1EES16_EEDaS11_S12_EUlS11_E_NS1_11comp_targetILNS1_3genE5ELNS1_11target_archE942ELNS1_3gpuE9ELNS1_3repE0EEENS1_30default_config_static_selectorELNS0_4arch9wavefront6targetE0EEEvT1_.uses_flat_scratch, 0
	.set _ZN7rocprim17ROCPRIM_400000_NS6detail17trampoline_kernelINS0_14default_configENS1_25partition_config_selectorILNS1_17partition_subalgoE6EiNS0_10empty_typeEbEEZZNS1_14partition_implILS5_6ELb0ES3_mN6thrust23THRUST_200600_302600_NS6detail15normal_iteratorINSA_10device_ptrIiEEEEPS6_SG_NS0_5tupleIJSF_S6_EEENSH_IJSG_SG_EEES6_PlJ6is_oddIiEEEE10hipError_tPvRmT3_T4_T5_T6_T7_T9_mT8_P12ihipStream_tbDpT10_ENKUlT_T0_E_clISt17integral_constantIbLb1EES16_EEDaS11_S12_EUlS11_E_NS1_11comp_targetILNS1_3genE5ELNS1_11target_archE942ELNS1_3gpuE9ELNS1_3repE0EEENS1_30default_config_static_selectorELNS0_4arch9wavefront6targetE0EEEvT1_.has_dyn_sized_stack, 0
	.set _ZN7rocprim17ROCPRIM_400000_NS6detail17trampoline_kernelINS0_14default_configENS1_25partition_config_selectorILNS1_17partition_subalgoE6EiNS0_10empty_typeEbEEZZNS1_14partition_implILS5_6ELb0ES3_mN6thrust23THRUST_200600_302600_NS6detail15normal_iteratorINSA_10device_ptrIiEEEEPS6_SG_NS0_5tupleIJSF_S6_EEENSH_IJSG_SG_EEES6_PlJ6is_oddIiEEEE10hipError_tPvRmT3_T4_T5_T6_T7_T9_mT8_P12ihipStream_tbDpT10_ENKUlT_T0_E_clISt17integral_constantIbLb1EES16_EEDaS11_S12_EUlS11_E_NS1_11comp_targetILNS1_3genE5ELNS1_11target_archE942ELNS1_3gpuE9ELNS1_3repE0EEENS1_30default_config_static_selectorELNS0_4arch9wavefront6targetE0EEEvT1_.has_recursion, 0
	.set _ZN7rocprim17ROCPRIM_400000_NS6detail17trampoline_kernelINS0_14default_configENS1_25partition_config_selectorILNS1_17partition_subalgoE6EiNS0_10empty_typeEbEEZZNS1_14partition_implILS5_6ELb0ES3_mN6thrust23THRUST_200600_302600_NS6detail15normal_iteratorINSA_10device_ptrIiEEEEPS6_SG_NS0_5tupleIJSF_S6_EEENSH_IJSG_SG_EEES6_PlJ6is_oddIiEEEE10hipError_tPvRmT3_T4_T5_T6_T7_T9_mT8_P12ihipStream_tbDpT10_ENKUlT_T0_E_clISt17integral_constantIbLb1EES16_EEDaS11_S12_EUlS11_E_NS1_11comp_targetILNS1_3genE5ELNS1_11target_archE942ELNS1_3gpuE9ELNS1_3repE0EEENS1_30default_config_static_selectorELNS0_4arch9wavefront6targetE0EEEvT1_.has_indirect_call, 0
	.section	.AMDGPU.csdata,"",@progbits
; Kernel info:
; codeLenInByte = 0
; TotalNumSgprs: 0
; NumVgprs: 0
; ScratchSize: 0
; MemoryBound: 0
; FloatMode: 240
; IeeeMode: 1
; LDSByteSize: 0 bytes/workgroup (compile time only)
; SGPRBlocks: 0
; VGPRBlocks: 0
; NumSGPRsForWavesPerEU: 1
; NumVGPRsForWavesPerEU: 1
; Occupancy: 16
; WaveLimiterHint : 0
; COMPUTE_PGM_RSRC2:SCRATCH_EN: 0
; COMPUTE_PGM_RSRC2:USER_SGPR: 2
; COMPUTE_PGM_RSRC2:TRAP_HANDLER: 0
; COMPUTE_PGM_RSRC2:TGID_X_EN: 1
; COMPUTE_PGM_RSRC2:TGID_Y_EN: 0
; COMPUTE_PGM_RSRC2:TGID_Z_EN: 0
; COMPUTE_PGM_RSRC2:TIDIG_COMP_CNT: 0
	.section	.text._ZN7rocprim17ROCPRIM_400000_NS6detail17trampoline_kernelINS0_14default_configENS1_25partition_config_selectorILNS1_17partition_subalgoE6EiNS0_10empty_typeEbEEZZNS1_14partition_implILS5_6ELb0ES3_mN6thrust23THRUST_200600_302600_NS6detail15normal_iteratorINSA_10device_ptrIiEEEEPS6_SG_NS0_5tupleIJSF_S6_EEENSH_IJSG_SG_EEES6_PlJ6is_oddIiEEEE10hipError_tPvRmT3_T4_T5_T6_T7_T9_mT8_P12ihipStream_tbDpT10_ENKUlT_T0_E_clISt17integral_constantIbLb1EES16_EEDaS11_S12_EUlS11_E_NS1_11comp_targetILNS1_3genE4ELNS1_11target_archE910ELNS1_3gpuE8ELNS1_3repE0EEENS1_30default_config_static_selectorELNS0_4arch9wavefront6targetE0EEEvT1_,"axG",@progbits,_ZN7rocprim17ROCPRIM_400000_NS6detail17trampoline_kernelINS0_14default_configENS1_25partition_config_selectorILNS1_17partition_subalgoE6EiNS0_10empty_typeEbEEZZNS1_14partition_implILS5_6ELb0ES3_mN6thrust23THRUST_200600_302600_NS6detail15normal_iteratorINSA_10device_ptrIiEEEEPS6_SG_NS0_5tupleIJSF_S6_EEENSH_IJSG_SG_EEES6_PlJ6is_oddIiEEEE10hipError_tPvRmT3_T4_T5_T6_T7_T9_mT8_P12ihipStream_tbDpT10_ENKUlT_T0_E_clISt17integral_constantIbLb1EES16_EEDaS11_S12_EUlS11_E_NS1_11comp_targetILNS1_3genE4ELNS1_11target_archE910ELNS1_3gpuE8ELNS1_3repE0EEENS1_30default_config_static_selectorELNS0_4arch9wavefront6targetE0EEEvT1_,comdat
	.protected	_ZN7rocprim17ROCPRIM_400000_NS6detail17trampoline_kernelINS0_14default_configENS1_25partition_config_selectorILNS1_17partition_subalgoE6EiNS0_10empty_typeEbEEZZNS1_14partition_implILS5_6ELb0ES3_mN6thrust23THRUST_200600_302600_NS6detail15normal_iteratorINSA_10device_ptrIiEEEEPS6_SG_NS0_5tupleIJSF_S6_EEENSH_IJSG_SG_EEES6_PlJ6is_oddIiEEEE10hipError_tPvRmT3_T4_T5_T6_T7_T9_mT8_P12ihipStream_tbDpT10_ENKUlT_T0_E_clISt17integral_constantIbLb1EES16_EEDaS11_S12_EUlS11_E_NS1_11comp_targetILNS1_3genE4ELNS1_11target_archE910ELNS1_3gpuE8ELNS1_3repE0EEENS1_30default_config_static_selectorELNS0_4arch9wavefront6targetE0EEEvT1_ ; -- Begin function _ZN7rocprim17ROCPRIM_400000_NS6detail17trampoline_kernelINS0_14default_configENS1_25partition_config_selectorILNS1_17partition_subalgoE6EiNS0_10empty_typeEbEEZZNS1_14partition_implILS5_6ELb0ES3_mN6thrust23THRUST_200600_302600_NS6detail15normal_iteratorINSA_10device_ptrIiEEEEPS6_SG_NS0_5tupleIJSF_S6_EEENSH_IJSG_SG_EEES6_PlJ6is_oddIiEEEE10hipError_tPvRmT3_T4_T5_T6_T7_T9_mT8_P12ihipStream_tbDpT10_ENKUlT_T0_E_clISt17integral_constantIbLb1EES16_EEDaS11_S12_EUlS11_E_NS1_11comp_targetILNS1_3genE4ELNS1_11target_archE910ELNS1_3gpuE8ELNS1_3repE0EEENS1_30default_config_static_selectorELNS0_4arch9wavefront6targetE0EEEvT1_
	.globl	_ZN7rocprim17ROCPRIM_400000_NS6detail17trampoline_kernelINS0_14default_configENS1_25partition_config_selectorILNS1_17partition_subalgoE6EiNS0_10empty_typeEbEEZZNS1_14partition_implILS5_6ELb0ES3_mN6thrust23THRUST_200600_302600_NS6detail15normal_iteratorINSA_10device_ptrIiEEEEPS6_SG_NS0_5tupleIJSF_S6_EEENSH_IJSG_SG_EEES6_PlJ6is_oddIiEEEE10hipError_tPvRmT3_T4_T5_T6_T7_T9_mT8_P12ihipStream_tbDpT10_ENKUlT_T0_E_clISt17integral_constantIbLb1EES16_EEDaS11_S12_EUlS11_E_NS1_11comp_targetILNS1_3genE4ELNS1_11target_archE910ELNS1_3gpuE8ELNS1_3repE0EEENS1_30default_config_static_selectorELNS0_4arch9wavefront6targetE0EEEvT1_
	.p2align	8
	.type	_ZN7rocprim17ROCPRIM_400000_NS6detail17trampoline_kernelINS0_14default_configENS1_25partition_config_selectorILNS1_17partition_subalgoE6EiNS0_10empty_typeEbEEZZNS1_14partition_implILS5_6ELb0ES3_mN6thrust23THRUST_200600_302600_NS6detail15normal_iteratorINSA_10device_ptrIiEEEEPS6_SG_NS0_5tupleIJSF_S6_EEENSH_IJSG_SG_EEES6_PlJ6is_oddIiEEEE10hipError_tPvRmT3_T4_T5_T6_T7_T9_mT8_P12ihipStream_tbDpT10_ENKUlT_T0_E_clISt17integral_constantIbLb1EES16_EEDaS11_S12_EUlS11_E_NS1_11comp_targetILNS1_3genE4ELNS1_11target_archE910ELNS1_3gpuE8ELNS1_3repE0EEENS1_30default_config_static_selectorELNS0_4arch9wavefront6targetE0EEEvT1_,@function
_ZN7rocprim17ROCPRIM_400000_NS6detail17trampoline_kernelINS0_14default_configENS1_25partition_config_selectorILNS1_17partition_subalgoE6EiNS0_10empty_typeEbEEZZNS1_14partition_implILS5_6ELb0ES3_mN6thrust23THRUST_200600_302600_NS6detail15normal_iteratorINSA_10device_ptrIiEEEEPS6_SG_NS0_5tupleIJSF_S6_EEENSH_IJSG_SG_EEES6_PlJ6is_oddIiEEEE10hipError_tPvRmT3_T4_T5_T6_T7_T9_mT8_P12ihipStream_tbDpT10_ENKUlT_T0_E_clISt17integral_constantIbLb1EES16_EEDaS11_S12_EUlS11_E_NS1_11comp_targetILNS1_3genE4ELNS1_11target_archE910ELNS1_3gpuE8ELNS1_3repE0EEENS1_30default_config_static_selectorELNS0_4arch9wavefront6targetE0EEEvT1_: ; @_ZN7rocprim17ROCPRIM_400000_NS6detail17trampoline_kernelINS0_14default_configENS1_25partition_config_selectorILNS1_17partition_subalgoE6EiNS0_10empty_typeEbEEZZNS1_14partition_implILS5_6ELb0ES3_mN6thrust23THRUST_200600_302600_NS6detail15normal_iteratorINSA_10device_ptrIiEEEEPS6_SG_NS0_5tupleIJSF_S6_EEENSH_IJSG_SG_EEES6_PlJ6is_oddIiEEEE10hipError_tPvRmT3_T4_T5_T6_T7_T9_mT8_P12ihipStream_tbDpT10_ENKUlT_T0_E_clISt17integral_constantIbLb1EES16_EEDaS11_S12_EUlS11_E_NS1_11comp_targetILNS1_3genE4ELNS1_11target_archE910ELNS1_3gpuE8ELNS1_3repE0EEENS1_30default_config_static_selectorELNS0_4arch9wavefront6targetE0EEEvT1_
; %bb.0:
	.section	.rodata,"a",@progbits
	.p2align	6, 0x0
	.amdhsa_kernel _ZN7rocprim17ROCPRIM_400000_NS6detail17trampoline_kernelINS0_14default_configENS1_25partition_config_selectorILNS1_17partition_subalgoE6EiNS0_10empty_typeEbEEZZNS1_14partition_implILS5_6ELb0ES3_mN6thrust23THRUST_200600_302600_NS6detail15normal_iteratorINSA_10device_ptrIiEEEEPS6_SG_NS0_5tupleIJSF_S6_EEENSH_IJSG_SG_EEES6_PlJ6is_oddIiEEEE10hipError_tPvRmT3_T4_T5_T6_T7_T9_mT8_P12ihipStream_tbDpT10_ENKUlT_T0_E_clISt17integral_constantIbLb1EES16_EEDaS11_S12_EUlS11_E_NS1_11comp_targetILNS1_3genE4ELNS1_11target_archE910ELNS1_3gpuE8ELNS1_3repE0EEENS1_30default_config_static_selectorELNS0_4arch9wavefront6targetE0EEEvT1_
		.amdhsa_group_segment_fixed_size 0
		.amdhsa_private_segment_fixed_size 0
		.amdhsa_kernarg_size 128
		.amdhsa_user_sgpr_count 2
		.amdhsa_user_sgpr_dispatch_ptr 0
		.amdhsa_user_sgpr_queue_ptr 0
		.amdhsa_user_sgpr_kernarg_segment_ptr 1
		.amdhsa_user_sgpr_dispatch_id 0
		.amdhsa_user_sgpr_private_segment_size 0
		.amdhsa_wavefront_size32 1
		.amdhsa_uses_dynamic_stack 0
		.amdhsa_enable_private_segment 0
		.amdhsa_system_sgpr_workgroup_id_x 1
		.amdhsa_system_sgpr_workgroup_id_y 0
		.amdhsa_system_sgpr_workgroup_id_z 0
		.amdhsa_system_sgpr_workgroup_info 0
		.amdhsa_system_vgpr_workitem_id 0
		.amdhsa_next_free_vgpr 1
		.amdhsa_next_free_sgpr 1
		.amdhsa_reserve_vcc 0
		.amdhsa_float_round_mode_32 0
		.amdhsa_float_round_mode_16_64 0
		.amdhsa_float_denorm_mode_32 3
		.amdhsa_float_denorm_mode_16_64 3
		.amdhsa_fp16_overflow 0
		.amdhsa_workgroup_processor_mode 1
		.amdhsa_memory_ordered 1
		.amdhsa_forward_progress 1
		.amdhsa_inst_pref_size 0
		.amdhsa_round_robin_scheduling 0
		.amdhsa_exception_fp_ieee_invalid_op 0
		.amdhsa_exception_fp_denorm_src 0
		.amdhsa_exception_fp_ieee_div_zero 0
		.amdhsa_exception_fp_ieee_overflow 0
		.amdhsa_exception_fp_ieee_underflow 0
		.amdhsa_exception_fp_ieee_inexact 0
		.amdhsa_exception_int_div_zero 0
	.end_amdhsa_kernel
	.section	.text._ZN7rocprim17ROCPRIM_400000_NS6detail17trampoline_kernelINS0_14default_configENS1_25partition_config_selectorILNS1_17partition_subalgoE6EiNS0_10empty_typeEbEEZZNS1_14partition_implILS5_6ELb0ES3_mN6thrust23THRUST_200600_302600_NS6detail15normal_iteratorINSA_10device_ptrIiEEEEPS6_SG_NS0_5tupleIJSF_S6_EEENSH_IJSG_SG_EEES6_PlJ6is_oddIiEEEE10hipError_tPvRmT3_T4_T5_T6_T7_T9_mT8_P12ihipStream_tbDpT10_ENKUlT_T0_E_clISt17integral_constantIbLb1EES16_EEDaS11_S12_EUlS11_E_NS1_11comp_targetILNS1_3genE4ELNS1_11target_archE910ELNS1_3gpuE8ELNS1_3repE0EEENS1_30default_config_static_selectorELNS0_4arch9wavefront6targetE0EEEvT1_,"axG",@progbits,_ZN7rocprim17ROCPRIM_400000_NS6detail17trampoline_kernelINS0_14default_configENS1_25partition_config_selectorILNS1_17partition_subalgoE6EiNS0_10empty_typeEbEEZZNS1_14partition_implILS5_6ELb0ES3_mN6thrust23THRUST_200600_302600_NS6detail15normal_iteratorINSA_10device_ptrIiEEEEPS6_SG_NS0_5tupleIJSF_S6_EEENSH_IJSG_SG_EEES6_PlJ6is_oddIiEEEE10hipError_tPvRmT3_T4_T5_T6_T7_T9_mT8_P12ihipStream_tbDpT10_ENKUlT_T0_E_clISt17integral_constantIbLb1EES16_EEDaS11_S12_EUlS11_E_NS1_11comp_targetILNS1_3genE4ELNS1_11target_archE910ELNS1_3gpuE8ELNS1_3repE0EEENS1_30default_config_static_selectorELNS0_4arch9wavefront6targetE0EEEvT1_,comdat
.Lfunc_end23:
	.size	_ZN7rocprim17ROCPRIM_400000_NS6detail17trampoline_kernelINS0_14default_configENS1_25partition_config_selectorILNS1_17partition_subalgoE6EiNS0_10empty_typeEbEEZZNS1_14partition_implILS5_6ELb0ES3_mN6thrust23THRUST_200600_302600_NS6detail15normal_iteratorINSA_10device_ptrIiEEEEPS6_SG_NS0_5tupleIJSF_S6_EEENSH_IJSG_SG_EEES6_PlJ6is_oddIiEEEE10hipError_tPvRmT3_T4_T5_T6_T7_T9_mT8_P12ihipStream_tbDpT10_ENKUlT_T0_E_clISt17integral_constantIbLb1EES16_EEDaS11_S12_EUlS11_E_NS1_11comp_targetILNS1_3genE4ELNS1_11target_archE910ELNS1_3gpuE8ELNS1_3repE0EEENS1_30default_config_static_selectorELNS0_4arch9wavefront6targetE0EEEvT1_, .Lfunc_end23-_ZN7rocprim17ROCPRIM_400000_NS6detail17trampoline_kernelINS0_14default_configENS1_25partition_config_selectorILNS1_17partition_subalgoE6EiNS0_10empty_typeEbEEZZNS1_14partition_implILS5_6ELb0ES3_mN6thrust23THRUST_200600_302600_NS6detail15normal_iteratorINSA_10device_ptrIiEEEEPS6_SG_NS0_5tupleIJSF_S6_EEENSH_IJSG_SG_EEES6_PlJ6is_oddIiEEEE10hipError_tPvRmT3_T4_T5_T6_T7_T9_mT8_P12ihipStream_tbDpT10_ENKUlT_T0_E_clISt17integral_constantIbLb1EES16_EEDaS11_S12_EUlS11_E_NS1_11comp_targetILNS1_3genE4ELNS1_11target_archE910ELNS1_3gpuE8ELNS1_3repE0EEENS1_30default_config_static_selectorELNS0_4arch9wavefront6targetE0EEEvT1_
                                        ; -- End function
	.set _ZN7rocprim17ROCPRIM_400000_NS6detail17trampoline_kernelINS0_14default_configENS1_25partition_config_selectorILNS1_17partition_subalgoE6EiNS0_10empty_typeEbEEZZNS1_14partition_implILS5_6ELb0ES3_mN6thrust23THRUST_200600_302600_NS6detail15normal_iteratorINSA_10device_ptrIiEEEEPS6_SG_NS0_5tupleIJSF_S6_EEENSH_IJSG_SG_EEES6_PlJ6is_oddIiEEEE10hipError_tPvRmT3_T4_T5_T6_T7_T9_mT8_P12ihipStream_tbDpT10_ENKUlT_T0_E_clISt17integral_constantIbLb1EES16_EEDaS11_S12_EUlS11_E_NS1_11comp_targetILNS1_3genE4ELNS1_11target_archE910ELNS1_3gpuE8ELNS1_3repE0EEENS1_30default_config_static_selectorELNS0_4arch9wavefront6targetE0EEEvT1_.num_vgpr, 0
	.set _ZN7rocprim17ROCPRIM_400000_NS6detail17trampoline_kernelINS0_14default_configENS1_25partition_config_selectorILNS1_17partition_subalgoE6EiNS0_10empty_typeEbEEZZNS1_14partition_implILS5_6ELb0ES3_mN6thrust23THRUST_200600_302600_NS6detail15normal_iteratorINSA_10device_ptrIiEEEEPS6_SG_NS0_5tupleIJSF_S6_EEENSH_IJSG_SG_EEES6_PlJ6is_oddIiEEEE10hipError_tPvRmT3_T4_T5_T6_T7_T9_mT8_P12ihipStream_tbDpT10_ENKUlT_T0_E_clISt17integral_constantIbLb1EES16_EEDaS11_S12_EUlS11_E_NS1_11comp_targetILNS1_3genE4ELNS1_11target_archE910ELNS1_3gpuE8ELNS1_3repE0EEENS1_30default_config_static_selectorELNS0_4arch9wavefront6targetE0EEEvT1_.num_agpr, 0
	.set _ZN7rocprim17ROCPRIM_400000_NS6detail17trampoline_kernelINS0_14default_configENS1_25partition_config_selectorILNS1_17partition_subalgoE6EiNS0_10empty_typeEbEEZZNS1_14partition_implILS5_6ELb0ES3_mN6thrust23THRUST_200600_302600_NS6detail15normal_iteratorINSA_10device_ptrIiEEEEPS6_SG_NS0_5tupleIJSF_S6_EEENSH_IJSG_SG_EEES6_PlJ6is_oddIiEEEE10hipError_tPvRmT3_T4_T5_T6_T7_T9_mT8_P12ihipStream_tbDpT10_ENKUlT_T0_E_clISt17integral_constantIbLb1EES16_EEDaS11_S12_EUlS11_E_NS1_11comp_targetILNS1_3genE4ELNS1_11target_archE910ELNS1_3gpuE8ELNS1_3repE0EEENS1_30default_config_static_selectorELNS0_4arch9wavefront6targetE0EEEvT1_.numbered_sgpr, 0
	.set _ZN7rocprim17ROCPRIM_400000_NS6detail17trampoline_kernelINS0_14default_configENS1_25partition_config_selectorILNS1_17partition_subalgoE6EiNS0_10empty_typeEbEEZZNS1_14partition_implILS5_6ELb0ES3_mN6thrust23THRUST_200600_302600_NS6detail15normal_iteratorINSA_10device_ptrIiEEEEPS6_SG_NS0_5tupleIJSF_S6_EEENSH_IJSG_SG_EEES6_PlJ6is_oddIiEEEE10hipError_tPvRmT3_T4_T5_T6_T7_T9_mT8_P12ihipStream_tbDpT10_ENKUlT_T0_E_clISt17integral_constantIbLb1EES16_EEDaS11_S12_EUlS11_E_NS1_11comp_targetILNS1_3genE4ELNS1_11target_archE910ELNS1_3gpuE8ELNS1_3repE0EEENS1_30default_config_static_selectorELNS0_4arch9wavefront6targetE0EEEvT1_.num_named_barrier, 0
	.set _ZN7rocprim17ROCPRIM_400000_NS6detail17trampoline_kernelINS0_14default_configENS1_25partition_config_selectorILNS1_17partition_subalgoE6EiNS0_10empty_typeEbEEZZNS1_14partition_implILS5_6ELb0ES3_mN6thrust23THRUST_200600_302600_NS6detail15normal_iteratorINSA_10device_ptrIiEEEEPS6_SG_NS0_5tupleIJSF_S6_EEENSH_IJSG_SG_EEES6_PlJ6is_oddIiEEEE10hipError_tPvRmT3_T4_T5_T6_T7_T9_mT8_P12ihipStream_tbDpT10_ENKUlT_T0_E_clISt17integral_constantIbLb1EES16_EEDaS11_S12_EUlS11_E_NS1_11comp_targetILNS1_3genE4ELNS1_11target_archE910ELNS1_3gpuE8ELNS1_3repE0EEENS1_30default_config_static_selectorELNS0_4arch9wavefront6targetE0EEEvT1_.private_seg_size, 0
	.set _ZN7rocprim17ROCPRIM_400000_NS6detail17trampoline_kernelINS0_14default_configENS1_25partition_config_selectorILNS1_17partition_subalgoE6EiNS0_10empty_typeEbEEZZNS1_14partition_implILS5_6ELb0ES3_mN6thrust23THRUST_200600_302600_NS6detail15normal_iteratorINSA_10device_ptrIiEEEEPS6_SG_NS0_5tupleIJSF_S6_EEENSH_IJSG_SG_EEES6_PlJ6is_oddIiEEEE10hipError_tPvRmT3_T4_T5_T6_T7_T9_mT8_P12ihipStream_tbDpT10_ENKUlT_T0_E_clISt17integral_constantIbLb1EES16_EEDaS11_S12_EUlS11_E_NS1_11comp_targetILNS1_3genE4ELNS1_11target_archE910ELNS1_3gpuE8ELNS1_3repE0EEENS1_30default_config_static_selectorELNS0_4arch9wavefront6targetE0EEEvT1_.uses_vcc, 0
	.set _ZN7rocprim17ROCPRIM_400000_NS6detail17trampoline_kernelINS0_14default_configENS1_25partition_config_selectorILNS1_17partition_subalgoE6EiNS0_10empty_typeEbEEZZNS1_14partition_implILS5_6ELb0ES3_mN6thrust23THRUST_200600_302600_NS6detail15normal_iteratorINSA_10device_ptrIiEEEEPS6_SG_NS0_5tupleIJSF_S6_EEENSH_IJSG_SG_EEES6_PlJ6is_oddIiEEEE10hipError_tPvRmT3_T4_T5_T6_T7_T9_mT8_P12ihipStream_tbDpT10_ENKUlT_T0_E_clISt17integral_constantIbLb1EES16_EEDaS11_S12_EUlS11_E_NS1_11comp_targetILNS1_3genE4ELNS1_11target_archE910ELNS1_3gpuE8ELNS1_3repE0EEENS1_30default_config_static_selectorELNS0_4arch9wavefront6targetE0EEEvT1_.uses_flat_scratch, 0
	.set _ZN7rocprim17ROCPRIM_400000_NS6detail17trampoline_kernelINS0_14default_configENS1_25partition_config_selectorILNS1_17partition_subalgoE6EiNS0_10empty_typeEbEEZZNS1_14partition_implILS5_6ELb0ES3_mN6thrust23THRUST_200600_302600_NS6detail15normal_iteratorINSA_10device_ptrIiEEEEPS6_SG_NS0_5tupleIJSF_S6_EEENSH_IJSG_SG_EEES6_PlJ6is_oddIiEEEE10hipError_tPvRmT3_T4_T5_T6_T7_T9_mT8_P12ihipStream_tbDpT10_ENKUlT_T0_E_clISt17integral_constantIbLb1EES16_EEDaS11_S12_EUlS11_E_NS1_11comp_targetILNS1_3genE4ELNS1_11target_archE910ELNS1_3gpuE8ELNS1_3repE0EEENS1_30default_config_static_selectorELNS0_4arch9wavefront6targetE0EEEvT1_.has_dyn_sized_stack, 0
	.set _ZN7rocprim17ROCPRIM_400000_NS6detail17trampoline_kernelINS0_14default_configENS1_25partition_config_selectorILNS1_17partition_subalgoE6EiNS0_10empty_typeEbEEZZNS1_14partition_implILS5_6ELb0ES3_mN6thrust23THRUST_200600_302600_NS6detail15normal_iteratorINSA_10device_ptrIiEEEEPS6_SG_NS0_5tupleIJSF_S6_EEENSH_IJSG_SG_EEES6_PlJ6is_oddIiEEEE10hipError_tPvRmT3_T4_T5_T6_T7_T9_mT8_P12ihipStream_tbDpT10_ENKUlT_T0_E_clISt17integral_constantIbLb1EES16_EEDaS11_S12_EUlS11_E_NS1_11comp_targetILNS1_3genE4ELNS1_11target_archE910ELNS1_3gpuE8ELNS1_3repE0EEENS1_30default_config_static_selectorELNS0_4arch9wavefront6targetE0EEEvT1_.has_recursion, 0
	.set _ZN7rocprim17ROCPRIM_400000_NS6detail17trampoline_kernelINS0_14default_configENS1_25partition_config_selectorILNS1_17partition_subalgoE6EiNS0_10empty_typeEbEEZZNS1_14partition_implILS5_6ELb0ES3_mN6thrust23THRUST_200600_302600_NS6detail15normal_iteratorINSA_10device_ptrIiEEEEPS6_SG_NS0_5tupleIJSF_S6_EEENSH_IJSG_SG_EEES6_PlJ6is_oddIiEEEE10hipError_tPvRmT3_T4_T5_T6_T7_T9_mT8_P12ihipStream_tbDpT10_ENKUlT_T0_E_clISt17integral_constantIbLb1EES16_EEDaS11_S12_EUlS11_E_NS1_11comp_targetILNS1_3genE4ELNS1_11target_archE910ELNS1_3gpuE8ELNS1_3repE0EEENS1_30default_config_static_selectorELNS0_4arch9wavefront6targetE0EEEvT1_.has_indirect_call, 0
	.section	.AMDGPU.csdata,"",@progbits
; Kernel info:
; codeLenInByte = 0
; TotalNumSgprs: 0
; NumVgprs: 0
; ScratchSize: 0
; MemoryBound: 0
; FloatMode: 240
; IeeeMode: 1
; LDSByteSize: 0 bytes/workgroup (compile time only)
; SGPRBlocks: 0
; VGPRBlocks: 0
; NumSGPRsForWavesPerEU: 1
; NumVGPRsForWavesPerEU: 1
; Occupancy: 16
; WaveLimiterHint : 0
; COMPUTE_PGM_RSRC2:SCRATCH_EN: 0
; COMPUTE_PGM_RSRC2:USER_SGPR: 2
; COMPUTE_PGM_RSRC2:TRAP_HANDLER: 0
; COMPUTE_PGM_RSRC2:TGID_X_EN: 1
; COMPUTE_PGM_RSRC2:TGID_Y_EN: 0
; COMPUTE_PGM_RSRC2:TGID_Z_EN: 0
; COMPUTE_PGM_RSRC2:TIDIG_COMP_CNT: 0
	.section	.text._ZN7rocprim17ROCPRIM_400000_NS6detail17trampoline_kernelINS0_14default_configENS1_25partition_config_selectorILNS1_17partition_subalgoE6EiNS0_10empty_typeEbEEZZNS1_14partition_implILS5_6ELb0ES3_mN6thrust23THRUST_200600_302600_NS6detail15normal_iteratorINSA_10device_ptrIiEEEEPS6_SG_NS0_5tupleIJSF_S6_EEENSH_IJSG_SG_EEES6_PlJ6is_oddIiEEEE10hipError_tPvRmT3_T4_T5_T6_T7_T9_mT8_P12ihipStream_tbDpT10_ENKUlT_T0_E_clISt17integral_constantIbLb1EES16_EEDaS11_S12_EUlS11_E_NS1_11comp_targetILNS1_3genE3ELNS1_11target_archE908ELNS1_3gpuE7ELNS1_3repE0EEENS1_30default_config_static_selectorELNS0_4arch9wavefront6targetE0EEEvT1_,"axG",@progbits,_ZN7rocprim17ROCPRIM_400000_NS6detail17trampoline_kernelINS0_14default_configENS1_25partition_config_selectorILNS1_17partition_subalgoE6EiNS0_10empty_typeEbEEZZNS1_14partition_implILS5_6ELb0ES3_mN6thrust23THRUST_200600_302600_NS6detail15normal_iteratorINSA_10device_ptrIiEEEEPS6_SG_NS0_5tupleIJSF_S6_EEENSH_IJSG_SG_EEES6_PlJ6is_oddIiEEEE10hipError_tPvRmT3_T4_T5_T6_T7_T9_mT8_P12ihipStream_tbDpT10_ENKUlT_T0_E_clISt17integral_constantIbLb1EES16_EEDaS11_S12_EUlS11_E_NS1_11comp_targetILNS1_3genE3ELNS1_11target_archE908ELNS1_3gpuE7ELNS1_3repE0EEENS1_30default_config_static_selectorELNS0_4arch9wavefront6targetE0EEEvT1_,comdat
	.protected	_ZN7rocprim17ROCPRIM_400000_NS6detail17trampoline_kernelINS0_14default_configENS1_25partition_config_selectorILNS1_17partition_subalgoE6EiNS0_10empty_typeEbEEZZNS1_14partition_implILS5_6ELb0ES3_mN6thrust23THRUST_200600_302600_NS6detail15normal_iteratorINSA_10device_ptrIiEEEEPS6_SG_NS0_5tupleIJSF_S6_EEENSH_IJSG_SG_EEES6_PlJ6is_oddIiEEEE10hipError_tPvRmT3_T4_T5_T6_T7_T9_mT8_P12ihipStream_tbDpT10_ENKUlT_T0_E_clISt17integral_constantIbLb1EES16_EEDaS11_S12_EUlS11_E_NS1_11comp_targetILNS1_3genE3ELNS1_11target_archE908ELNS1_3gpuE7ELNS1_3repE0EEENS1_30default_config_static_selectorELNS0_4arch9wavefront6targetE0EEEvT1_ ; -- Begin function _ZN7rocprim17ROCPRIM_400000_NS6detail17trampoline_kernelINS0_14default_configENS1_25partition_config_selectorILNS1_17partition_subalgoE6EiNS0_10empty_typeEbEEZZNS1_14partition_implILS5_6ELb0ES3_mN6thrust23THRUST_200600_302600_NS6detail15normal_iteratorINSA_10device_ptrIiEEEEPS6_SG_NS0_5tupleIJSF_S6_EEENSH_IJSG_SG_EEES6_PlJ6is_oddIiEEEE10hipError_tPvRmT3_T4_T5_T6_T7_T9_mT8_P12ihipStream_tbDpT10_ENKUlT_T0_E_clISt17integral_constantIbLb1EES16_EEDaS11_S12_EUlS11_E_NS1_11comp_targetILNS1_3genE3ELNS1_11target_archE908ELNS1_3gpuE7ELNS1_3repE0EEENS1_30default_config_static_selectorELNS0_4arch9wavefront6targetE0EEEvT1_
	.globl	_ZN7rocprim17ROCPRIM_400000_NS6detail17trampoline_kernelINS0_14default_configENS1_25partition_config_selectorILNS1_17partition_subalgoE6EiNS0_10empty_typeEbEEZZNS1_14partition_implILS5_6ELb0ES3_mN6thrust23THRUST_200600_302600_NS6detail15normal_iteratorINSA_10device_ptrIiEEEEPS6_SG_NS0_5tupleIJSF_S6_EEENSH_IJSG_SG_EEES6_PlJ6is_oddIiEEEE10hipError_tPvRmT3_T4_T5_T6_T7_T9_mT8_P12ihipStream_tbDpT10_ENKUlT_T0_E_clISt17integral_constantIbLb1EES16_EEDaS11_S12_EUlS11_E_NS1_11comp_targetILNS1_3genE3ELNS1_11target_archE908ELNS1_3gpuE7ELNS1_3repE0EEENS1_30default_config_static_selectorELNS0_4arch9wavefront6targetE0EEEvT1_
	.p2align	8
	.type	_ZN7rocprim17ROCPRIM_400000_NS6detail17trampoline_kernelINS0_14default_configENS1_25partition_config_selectorILNS1_17partition_subalgoE6EiNS0_10empty_typeEbEEZZNS1_14partition_implILS5_6ELb0ES3_mN6thrust23THRUST_200600_302600_NS6detail15normal_iteratorINSA_10device_ptrIiEEEEPS6_SG_NS0_5tupleIJSF_S6_EEENSH_IJSG_SG_EEES6_PlJ6is_oddIiEEEE10hipError_tPvRmT3_T4_T5_T6_T7_T9_mT8_P12ihipStream_tbDpT10_ENKUlT_T0_E_clISt17integral_constantIbLb1EES16_EEDaS11_S12_EUlS11_E_NS1_11comp_targetILNS1_3genE3ELNS1_11target_archE908ELNS1_3gpuE7ELNS1_3repE0EEENS1_30default_config_static_selectorELNS0_4arch9wavefront6targetE0EEEvT1_,@function
_ZN7rocprim17ROCPRIM_400000_NS6detail17trampoline_kernelINS0_14default_configENS1_25partition_config_selectorILNS1_17partition_subalgoE6EiNS0_10empty_typeEbEEZZNS1_14partition_implILS5_6ELb0ES3_mN6thrust23THRUST_200600_302600_NS6detail15normal_iteratorINSA_10device_ptrIiEEEEPS6_SG_NS0_5tupleIJSF_S6_EEENSH_IJSG_SG_EEES6_PlJ6is_oddIiEEEE10hipError_tPvRmT3_T4_T5_T6_T7_T9_mT8_P12ihipStream_tbDpT10_ENKUlT_T0_E_clISt17integral_constantIbLb1EES16_EEDaS11_S12_EUlS11_E_NS1_11comp_targetILNS1_3genE3ELNS1_11target_archE908ELNS1_3gpuE7ELNS1_3repE0EEENS1_30default_config_static_selectorELNS0_4arch9wavefront6targetE0EEEvT1_: ; @_ZN7rocprim17ROCPRIM_400000_NS6detail17trampoline_kernelINS0_14default_configENS1_25partition_config_selectorILNS1_17partition_subalgoE6EiNS0_10empty_typeEbEEZZNS1_14partition_implILS5_6ELb0ES3_mN6thrust23THRUST_200600_302600_NS6detail15normal_iteratorINSA_10device_ptrIiEEEEPS6_SG_NS0_5tupleIJSF_S6_EEENSH_IJSG_SG_EEES6_PlJ6is_oddIiEEEE10hipError_tPvRmT3_T4_T5_T6_T7_T9_mT8_P12ihipStream_tbDpT10_ENKUlT_T0_E_clISt17integral_constantIbLb1EES16_EEDaS11_S12_EUlS11_E_NS1_11comp_targetILNS1_3genE3ELNS1_11target_archE908ELNS1_3gpuE7ELNS1_3repE0EEENS1_30default_config_static_selectorELNS0_4arch9wavefront6targetE0EEEvT1_
; %bb.0:
	.section	.rodata,"a",@progbits
	.p2align	6, 0x0
	.amdhsa_kernel _ZN7rocprim17ROCPRIM_400000_NS6detail17trampoline_kernelINS0_14default_configENS1_25partition_config_selectorILNS1_17partition_subalgoE6EiNS0_10empty_typeEbEEZZNS1_14partition_implILS5_6ELb0ES3_mN6thrust23THRUST_200600_302600_NS6detail15normal_iteratorINSA_10device_ptrIiEEEEPS6_SG_NS0_5tupleIJSF_S6_EEENSH_IJSG_SG_EEES6_PlJ6is_oddIiEEEE10hipError_tPvRmT3_T4_T5_T6_T7_T9_mT8_P12ihipStream_tbDpT10_ENKUlT_T0_E_clISt17integral_constantIbLb1EES16_EEDaS11_S12_EUlS11_E_NS1_11comp_targetILNS1_3genE3ELNS1_11target_archE908ELNS1_3gpuE7ELNS1_3repE0EEENS1_30default_config_static_selectorELNS0_4arch9wavefront6targetE0EEEvT1_
		.amdhsa_group_segment_fixed_size 0
		.amdhsa_private_segment_fixed_size 0
		.amdhsa_kernarg_size 128
		.amdhsa_user_sgpr_count 2
		.amdhsa_user_sgpr_dispatch_ptr 0
		.amdhsa_user_sgpr_queue_ptr 0
		.amdhsa_user_sgpr_kernarg_segment_ptr 1
		.amdhsa_user_sgpr_dispatch_id 0
		.amdhsa_user_sgpr_private_segment_size 0
		.amdhsa_wavefront_size32 1
		.amdhsa_uses_dynamic_stack 0
		.amdhsa_enable_private_segment 0
		.amdhsa_system_sgpr_workgroup_id_x 1
		.amdhsa_system_sgpr_workgroup_id_y 0
		.amdhsa_system_sgpr_workgroup_id_z 0
		.amdhsa_system_sgpr_workgroup_info 0
		.amdhsa_system_vgpr_workitem_id 0
		.amdhsa_next_free_vgpr 1
		.amdhsa_next_free_sgpr 1
		.amdhsa_reserve_vcc 0
		.amdhsa_float_round_mode_32 0
		.amdhsa_float_round_mode_16_64 0
		.amdhsa_float_denorm_mode_32 3
		.amdhsa_float_denorm_mode_16_64 3
		.amdhsa_fp16_overflow 0
		.amdhsa_workgroup_processor_mode 1
		.amdhsa_memory_ordered 1
		.amdhsa_forward_progress 1
		.amdhsa_inst_pref_size 0
		.amdhsa_round_robin_scheduling 0
		.amdhsa_exception_fp_ieee_invalid_op 0
		.amdhsa_exception_fp_denorm_src 0
		.amdhsa_exception_fp_ieee_div_zero 0
		.amdhsa_exception_fp_ieee_overflow 0
		.amdhsa_exception_fp_ieee_underflow 0
		.amdhsa_exception_fp_ieee_inexact 0
		.amdhsa_exception_int_div_zero 0
	.end_amdhsa_kernel
	.section	.text._ZN7rocprim17ROCPRIM_400000_NS6detail17trampoline_kernelINS0_14default_configENS1_25partition_config_selectorILNS1_17partition_subalgoE6EiNS0_10empty_typeEbEEZZNS1_14partition_implILS5_6ELb0ES3_mN6thrust23THRUST_200600_302600_NS6detail15normal_iteratorINSA_10device_ptrIiEEEEPS6_SG_NS0_5tupleIJSF_S6_EEENSH_IJSG_SG_EEES6_PlJ6is_oddIiEEEE10hipError_tPvRmT3_T4_T5_T6_T7_T9_mT8_P12ihipStream_tbDpT10_ENKUlT_T0_E_clISt17integral_constantIbLb1EES16_EEDaS11_S12_EUlS11_E_NS1_11comp_targetILNS1_3genE3ELNS1_11target_archE908ELNS1_3gpuE7ELNS1_3repE0EEENS1_30default_config_static_selectorELNS0_4arch9wavefront6targetE0EEEvT1_,"axG",@progbits,_ZN7rocprim17ROCPRIM_400000_NS6detail17trampoline_kernelINS0_14default_configENS1_25partition_config_selectorILNS1_17partition_subalgoE6EiNS0_10empty_typeEbEEZZNS1_14partition_implILS5_6ELb0ES3_mN6thrust23THRUST_200600_302600_NS6detail15normal_iteratorINSA_10device_ptrIiEEEEPS6_SG_NS0_5tupleIJSF_S6_EEENSH_IJSG_SG_EEES6_PlJ6is_oddIiEEEE10hipError_tPvRmT3_T4_T5_T6_T7_T9_mT8_P12ihipStream_tbDpT10_ENKUlT_T0_E_clISt17integral_constantIbLb1EES16_EEDaS11_S12_EUlS11_E_NS1_11comp_targetILNS1_3genE3ELNS1_11target_archE908ELNS1_3gpuE7ELNS1_3repE0EEENS1_30default_config_static_selectorELNS0_4arch9wavefront6targetE0EEEvT1_,comdat
.Lfunc_end24:
	.size	_ZN7rocprim17ROCPRIM_400000_NS6detail17trampoline_kernelINS0_14default_configENS1_25partition_config_selectorILNS1_17partition_subalgoE6EiNS0_10empty_typeEbEEZZNS1_14partition_implILS5_6ELb0ES3_mN6thrust23THRUST_200600_302600_NS6detail15normal_iteratorINSA_10device_ptrIiEEEEPS6_SG_NS0_5tupleIJSF_S6_EEENSH_IJSG_SG_EEES6_PlJ6is_oddIiEEEE10hipError_tPvRmT3_T4_T5_T6_T7_T9_mT8_P12ihipStream_tbDpT10_ENKUlT_T0_E_clISt17integral_constantIbLb1EES16_EEDaS11_S12_EUlS11_E_NS1_11comp_targetILNS1_3genE3ELNS1_11target_archE908ELNS1_3gpuE7ELNS1_3repE0EEENS1_30default_config_static_selectorELNS0_4arch9wavefront6targetE0EEEvT1_, .Lfunc_end24-_ZN7rocprim17ROCPRIM_400000_NS6detail17trampoline_kernelINS0_14default_configENS1_25partition_config_selectorILNS1_17partition_subalgoE6EiNS0_10empty_typeEbEEZZNS1_14partition_implILS5_6ELb0ES3_mN6thrust23THRUST_200600_302600_NS6detail15normal_iteratorINSA_10device_ptrIiEEEEPS6_SG_NS0_5tupleIJSF_S6_EEENSH_IJSG_SG_EEES6_PlJ6is_oddIiEEEE10hipError_tPvRmT3_T4_T5_T6_T7_T9_mT8_P12ihipStream_tbDpT10_ENKUlT_T0_E_clISt17integral_constantIbLb1EES16_EEDaS11_S12_EUlS11_E_NS1_11comp_targetILNS1_3genE3ELNS1_11target_archE908ELNS1_3gpuE7ELNS1_3repE0EEENS1_30default_config_static_selectorELNS0_4arch9wavefront6targetE0EEEvT1_
                                        ; -- End function
	.set _ZN7rocprim17ROCPRIM_400000_NS6detail17trampoline_kernelINS0_14default_configENS1_25partition_config_selectorILNS1_17partition_subalgoE6EiNS0_10empty_typeEbEEZZNS1_14partition_implILS5_6ELb0ES3_mN6thrust23THRUST_200600_302600_NS6detail15normal_iteratorINSA_10device_ptrIiEEEEPS6_SG_NS0_5tupleIJSF_S6_EEENSH_IJSG_SG_EEES6_PlJ6is_oddIiEEEE10hipError_tPvRmT3_T4_T5_T6_T7_T9_mT8_P12ihipStream_tbDpT10_ENKUlT_T0_E_clISt17integral_constantIbLb1EES16_EEDaS11_S12_EUlS11_E_NS1_11comp_targetILNS1_3genE3ELNS1_11target_archE908ELNS1_3gpuE7ELNS1_3repE0EEENS1_30default_config_static_selectorELNS0_4arch9wavefront6targetE0EEEvT1_.num_vgpr, 0
	.set _ZN7rocprim17ROCPRIM_400000_NS6detail17trampoline_kernelINS0_14default_configENS1_25partition_config_selectorILNS1_17partition_subalgoE6EiNS0_10empty_typeEbEEZZNS1_14partition_implILS5_6ELb0ES3_mN6thrust23THRUST_200600_302600_NS6detail15normal_iteratorINSA_10device_ptrIiEEEEPS6_SG_NS0_5tupleIJSF_S6_EEENSH_IJSG_SG_EEES6_PlJ6is_oddIiEEEE10hipError_tPvRmT3_T4_T5_T6_T7_T9_mT8_P12ihipStream_tbDpT10_ENKUlT_T0_E_clISt17integral_constantIbLb1EES16_EEDaS11_S12_EUlS11_E_NS1_11comp_targetILNS1_3genE3ELNS1_11target_archE908ELNS1_3gpuE7ELNS1_3repE0EEENS1_30default_config_static_selectorELNS0_4arch9wavefront6targetE0EEEvT1_.num_agpr, 0
	.set _ZN7rocprim17ROCPRIM_400000_NS6detail17trampoline_kernelINS0_14default_configENS1_25partition_config_selectorILNS1_17partition_subalgoE6EiNS0_10empty_typeEbEEZZNS1_14partition_implILS5_6ELb0ES3_mN6thrust23THRUST_200600_302600_NS6detail15normal_iteratorINSA_10device_ptrIiEEEEPS6_SG_NS0_5tupleIJSF_S6_EEENSH_IJSG_SG_EEES6_PlJ6is_oddIiEEEE10hipError_tPvRmT3_T4_T5_T6_T7_T9_mT8_P12ihipStream_tbDpT10_ENKUlT_T0_E_clISt17integral_constantIbLb1EES16_EEDaS11_S12_EUlS11_E_NS1_11comp_targetILNS1_3genE3ELNS1_11target_archE908ELNS1_3gpuE7ELNS1_3repE0EEENS1_30default_config_static_selectorELNS0_4arch9wavefront6targetE0EEEvT1_.numbered_sgpr, 0
	.set _ZN7rocprim17ROCPRIM_400000_NS6detail17trampoline_kernelINS0_14default_configENS1_25partition_config_selectorILNS1_17partition_subalgoE6EiNS0_10empty_typeEbEEZZNS1_14partition_implILS5_6ELb0ES3_mN6thrust23THRUST_200600_302600_NS6detail15normal_iteratorINSA_10device_ptrIiEEEEPS6_SG_NS0_5tupleIJSF_S6_EEENSH_IJSG_SG_EEES6_PlJ6is_oddIiEEEE10hipError_tPvRmT3_T4_T5_T6_T7_T9_mT8_P12ihipStream_tbDpT10_ENKUlT_T0_E_clISt17integral_constantIbLb1EES16_EEDaS11_S12_EUlS11_E_NS1_11comp_targetILNS1_3genE3ELNS1_11target_archE908ELNS1_3gpuE7ELNS1_3repE0EEENS1_30default_config_static_selectorELNS0_4arch9wavefront6targetE0EEEvT1_.num_named_barrier, 0
	.set _ZN7rocprim17ROCPRIM_400000_NS6detail17trampoline_kernelINS0_14default_configENS1_25partition_config_selectorILNS1_17partition_subalgoE6EiNS0_10empty_typeEbEEZZNS1_14partition_implILS5_6ELb0ES3_mN6thrust23THRUST_200600_302600_NS6detail15normal_iteratorINSA_10device_ptrIiEEEEPS6_SG_NS0_5tupleIJSF_S6_EEENSH_IJSG_SG_EEES6_PlJ6is_oddIiEEEE10hipError_tPvRmT3_T4_T5_T6_T7_T9_mT8_P12ihipStream_tbDpT10_ENKUlT_T0_E_clISt17integral_constantIbLb1EES16_EEDaS11_S12_EUlS11_E_NS1_11comp_targetILNS1_3genE3ELNS1_11target_archE908ELNS1_3gpuE7ELNS1_3repE0EEENS1_30default_config_static_selectorELNS0_4arch9wavefront6targetE0EEEvT1_.private_seg_size, 0
	.set _ZN7rocprim17ROCPRIM_400000_NS6detail17trampoline_kernelINS0_14default_configENS1_25partition_config_selectorILNS1_17partition_subalgoE6EiNS0_10empty_typeEbEEZZNS1_14partition_implILS5_6ELb0ES3_mN6thrust23THRUST_200600_302600_NS6detail15normal_iteratorINSA_10device_ptrIiEEEEPS6_SG_NS0_5tupleIJSF_S6_EEENSH_IJSG_SG_EEES6_PlJ6is_oddIiEEEE10hipError_tPvRmT3_T4_T5_T6_T7_T9_mT8_P12ihipStream_tbDpT10_ENKUlT_T0_E_clISt17integral_constantIbLb1EES16_EEDaS11_S12_EUlS11_E_NS1_11comp_targetILNS1_3genE3ELNS1_11target_archE908ELNS1_3gpuE7ELNS1_3repE0EEENS1_30default_config_static_selectorELNS0_4arch9wavefront6targetE0EEEvT1_.uses_vcc, 0
	.set _ZN7rocprim17ROCPRIM_400000_NS6detail17trampoline_kernelINS0_14default_configENS1_25partition_config_selectorILNS1_17partition_subalgoE6EiNS0_10empty_typeEbEEZZNS1_14partition_implILS5_6ELb0ES3_mN6thrust23THRUST_200600_302600_NS6detail15normal_iteratorINSA_10device_ptrIiEEEEPS6_SG_NS0_5tupleIJSF_S6_EEENSH_IJSG_SG_EEES6_PlJ6is_oddIiEEEE10hipError_tPvRmT3_T4_T5_T6_T7_T9_mT8_P12ihipStream_tbDpT10_ENKUlT_T0_E_clISt17integral_constantIbLb1EES16_EEDaS11_S12_EUlS11_E_NS1_11comp_targetILNS1_3genE3ELNS1_11target_archE908ELNS1_3gpuE7ELNS1_3repE0EEENS1_30default_config_static_selectorELNS0_4arch9wavefront6targetE0EEEvT1_.uses_flat_scratch, 0
	.set _ZN7rocprim17ROCPRIM_400000_NS6detail17trampoline_kernelINS0_14default_configENS1_25partition_config_selectorILNS1_17partition_subalgoE6EiNS0_10empty_typeEbEEZZNS1_14partition_implILS5_6ELb0ES3_mN6thrust23THRUST_200600_302600_NS6detail15normal_iteratorINSA_10device_ptrIiEEEEPS6_SG_NS0_5tupleIJSF_S6_EEENSH_IJSG_SG_EEES6_PlJ6is_oddIiEEEE10hipError_tPvRmT3_T4_T5_T6_T7_T9_mT8_P12ihipStream_tbDpT10_ENKUlT_T0_E_clISt17integral_constantIbLb1EES16_EEDaS11_S12_EUlS11_E_NS1_11comp_targetILNS1_3genE3ELNS1_11target_archE908ELNS1_3gpuE7ELNS1_3repE0EEENS1_30default_config_static_selectorELNS0_4arch9wavefront6targetE0EEEvT1_.has_dyn_sized_stack, 0
	.set _ZN7rocprim17ROCPRIM_400000_NS6detail17trampoline_kernelINS0_14default_configENS1_25partition_config_selectorILNS1_17partition_subalgoE6EiNS0_10empty_typeEbEEZZNS1_14partition_implILS5_6ELb0ES3_mN6thrust23THRUST_200600_302600_NS6detail15normal_iteratorINSA_10device_ptrIiEEEEPS6_SG_NS0_5tupleIJSF_S6_EEENSH_IJSG_SG_EEES6_PlJ6is_oddIiEEEE10hipError_tPvRmT3_T4_T5_T6_T7_T9_mT8_P12ihipStream_tbDpT10_ENKUlT_T0_E_clISt17integral_constantIbLb1EES16_EEDaS11_S12_EUlS11_E_NS1_11comp_targetILNS1_3genE3ELNS1_11target_archE908ELNS1_3gpuE7ELNS1_3repE0EEENS1_30default_config_static_selectorELNS0_4arch9wavefront6targetE0EEEvT1_.has_recursion, 0
	.set _ZN7rocprim17ROCPRIM_400000_NS6detail17trampoline_kernelINS0_14default_configENS1_25partition_config_selectorILNS1_17partition_subalgoE6EiNS0_10empty_typeEbEEZZNS1_14partition_implILS5_6ELb0ES3_mN6thrust23THRUST_200600_302600_NS6detail15normal_iteratorINSA_10device_ptrIiEEEEPS6_SG_NS0_5tupleIJSF_S6_EEENSH_IJSG_SG_EEES6_PlJ6is_oddIiEEEE10hipError_tPvRmT3_T4_T5_T6_T7_T9_mT8_P12ihipStream_tbDpT10_ENKUlT_T0_E_clISt17integral_constantIbLb1EES16_EEDaS11_S12_EUlS11_E_NS1_11comp_targetILNS1_3genE3ELNS1_11target_archE908ELNS1_3gpuE7ELNS1_3repE0EEENS1_30default_config_static_selectorELNS0_4arch9wavefront6targetE0EEEvT1_.has_indirect_call, 0
	.section	.AMDGPU.csdata,"",@progbits
; Kernel info:
; codeLenInByte = 0
; TotalNumSgprs: 0
; NumVgprs: 0
; ScratchSize: 0
; MemoryBound: 0
; FloatMode: 240
; IeeeMode: 1
; LDSByteSize: 0 bytes/workgroup (compile time only)
; SGPRBlocks: 0
; VGPRBlocks: 0
; NumSGPRsForWavesPerEU: 1
; NumVGPRsForWavesPerEU: 1
; Occupancy: 16
; WaveLimiterHint : 0
; COMPUTE_PGM_RSRC2:SCRATCH_EN: 0
; COMPUTE_PGM_RSRC2:USER_SGPR: 2
; COMPUTE_PGM_RSRC2:TRAP_HANDLER: 0
; COMPUTE_PGM_RSRC2:TGID_X_EN: 1
; COMPUTE_PGM_RSRC2:TGID_Y_EN: 0
; COMPUTE_PGM_RSRC2:TGID_Z_EN: 0
; COMPUTE_PGM_RSRC2:TIDIG_COMP_CNT: 0
	.section	.text._ZN7rocprim17ROCPRIM_400000_NS6detail17trampoline_kernelINS0_14default_configENS1_25partition_config_selectorILNS1_17partition_subalgoE6EiNS0_10empty_typeEbEEZZNS1_14partition_implILS5_6ELb0ES3_mN6thrust23THRUST_200600_302600_NS6detail15normal_iteratorINSA_10device_ptrIiEEEEPS6_SG_NS0_5tupleIJSF_S6_EEENSH_IJSG_SG_EEES6_PlJ6is_oddIiEEEE10hipError_tPvRmT3_T4_T5_T6_T7_T9_mT8_P12ihipStream_tbDpT10_ENKUlT_T0_E_clISt17integral_constantIbLb1EES16_EEDaS11_S12_EUlS11_E_NS1_11comp_targetILNS1_3genE2ELNS1_11target_archE906ELNS1_3gpuE6ELNS1_3repE0EEENS1_30default_config_static_selectorELNS0_4arch9wavefront6targetE0EEEvT1_,"axG",@progbits,_ZN7rocprim17ROCPRIM_400000_NS6detail17trampoline_kernelINS0_14default_configENS1_25partition_config_selectorILNS1_17partition_subalgoE6EiNS0_10empty_typeEbEEZZNS1_14partition_implILS5_6ELb0ES3_mN6thrust23THRUST_200600_302600_NS6detail15normal_iteratorINSA_10device_ptrIiEEEEPS6_SG_NS0_5tupleIJSF_S6_EEENSH_IJSG_SG_EEES6_PlJ6is_oddIiEEEE10hipError_tPvRmT3_T4_T5_T6_T7_T9_mT8_P12ihipStream_tbDpT10_ENKUlT_T0_E_clISt17integral_constantIbLb1EES16_EEDaS11_S12_EUlS11_E_NS1_11comp_targetILNS1_3genE2ELNS1_11target_archE906ELNS1_3gpuE6ELNS1_3repE0EEENS1_30default_config_static_selectorELNS0_4arch9wavefront6targetE0EEEvT1_,comdat
	.protected	_ZN7rocprim17ROCPRIM_400000_NS6detail17trampoline_kernelINS0_14default_configENS1_25partition_config_selectorILNS1_17partition_subalgoE6EiNS0_10empty_typeEbEEZZNS1_14partition_implILS5_6ELb0ES3_mN6thrust23THRUST_200600_302600_NS6detail15normal_iteratorINSA_10device_ptrIiEEEEPS6_SG_NS0_5tupleIJSF_S6_EEENSH_IJSG_SG_EEES6_PlJ6is_oddIiEEEE10hipError_tPvRmT3_T4_T5_T6_T7_T9_mT8_P12ihipStream_tbDpT10_ENKUlT_T0_E_clISt17integral_constantIbLb1EES16_EEDaS11_S12_EUlS11_E_NS1_11comp_targetILNS1_3genE2ELNS1_11target_archE906ELNS1_3gpuE6ELNS1_3repE0EEENS1_30default_config_static_selectorELNS0_4arch9wavefront6targetE0EEEvT1_ ; -- Begin function _ZN7rocprim17ROCPRIM_400000_NS6detail17trampoline_kernelINS0_14default_configENS1_25partition_config_selectorILNS1_17partition_subalgoE6EiNS0_10empty_typeEbEEZZNS1_14partition_implILS5_6ELb0ES3_mN6thrust23THRUST_200600_302600_NS6detail15normal_iteratorINSA_10device_ptrIiEEEEPS6_SG_NS0_5tupleIJSF_S6_EEENSH_IJSG_SG_EEES6_PlJ6is_oddIiEEEE10hipError_tPvRmT3_T4_T5_T6_T7_T9_mT8_P12ihipStream_tbDpT10_ENKUlT_T0_E_clISt17integral_constantIbLb1EES16_EEDaS11_S12_EUlS11_E_NS1_11comp_targetILNS1_3genE2ELNS1_11target_archE906ELNS1_3gpuE6ELNS1_3repE0EEENS1_30default_config_static_selectorELNS0_4arch9wavefront6targetE0EEEvT1_
	.globl	_ZN7rocprim17ROCPRIM_400000_NS6detail17trampoline_kernelINS0_14default_configENS1_25partition_config_selectorILNS1_17partition_subalgoE6EiNS0_10empty_typeEbEEZZNS1_14partition_implILS5_6ELb0ES3_mN6thrust23THRUST_200600_302600_NS6detail15normal_iteratorINSA_10device_ptrIiEEEEPS6_SG_NS0_5tupleIJSF_S6_EEENSH_IJSG_SG_EEES6_PlJ6is_oddIiEEEE10hipError_tPvRmT3_T4_T5_T6_T7_T9_mT8_P12ihipStream_tbDpT10_ENKUlT_T0_E_clISt17integral_constantIbLb1EES16_EEDaS11_S12_EUlS11_E_NS1_11comp_targetILNS1_3genE2ELNS1_11target_archE906ELNS1_3gpuE6ELNS1_3repE0EEENS1_30default_config_static_selectorELNS0_4arch9wavefront6targetE0EEEvT1_
	.p2align	8
	.type	_ZN7rocprim17ROCPRIM_400000_NS6detail17trampoline_kernelINS0_14default_configENS1_25partition_config_selectorILNS1_17partition_subalgoE6EiNS0_10empty_typeEbEEZZNS1_14partition_implILS5_6ELb0ES3_mN6thrust23THRUST_200600_302600_NS6detail15normal_iteratorINSA_10device_ptrIiEEEEPS6_SG_NS0_5tupleIJSF_S6_EEENSH_IJSG_SG_EEES6_PlJ6is_oddIiEEEE10hipError_tPvRmT3_T4_T5_T6_T7_T9_mT8_P12ihipStream_tbDpT10_ENKUlT_T0_E_clISt17integral_constantIbLb1EES16_EEDaS11_S12_EUlS11_E_NS1_11comp_targetILNS1_3genE2ELNS1_11target_archE906ELNS1_3gpuE6ELNS1_3repE0EEENS1_30default_config_static_selectorELNS0_4arch9wavefront6targetE0EEEvT1_,@function
_ZN7rocprim17ROCPRIM_400000_NS6detail17trampoline_kernelINS0_14default_configENS1_25partition_config_selectorILNS1_17partition_subalgoE6EiNS0_10empty_typeEbEEZZNS1_14partition_implILS5_6ELb0ES3_mN6thrust23THRUST_200600_302600_NS6detail15normal_iteratorINSA_10device_ptrIiEEEEPS6_SG_NS0_5tupleIJSF_S6_EEENSH_IJSG_SG_EEES6_PlJ6is_oddIiEEEE10hipError_tPvRmT3_T4_T5_T6_T7_T9_mT8_P12ihipStream_tbDpT10_ENKUlT_T0_E_clISt17integral_constantIbLb1EES16_EEDaS11_S12_EUlS11_E_NS1_11comp_targetILNS1_3genE2ELNS1_11target_archE906ELNS1_3gpuE6ELNS1_3repE0EEENS1_30default_config_static_selectorELNS0_4arch9wavefront6targetE0EEEvT1_: ; @_ZN7rocprim17ROCPRIM_400000_NS6detail17trampoline_kernelINS0_14default_configENS1_25partition_config_selectorILNS1_17partition_subalgoE6EiNS0_10empty_typeEbEEZZNS1_14partition_implILS5_6ELb0ES3_mN6thrust23THRUST_200600_302600_NS6detail15normal_iteratorINSA_10device_ptrIiEEEEPS6_SG_NS0_5tupleIJSF_S6_EEENSH_IJSG_SG_EEES6_PlJ6is_oddIiEEEE10hipError_tPvRmT3_T4_T5_T6_T7_T9_mT8_P12ihipStream_tbDpT10_ENKUlT_T0_E_clISt17integral_constantIbLb1EES16_EEDaS11_S12_EUlS11_E_NS1_11comp_targetILNS1_3genE2ELNS1_11target_archE906ELNS1_3gpuE6ELNS1_3repE0EEENS1_30default_config_static_selectorELNS0_4arch9wavefront6targetE0EEEvT1_
; %bb.0:
	.section	.rodata,"a",@progbits
	.p2align	6, 0x0
	.amdhsa_kernel _ZN7rocprim17ROCPRIM_400000_NS6detail17trampoline_kernelINS0_14default_configENS1_25partition_config_selectorILNS1_17partition_subalgoE6EiNS0_10empty_typeEbEEZZNS1_14partition_implILS5_6ELb0ES3_mN6thrust23THRUST_200600_302600_NS6detail15normal_iteratorINSA_10device_ptrIiEEEEPS6_SG_NS0_5tupleIJSF_S6_EEENSH_IJSG_SG_EEES6_PlJ6is_oddIiEEEE10hipError_tPvRmT3_T4_T5_T6_T7_T9_mT8_P12ihipStream_tbDpT10_ENKUlT_T0_E_clISt17integral_constantIbLb1EES16_EEDaS11_S12_EUlS11_E_NS1_11comp_targetILNS1_3genE2ELNS1_11target_archE906ELNS1_3gpuE6ELNS1_3repE0EEENS1_30default_config_static_selectorELNS0_4arch9wavefront6targetE0EEEvT1_
		.amdhsa_group_segment_fixed_size 0
		.amdhsa_private_segment_fixed_size 0
		.amdhsa_kernarg_size 128
		.amdhsa_user_sgpr_count 2
		.amdhsa_user_sgpr_dispatch_ptr 0
		.amdhsa_user_sgpr_queue_ptr 0
		.amdhsa_user_sgpr_kernarg_segment_ptr 1
		.amdhsa_user_sgpr_dispatch_id 0
		.amdhsa_user_sgpr_private_segment_size 0
		.amdhsa_wavefront_size32 1
		.amdhsa_uses_dynamic_stack 0
		.amdhsa_enable_private_segment 0
		.amdhsa_system_sgpr_workgroup_id_x 1
		.amdhsa_system_sgpr_workgroup_id_y 0
		.amdhsa_system_sgpr_workgroup_id_z 0
		.amdhsa_system_sgpr_workgroup_info 0
		.amdhsa_system_vgpr_workitem_id 0
		.amdhsa_next_free_vgpr 1
		.amdhsa_next_free_sgpr 1
		.amdhsa_reserve_vcc 0
		.amdhsa_float_round_mode_32 0
		.amdhsa_float_round_mode_16_64 0
		.amdhsa_float_denorm_mode_32 3
		.amdhsa_float_denorm_mode_16_64 3
		.amdhsa_fp16_overflow 0
		.amdhsa_workgroup_processor_mode 1
		.amdhsa_memory_ordered 1
		.amdhsa_forward_progress 1
		.amdhsa_inst_pref_size 0
		.amdhsa_round_robin_scheduling 0
		.amdhsa_exception_fp_ieee_invalid_op 0
		.amdhsa_exception_fp_denorm_src 0
		.amdhsa_exception_fp_ieee_div_zero 0
		.amdhsa_exception_fp_ieee_overflow 0
		.amdhsa_exception_fp_ieee_underflow 0
		.amdhsa_exception_fp_ieee_inexact 0
		.amdhsa_exception_int_div_zero 0
	.end_amdhsa_kernel
	.section	.text._ZN7rocprim17ROCPRIM_400000_NS6detail17trampoline_kernelINS0_14default_configENS1_25partition_config_selectorILNS1_17partition_subalgoE6EiNS0_10empty_typeEbEEZZNS1_14partition_implILS5_6ELb0ES3_mN6thrust23THRUST_200600_302600_NS6detail15normal_iteratorINSA_10device_ptrIiEEEEPS6_SG_NS0_5tupleIJSF_S6_EEENSH_IJSG_SG_EEES6_PlJ6is_oddIiEEEE10hipError_tPvRmT3_T4_T5_T6_T7_T9_mT8_P12ihipStream_tbDpT10_ENKUlT_T0_E_clISt17integral_constantIbLb1EES16_EEDaS11_S12_EUlS11_E_NS1_11comp_targetILNS1_3genE2ELNS1_11target_archE906ELNS1_3gpuE6ELNS1_3repE0EEENS1_30default_config_static_selectorELNS0_4arch9wavefront6targetE0EEEvT1_,"axG",@progbits,_ZN7rocprim17ROCPRIM_400000_NS6detail17trampoline_kernelINS0_14default_configENS1_25partition_config_selectorILNS1_17partition_subalgoE6EiNS0_10empty_typeEbEEZZNS1_14partition_implILS5_6ELb0ES3_mN6thrust23THRUST_200600_302600_NS6detail15normal_iteratorINSA_10device_ptrIiEEEEPS6_SG_NS0_5tupleIJSF_S6_EEENSH_IJSG_SG_EEES6_PlJ6is_oddIiEEEE10hipError_tPvRmT3_T4_T5_T6_T7_T9_mT8_P12ihipStream_tbDpT10_ENKUlT_T0_E_clISt17integral_constantIbLb1EES16_EEDaS11_S12_EUlS11_E_NS1_11comp_targetILNS1_3genE2ELNS1_11target_archE906ELNS1_3gpuE6ELNS1_3repE0EEENS1_30default_config_static_selectorELNS0_4arch9wavefront6targetE0EEEvT1_,comdat
.Lfunc_end25:
	.size	_ZN7rocprim17ROCPRIM_400000_NS6detail17trampoline_kernelINS0_14default_configENS1_25partition_config_selectorILNS1_17partition_subalgoE6EiNS0_10empty_typeEbEEZZNS1_14partition_implILS5_6ELb0ES3_mN6thrust23THRUST_200600_302600_NS6detail15normal_iteratorINSA_10device_ptrIiEEEEPS6_SG_NS0_5tupleIJSF_S6_EEENSH_IJSG_SG_EEES6_PlJ6is_oddIiEEEE10hipError_tPvRmT3_T4_T5_T6_T7_T9_mT8_P12ihipStream_tbDpT10_ENKUlT_T0_E_clISt17integral_constantIbLb1EES16_EEDaS11_S12_EUlS11_E_NS1_11comp_targetILNS1_3genE2ELNS1_11target_archE906ELNS1_3gpuE6ELNS1_3repE0EEENS1_30default_config_static_selectorELNS0_4arch9wavefront6targetE0EEEvT1_, .Lfunc_end25-_ZN7rocprim17ROCPRIM_400000_NS6detail17trampoline_kernelINS0_14default_configENS1_25partition_config_selectorILNS1_17partition_subalgoE6EiNS0_10empty_typeEbEEZZNS1_14partition_implILS5_6ELb0ES3_mN6thrust23THRUST_200600_302600_NS6detail15normal_iteratorINSA_10device_ptrIiEEEEPS6_SG_NS0_5tupleIJSF_S6_EEENSH_IJSG_SG_EEES6_PlJ6is_oddIiEEEE10hipError_tPvRmT3_T4_T5_T6_T7_T9_mT8_P12ihipStream_tbDpT10_ENKUlT_T0_E_clISt17integral_constantIbLb1EES16_EEDaS11_S12_EUlS11_E_NS1_11comp_targetILNS1_3genE2ELNS1_11target_archE906ELNS1_3gpuE6ELNS1_3repE0EEENS1_30default_config_static_selectorELNS0_4arch9wavefront6targetE0EEEvT1_
                                        ; -- End function
	.set _ZN7rocprim17ROCPRIM_400000_NS6detail17trampoline_kernelINS0_14default_configENS1_25partition_config_selectorILNS1_17partition_subalgoE6EiNS0_10empty_typeEbEEZZNS1_14partition_implILS5_6ELb0ES3_mN6thrust23THRUST_200600_302600_NS6detail15normal_iteratorINSA_10device_ptrIiEEEEPS6_SG_NS0_5tupleIJSF_S6_EEENSH_IJSG_SG_EEES6_PlJ6is_oddIiEEEE10hipError_tPvRmT3_T4_T5_T6_T7_T9_mT8_P12ihipStream_tbDpT10_ENKUlT_T0_E_clISt17integral_constantIbLb1EES16_EEDaS11_S12_EUlS11_E_NS1_11comp_targetILNS1_3genE2ELNS1_11target_archE906ELNS1_3gpuE6ELNS1_3repE0EEENS1_30default_config_static_selectorELNS0_4arch9wavefront6targetE0EEEvT1_.num_vgpr, 0
	.set _ZN7rocprim17ROCPRIM_400000_NS6detail17trampoline_kernelINS0_14default_configENS1_25partition_config_selectorILNS1_17partition_subalgoE6EiNS0_10empty_typeEbEEZZNS1_14partition_implILS5_6ELb0ES3_mN6thrust23THRUST_200600_302600_NS6detail15normal_iteratorINSA_10device_ptrIiEEEEPS6_SG_NS0_5tupleIJSF_S6_EEENSH_IJSG_SG_EEES6_PlJ6is_oddIiEEEE10hipError_tPvRmT3_T4_T5_T6_T7_T9_mT8_P12ihipStream_tbDpT10_ENKUlT_T0_E_clISt17integral_constantIbLb1EES16_EEDaS11_S12_EUlS11_E_NS1_11comp_targetILNS1_3genE2ELNS1_11target_archE906ELNS1_3gpuE6ELNS1_3repE0EEENS1_30default_config_static_selectorELNS0_4arch9wavefront6targetE0EEEvT1_.num_agpr, 0
	.set _ZN7rocprim17ROCPRIM_400000_NS6detail17trampoline_kernelINS0_14default_configENS1_25partition_config_selectorILNS1_17partition_subalgoE6EiNS0_10empty_typeEbEEZZNS1_14partition_implILS5_6ELb0ES3_mN6thrust23THRUST_200600_302600_NS6detail15normal_iteratorINSA_10device_ptrIiEEEEPS6_SG_NS0_5tupleIJSF_S6_EEENSH_IJSG_SG_EEES6_PlJ6is_oddIiEEEE10hipError_tPvRmT3_T4_T5_T6_T7_T9_mT8_P12ihipStream_tbDpT10_ENKUlT_T0_E_clISt17integral_constantIbLb1EES16_EEDaS11_S12_EUlS11_E_NS1_11comp_targetILNS1_3genE2ELNS1_11target_archE906ELNS1_3gpuE6ELNS1_3repE0EEENS1_30default_config_static_selectorELNS0_4arch9wavefront6targetE0EEEvT1_.numbered_sgpr, 0
	.set _ZN7rocprim17ROCPRIM_400000_NS6detail17trampoline_kernelINS0_14default_configENS1_25partition_config_selectorILNS1_17partition_subalgoE6EiNS0_10empty_typeEbEEZZNS1_14partition_implILS5_6ELb0ES3_mN6thrust23THRUST_200600_302600_NS6detail15normal_iteratorINSA_10device_ptrIiEEEEPS6_SG_NS0_5tupleIJSF_S6_EEENSH_IJSG_SG_EEES6_PlJ6is_oddIiEEEE10hipError_tPvRmT3_T4_T5_T6_T7_T9_mT8_P12ihipStream_tbDpT10_ENKUlT_T0_E_clISt17integral_constantIbLb1EES16_EEDaS11_S12_EUlS11_E_NS1_11comp_targetILNS1_3genE2ELNS1_11target_archE906ELNS1_3gpuE6ELNS1_3repE0EEENS1_30default_config_static_selectorELNS0_4arch9wavefront6targetE0EEEvT1_.num_named_barrier, 0
	.set _ZN7rocprim17ROCPRIM_400000_NS6detail17trampoline_kernelINS0_14default_configENS1_25partition_config_selectorILNS1_17partition_subalgoE6EiNS0_10empty_typeEbEEZZNS1_14partition_implILS5_6ELb0ES3_mN6thrust23THRUST_200600_302600_NS6detail15normal_iteratorINSA_10device_ptrIiEEEEPS6_SG_NS0_5tupleIJSF_S6_EEENSH_IJSG_SG_EEES6_PlJ6is_oddIiEEEE10hipError_tPvRmT3_T4_T5_T6_T7_T9_mT8_P12ihipStream_tbDpT10_ENKUlT_T0_E_clISt17integral_constantIbLb1EES16_EEDaS11_S12_EUlS11_E_NS1_11comp_targetILNS1_3genE2ELNS1_11target_archE906ELNS1_3gpuE6ELNS1_3repE0EEENS1_30default_config_static_selectorELNS0_4arch9wavefront6targetE0EEEvT1_.private_seg_size, 0
	.set _ZN7rocprim17ROCPRIM_400000_NS6detail17trampoline_kernelINS0_14default_configENS1_25partition_config_selectorILNS1_17partition_subalgoE6EiNS0_10empty_typeEbEEZZNS1_14partition_implILS5_6ELb0ES3_mN6thrust23THRUST_200600_302600_NS6detail15normal_iteratorINSA_10device_ptrIiEEEEPS6_SG_NS0_5tupleIJSF_S6_EEENSH_IJSG_SG_EEES6_PlJ6is_oddIiEEEE10hipError_tPvRmT3_T4_T5_T6_T7_T9_mT8_P12ihipStream_tbDpT10_ENKUlT_T0_E_clISt17integral_constantIbLb1EES16_EEDaS11_S12_EUlS11_E_NS1_11comp_targetILNS1_3genE2ELNS1_11target_archE906ELNS1_3gpuE6ELNS1_3repE0EEENS1_30default_config_static_selectorELNS0_4arch9wavefront6targetE0EEEvT1_.uses_vcc, 0
	.set _ZN7rocprim17ROCPRIM_400000_NS6detail17trampoline_kernelINS0_14default_configENS1_25partition_config_selectorILNS1_17partition_subalgoE6EiNS0_10empty_typeEbEEZZNS1_14partition_implILS5_6ELb0ES3_mN6thrust23THRUST_200600_302600_NS6detail15normal_iteratorINSA_10device_ptrIiEEEEPS6_SG_NS0_5tupleIJSF_S6_EEENSH_IJSG_SG_EEES6_PlJ6is_oddIiEEEE10hipError_tPvRmT3_T4_T5_T6_T7_T9_mT8_P12ihipStream_tbDpT10_ENKUlT_T0_E_clISt17integral_constantIbLb1EES16_EEDaS11_S12_EUlS11_E_NS1_11comp_targetILNS1_3genE2ELNS1_11target_archE906ELNS1_3gpuE6ELNS1_3repE0EEENS1_30default_config_static_selectorELNS0_4arch9wavefront6targetE0EEEvT1_.uses_flat_scratch, 0
	.set _ZN7rocprim17ROCPRIM_400000_NS6detail17trampoline_kernelINS0_14default_configENS1_25partition_config_selectorILNS1_17partition_subalgoE6EiNS0_10empty_typeEbEEZZNS1_14partition_implILS5_6ELb0ES3_mN6thrust23THRUST_200600_302600_NS6detail15normal_iteratorINSA_10device_ptrIiEEEEPS6_SG_NS0_5tupleIJSF_S6_EEENSH_IJSG_SG_EEES6_PlJ6is_oddIiEEEE10hipError_tPvRmT3_T4_T5_T6_T7_T9_mT8_P12ihipStream_tbDpT10_ENKUlT_T0_E_clISt17integral_constantIbLb1EES16_EEDaS11_S12_EUlS11_E_NS1_11comp_targetILNS1_3genE2ELNS1_11target_archE906ELNS1_3gpuE6ELNS1_3repE0EEENS1_30default_config_static_selectorELNS0_4arch9wavefront6targetE0EEEvT1_.has_dyn_sized_stack, 0
	.set _ZN7rocprim17ROCPRIM_400000_NS6detail17trampoline_kernelINS0_14default_configENS1_25partition_config_selectorILNS1_17partition_subalgoE6EiNS0_10empty_typeEbEEZZNS1_14partition_implILS5_6ELb0ES3_mN6thrust23THRUST_200600_302600_NS6detail15normal_iteratorINSA_10device_ptrIiEEEEPS6_SG_NS0_5tupleIJSF_S6_EEENSH_IJSG_SG_EEES6_PlJ6is_oddIiEEEE10hipError_tPvRmT3_T4_T5_T6_T7_T9_mT8_P12ihipStream_tbDpT10_ENKUlT_T0_E_clISt17integral_constantIbLb1EES16_EEDaS11_S12_EUlS11_E_NS1_11comp_targetILNS1_3genE2ELNS1_11target_archE906ELNS1_3gpuE6ELNS1_3repE0EEENS1_30default_config_static_selectorELNS0_4arch9wavefront6targetE0EEEvT1_.has_recursion, 0
	.set _ZN7rocprim17ROCPRIM_400000_NS6detail17trampoline_kernelINS0_14default_configENS1_25partition_config_selectorILNS1_17partition_subalgoE6EiNS0_10empty_typeEbEEZZNS1_14partition_implILS5_6ELb0ES3_mN6thrust23THRUST_200600_302600_NS6detail15normal_iteratorINSA_10device_ptrIiEEEEPS6_SG_NS0_5tupleIJSF_S6_EEENSH_IJSG_SG_EEES6_PlJ6is_oddIiEEEE10hipError_tPvRmT3_T4_T5_T6_T7_T9_mT8_P12ihipStream_tbDpT10_ENKUlT_T0_E_clISt17integral_constantIbLb1EES16_EEDaS11_S12_EUlS11_E_NS1_11comp_targetILNS1_3genE2ELNS1_11target_archE906ELNS1_3gpuE6ELNS1_3repE0EEENS1_30default_config_static_selectorELNS0_4arch9wavefront6targetE0EEEvT1_.has_indirect_call, 0
	.section	.AMDGPU.csdata,"",@progbits
; Kernel info:
; codeLenInByte = 0
; TotalNumSgprs: 0
; NumVgprs: 0
; ScratchSize: 0
; MemoryBound: 0
; FloatMode: 240
; IeeeMode: 1
; LDSByteSize: 0 bytes/workgroup (compile time only)
; SGPRBlocks: 0
; VGPRBlocks: 0
; NumSGPRsForWavesPerEU: 1
; NumVGPRsForWavesPerEU: 1
; Occupancy: 16
; WaveLimiterHint : 0
; COMPUTE_PGM_RSRC2:SCRATCH_EN: 0
; COMPUTE_PGM_RSRC2:USER_SGPR: 2
; COMPUTE_PGM_RSRC2:TRAP_HANDLER: 0
; COMPUTE_PGM_RSRC2:TGID_X_EN: 1
; COMPUTE_PGM_RSRC2:TGID_Y_EN: 0
; COMPUTE_PGM_RSRC2:TGID_Z_EN: 0
; COMPUTE_PGM_RSRC2:TIDIG_COMP_CNT: 0
	.section	.text._ZN7rocprim17ROCPRIM_400000_NS6detail17trampoline_kernelINS0_14default_configENS1_25partition_config_selectorILNS1_17partition_subalgoE6EiNS0_10empty_typeEbEEZZNS1_14partition_implILS5_6ELb0ES3_mN6thrust23THRUST_200600_302600_NS6detail15normal_iteratorINSA_10device_ptrIiEEEEPS6_SG_NS0_5tupleIJSF_S6_EEENSH_IJSG_SG_EEES6_PlJ6is_oddIiEEEE10hipError_tPvRmT3_T4_T5_T6_T7_T9_mT8_P12ihipStream_tbDpT10_ENKUlT_T0_E_clISt17integral_constantIbLb1EES16_EEDaS11_S12_EUlS11_E_NS1_11comp_targetILNS1_3genE10ELNS1_11target_archE1200ELNS1_3gpuE4ELNS1_3repE0EEENS1_30default_config_static_selectorELNS0_4arch9wavefront6targetE0EEEvT1_,"axG",@progbits,_ZN7rocprim17ROCPRIM_400000_NS6detail17trampoline_kernelINS0_14default_configENS1_25partition_config_selectorILNS1_17partition_subalgoE6EiNS0_10empty_typeEbEEZZNS1_14partition_implILS5_6ELb0ES3_mN6thrust23THRUST_200600_302600_NS6detail15normal_iteratorINSA_10device_ptrIiEEEEPS6_SG_NS0_5tupleIJSF_S6_EEENSH_IJSG_SG_EEES6_PlJ6is_oddIiEEEE10hipError_tPvRmT3_T4_T5_T6_T7_T9_mT8_P12ihipStream_tbDpT10_ENKUlT_T0_E_clISt17integral_constantIbLb1EES16_EEDaS11_S12_EUlS11_E_NS1_11comp_targetILNS1_3genE10ELNS1_11target_archE1200ELNS1_3gpuE4ELNS1_3repE0EEENS1_30default_config_static_selectorELNS0_4arch9wavefront6targetE0EEEvT1_,comdat
	.protected	_ZN7rocprim17ROCPRIM_400000_NS6detail17trampoline_kernelINS0_14default_configENS1_25partition_config_selectorILNS1_17partition_subalgoE6EiNS0_10empty_typeEbEEZZNS1_14partition_implILS5_6ELb0ES3_mN6thrust23THRUST_200600_302600_NS6detail15normal_iteratorINSA_10device_ptrIiEEEEPS6_SG_NS0_5tupleIJSF_S6_EEENSH_IJSG_SG_EEES6_PlJ6is_oddIiEEEE10hipError_tPvRmT3_T4_T5_T6_T7_T9_mT8_P12ihipStream_tbDpT10_ENKUlT_T0_E_clISt17integral_constantIbLb1EES16_EEDaS11_S12_EUlS11_E_NS1_11comp_targetILNS1_3genE10ELNS1_11target_archE1200ELNS1_3gpuE4ELNS1_3repE0EEENS1_30default_config_static_selectorELNS0_4arch9wavefront6targetE0EEEvT1_ ; -- Begin function _ZN7rocprim17ROCPRIM_400000_NS6detail17trampoline_kernelINS0_14default_configENS1_25partition_config_selectorILNS1_17partition_subalgoE6EiNS0_10empty_typeEbEEZZNS1_14partition_implILS5_6ELb0ES3_mN6thrust23THRUST_200600_302600_NS6detail15normal_iteratorINSA_10device_ptrIiEEEEPS6_SG_NS0_5tupleIJSF_S6_EEENSH_IJSG_SG_EEES6_PlJ6is_oddIiEEEE10hipError_tPvRmT3_T4_T5_T6_T7_T9_mT8_P12ihipStream_tbDpT10_ENKUlT_T0_E_clISt17integral_constantIbLb1EES16_EEDaS11_S12_EUlS11_E_NS1_11comp_targetILNS1_3genE10ELNS1_11target_archE1200ELNS1_3gpuE4ELNS1_3repE0EEENS1_30default_config_static_selectorELNS0_4arch9wavefront6targetE0EEEvT1_
	.globl	_ZN7rocprim17ROCPRIM_400000_NS6detail17trampoline_kernelINS0_14default_configENS1_25partition_config_selectorILNS1_17partition_subalgoE6EiNS0_10empty_typeEbEEZZNS1_14partition_implILS5_6ELb0ES3_mN6thrust23THRUST_200600_302600_NS6detail15normal_iteratorINSA_10device_ptrIiEEEEPS6_SG_NS0_5tupleIJSF_S6_EEENSH_IJSG_SG_EEES6_PlJ6is_oddIiEEEE10hipError_tPvRmT3_T4_T5_T6_T7_T9_mT8_P12ihipStream_tbDpT10_ENKUlT_T0_E_clISt17integral_constantIbLb1EES16_EEDaS11_S12_EUlS11_E_NS1_11comp_targetILNS1_3genE10ELNS1_11target_archE1200ELNS1_3gpuE4ELNS1_3repE0EEENS1_30default_config_static_selectorELNS0_4arch9wavefront6targetE0EEEvT1_
	.p2align	8
	.type	_ZN7rocprim17ROCPRIM_400000_NS6detail17trampoline_kernelINS0_14default_configENS1_25partition_config_selectorILNS1_17partition_subalgoE6EiNS0_10empty_typeEbEEZZNS1_14partition_implILS5_6ELb0ES3_mN6thrust23THRUST_200600_302600_NS6detail15normal_iteratorINSA_10device_ptrIiEEEEPS6_SG_NS0_5tupleIJSF_S6_EEENSH_IJSG_SG_EEES6_PlJ6is_oddIiEEEE10hipError_tPvRmT3_T4_T5_T6_T7_T9_mT8_P12ihipStream_tbDpT10_ENKUlT_T0_E_clISt17integral_constantIbLb1EES16_EEDaS11_S12_EUlS11_E_NS1_11comp_targetILNS1_3genE10ELNS1_11target_archE1200ELNS1_3gpuE4ELNS1_3repE0EEENS1_30default_config_static_selectorELNS0_4arch9wavefront6targetE0EEEvT1_,@function
_ZN7rocprim17ROCPRIM_400000_NS6detail17trampoline_kernelINS0_14default_configENS1_25partition_config_selectorILNS1_17partition_subalgoE6EiNS0_10empty_typeEbEEZZNS1_14partition_implILS5_6ELb0ES3_mN6thrust23THRUST_200600_302600_NS6detail15normal_iteratorINSA_10device_ptrIiEEEEPS6_SG_NS0_5tupleIJSF_S6_EEENSH_IJSG_SG_EEES6_PlJ6is_oddIiEEEE10hipError_tPvRmT3_T4_T5_T6_T7_T9_mT8_P12ihipStream_tbDpT10_ENKUlT_T0_E_clISt17integral_constantIbLb1EES16_EEDaS11_S12_EUlS11_E_NS1_11comp_targetILNS1_3genE10ELNS1_11target_archE1200ELNS1_3gpuE4ELNS1_3repE0EEENS1_30default_config_static_selectorELNS0_4arch9wavefront6targetE0EEEvT1_: ; @_ZN7rocprim17ROCPRIM_400000_NS6detail17trampoline_kernelINS0_14default_configENS1_25partition_config_selectorILNS1_17partition_subalgoE6EiNS0_10empty_typeEbEEZZNS1_14partition_implILS5_6ELb0ES3_mN6thrust23THRUST_200600_302600_NS6detail15normal_iteratorINSA_10device_ptrIiEEEEPS6_SG_NS0_5tupleIJSF_S6_EEENSH_IJSG_SG_EEES6_PlJ6is_oddIiEEEE10hipError_tPvRmT3_T4_T5_T6_T7_T9_mT8_P12ihipStream_tbDpT10_ENKUlT_T0_E_clISt17integral_constantIbLb1EES16_EEDaS11_S12_EUlS11_E_NS1_11comp_targetILNS1_3genE10ELNS1_11target_archE1200ELNS1_3gpuE4ELNS1_3repE0EEENS1_30default_config_static_selectorELNS0_4arch9wavefront6targetE0EEEvT1_
; %bb.0:
	s_endpgm
	.section	.rodata,"a",@progbits
	.p2align	6, 0x0
	.amdhsa_kernel _ZN7rocprim17ROCPRIM_400000_NS6detail17trampoline_kernelINS0_14default_configENS1_25partition_config_selectorILNS1_17partition_subalgoE6EiNS0_10empty_typeEbEEZZNS1_14partition_implILS5_6ELb0ES3_mN6thrust23THRUST_200600_302600_NS6detail15normal_iteratorINSA_10device_ptrIiEEEEPS6_SG_NS0_5tupleIJSF_S6_EEENSH_IJSG_SG_EEES6_PlJ6is_oddIiEEEE10hipError_tPvRmT3_T4_T5_T6_T7_T9_mT8_P12ihipStream_tbDpT10_ENKUlT_T0_E_clISt17integral_constantIbLb1EES16_EEDaS11_S12_EUlS11_E_NS1_11comp_targetILNS1_3genE10ELNS1_11target_archE1200ELNS1_3gpuE4ELNS1_3repE0EEENS1_30default_config_static_selectorELNS0_4arch9wavefront6targetE0EEEvT1_
		.amdhsa_group_segment_fixed_size 0
		.amdhsa_private_segment_fixed_size 0
		.amdhsa_kernarg_size 128
		.amdhsa_user_sgpr_count 2
		.amdhsa_user_sgpr_dispatch_ptr 0
		.amdhsa_user_sgpr_queue_ptr 0
		.amdhsa_user_sgpr_kernarg_segment_ptr 1
		.amdhsa_user_sgpr_dispatch_id 0
		.amdhsa_user_sgpr_private_segment_size 0
		.amdhsa_wavefront_size32 1
		.amdhsa_uses_dynamic_stack 0
		.amdhsa_enable_private_segment 0
		.amdhsa_system_sgpr_workgroup_id_x 1
		.amdhsa_system_sgpr_workgroup_id_y 0
		.amdhsa_system_sgpr_workgroup_id_z 0
		.amdhsa_system_sgpr_workgroup_info 0
		.amdhsa_system_vgpr_workitem_id 0
		.amdhsa_next_free_vgpr 1
		.amdhsa_next_free_sgpr 1
		.amdhsa_reserve_vcc 0
		.amdhsa_float_round_mode_32 0
		.amdhsa_float_round_mode_16_64 0
		.amdhsa_float_denorm_mode_32 3
		.amdhsa_float_denorm_mode_16_64 3
		.amdhsa_fp16_overflow 0
		.amdhsa_workgroup_processor_mode 1
		.amdhsa_memory_ordered 1
		.amdhsa_forward_progress 1
		.amdhsa_inst_pref_size 1
		.amdhsa_round_robin_scheduling 0
		.amdhsa_exception_fp_ieee_invalid_op 0
		.amdhsa_exception_fp_denorm_src 0
		.amdhsa_exception_fp_ieee_div_zero 0
		.amdhsa_exception_fp_ieee_overflow 0
		.amdhsa_exception_fp_ieee_underflow 0
		.amdhsa_exception_fp_ieee_inexact 0
		.amdhsa_exception_int_div_zero 0
	.end_amdhsa_kernel
	.section	.text._ZN7rocprim17ROCPRIM_400000_NS6detail17trampoline_kernelINS0_14default_configENS1_25partition_config_selectorILNS1_17partition_subalgoE6EiNS0_10empty_typeEbEEZZNS1_14partition_implILS5_6ELb0ES3_mN6thrust23THRUST_200600_302600_NS6detail15normal_iteratorINSA_10device_ptrIiEEEEPS6_SG_NS0_5tupleIJSF_S6_EEENSH_IJSG_SG_EEES6_PlJ6is_oddIiEEEE10hipError_tPvRmT3_T4_T5_T6_T7_T9_mT8_P12ihipStream_tbDpT10_ENKUlT_T0_E_clISt17integral_constantIbLb1EES16_EEDaS11_S12_EUlS11_E_NS1_11comp_targetILNS1_3genE10ELNS1_11target_archE1200ELNS1_3gpuE4ELNS1_3repE0EEENS1_30default_config_static_selectorELNS0_4arch9wavefront6targetE0EEEvT1_,"axG",@progbits,_ZN7rocprim17ROCPRIM_400000_NS6detail17trampoline_kernelINS0_14default_configENS1_25partition_config_selectorILNS1_17partition_subalgoE6EiNS0_10empty_typeEbEEZZNS1_14partition_implILS5_6ELb0ES3_mN6thrust23THRUST_200600_302600_NS6detail15normal_iteratorINSA_10device_ptrIiEEEEPS6_SG_NS0_5tupleIJSF_S6_EEENSH_IJSG_SG_EEES6_PlJ6is_oddIiEEEE10hipError_tPvRmT3_T4_T5_T6_T7_T9_mT8_P12ihipStream_tbDpT10_ENKUlT_T0_E_clISt17integral_constantIbLb1EES16_EEDaS11_S12_EUlS11_E_NS1_11comp_targetILNS1_3genE10ELNS1_11target_archE1200ELNS1_3gpuE4ELNS1_3repE0EEENS1_30default_config_static_selectorELNS0_4arch9wavefront6targetE0EEEvT1_,comdat
.Lfunc_end26:
	.size	_ZN7rocprim17ROCPRIM_400000_NS6detail17trampoline_kernelINS0_14default_configENS1_25partition_config_selectorILNS1_17partition_subalgoE6EiNS0_10empty_typeEbEEZZNS1_14partition_implILS5_6ELb0ES3_mN6thrust23THRUST_200600_302600_NS6detail15normal_iteratorINSA_10device_ptrIiEEEEPS6_SG_NS0_5tupleIJSF_S6_EEENSH_IJSG_SG_EEES6_PlJ6is_oddIiEEEE10hipError_tPvRmT3_T4_T5_T6_T7_T9_mT8_P12ihipStream_tbDpT10_ENKUlT_T0_E_clISt17integral_constantIbLb1EES16_EEDaS11_S12_EUlS11_E_NS1_11comp_targetILNS1_3genE10ELNS1_11target_archE1200ELNS1_3gpuE4ELNS1_3repE0EEENS1_30default_config_static_selectorELNS0_4arch9wavefront6targetE0EEEvT1_, .Lfunc_end26-_ZN7rocprim17ROCPRIM_400000_NS6detail17trampoline_kernelINS0_14default_configENS1_25partition_config_selectorILNS1_17partition_subalgoE6EiNS0_10empty_typeEbEEZZNS1_14partition_implILS5_6ELb0ES3_mN6thrust23THRUST_200600_302600_NS6detail15normal_iteratorINSA_10device_ptrIiEEEEPS6_SG_NS0_5tupleIJSF_S6_EEENSH_IJSG_SG_EEES6_PlJ6is_oddIiEEEE10hipError_tPvRmT3_T4_T5_T6_T7_T9_mT8_P12ihipStream_tbDpT10_ENKUlT_T0_E_clISt17integral_constantIbLb1EES16_EEDaS11_S12_EUlS11_E_NS1_11comp_targetILNS1_3genE10ELNS1_11target_archE1200ELNS1_3gpuE4ELNS1_3repE0EEENS1_30default_config_static_selectorELNS0_4arch9wavefront6targetE0EEEvT1_
                                        ; -- End function
	.set _ZN7rocprim17ROCPRIM_400000_NS6detail17trampoline_kernelINS0_14default_configENS1_25partition_config_selectorILNS1_17partition_subalgoE6EiNS0_10empty_typeEbEEZZNS1_14partition_implILS5_6ELb0ES3_mN6thrust23THRUST_200600_302600_NS6detail15normal_iteratorINSA_10device_ptrIiEEEEPS6_SG_NS0_5tupleIJSF_S6_EEENSH_IJSG_SG_EEES6_PlJ6is_oddIiEEEE10hipError_tPvRmT3_T4_T5_T6_T7_T9_mT8_P12ihipStream_tbDpT10_ENKUlT_T0_E_clISt17integral_constantIbLb1EES16_EEDaS11_S12_EUlS11_E_NS1_11comp_targetILNS1_3genE10ELNS1_11target_archE1200ELNS1_3gpuE4ELNS1_3repE0EEENS1_30default_config_static_selectorELNS0_4arch9wavefront6targetE0EEEvT1_.num_vgpr, 0
	.set _ZN7rocprim17ROCPRIM_400000_NS6detail17trampoline_kernelINS0_14default_configENS1_25partition_config_selectorILNS1_17partition_subalgoE6EiNS0_10empty_typeEbEEZZNS1_14partition_implILS5_6ELb0ES3_mN6thrust23THRUST_200600_302600_NS6detail15normal_iteratorINSA_10device_ptrIiEEEEPS6_SG_NS0_5tupleIJSF_S6_EEENSH_IJSG_SG_EEES6_PlJ6is_oddIiEEEE10hipError_tPvRmT3_T4_T5_T6_T7_T9_mT8_P12ihipStream_tbDpT10_ENKUlT_T0_E_clISt17integral_constantIbLb1EES16_EEDaS11_S12_EUlS11_E_NS1_11comp_targetILNS1_3genE10ELNS1_11target_archE1200ELNS1_3gpuE4ELNS1_3repE0EEENS1_30default_config_static_selectorELNS0_4arch9wavefront6targetE0EEEvT1_.num_agpr, 0
	.set _ZN7rocprim17ROCPRIM_400000_NS6detail17trampoline_kernelINS0_14default_configENS1_25partition_config_selectorILNS1_17partition_subalgoE6EiNS0_10empty_typeEbEEZZNS1_14partition_implILS5_6ELb0ES3_mN6thrust23THRUST_200600_302600_NS6detail15normal_iteratorINSA_10device_ptrIiEEEEPS6_SG_NS0_5tupleIJSF_S6_EEENSH_IJSG_SG_EEES6_PlJ6is_oddIiEEEE10hipError_tPvRmT3_T4_T5_T6_T7_T9_mT8_P12ihipStream_tbDpT10_ENKUlT_T0_E_clISt17integral_constantIbLb1EES16_EEDaS11_S12_EUlS11_E_NS1_11comp_targetILNS1_3genE10ELNS1_11target_archE1200ELNS1_3gpuE4ELNS1_3repE0EEENS1_30default_config_static_selectorELNS0_4arch9wavefront6targetE0EEEvT1_.numbered_sgpr, 0
	.set _ZN7rocprim17ROCPRIM_400000_NS6detail17trampoline_kernelINS0_14default_configENS1_25partition_config_selectorILNS1_17partition_subalgoE6EiNS0_10empty_typeEbEEZZNS1_14partition_implILS5_6ELb0ES3_mN6thrust23THRUST_200600_302600_NS6detail15normal_iteratorINSA_10device_ptrIiEEEEPS6_SG_NS0_5tupleIJSF_S6_EEENSH_IJSG_SG_EEES6_PlJ6is_oddIiEEEE10hipError_tPvRmT3_T4_T5_T6_T7_T9_mT8_P12ihipStream_tbDpT10_ENKUlT_T0_E_clISt17integral_constantIbLb1EES16_EEDaS11_S12_EUlS11_E_NS1_11comp_targetILNS1_3genE10ELNS1_11target_archE1200ELNS1_3gpuE4ELNS1_3repE0EEENS1_30default_config_static_selectorELNS0_4arch9wavefront6targetE0EEEvT1_.num_named_barrier, 0
	.set _ZN7rocprim17ROCPRIM_400000_NS6detail17trampoline_kernelINS0_14default_configENS1_25partition_config_selectorILNS1_17partition_subalgoE6EiNS0_10empty_typeEbEEZZNS1_14partition_implILS5_6ELb0ES3_mN6thrust23THRUST_200600_302600_NS6detail15normal_iteratorINSA_10device_ptrIiEEEEPS6_SG_NS0_5tupleIJSF_S6_EEENSH_IJSG_SG_EEES6_PlJ6is_oddIiEEEE10hipError_tPvRmT3_T4_T5_T6_T7_T9_mT8_P12ihipStream_tbDpT10_ENKUlT_T0_E_clISt17integral_constantIbLb1EES16_EEDaS11_S12_EUlS11_E_NS1_11comp_targetILNS1_3genE10ELNS1_11target_archE1200ELNS1_3gpuE4ELNS1_3repE0EEENS1_30default_config_static_selectorELNS0_4arch9wavefront6targetE0EEEvT1_.private_seg_size, 0
	.set _ZN7rocprim17ROCPRIM_400000_NS6detail17trampoline_kernelINS0_14default_configENS1_25partition_config_selectorILNS1_17partition_subalgoE6EiNS0_10empty_typeEbEEZZNS1_14partition_implILS5_6ELb0ES3_mN6thrust23THRUST_200600_302600_NS6detail15normal_iteratorINSA_10device_ptrIiEEEEPS6_SG_NS0_5tupleIJSF_S6_EEENSH_IJSG_SG_EEES6_PlJ6is_oddIiEEEE10hipError_tPvRmT3_T4_T5_T6_T7_T9_mT8_P12ihipStream_tbDpT10_ENKUlT_T0_E_clISt17integral_constantIbLb1EES16_EEDaS11_S12_EUlS11_E_NS1_11comp_targetILNS1_3genE10ELNS1_11target_archE1200ELNS1_3gpuE4ELNS1_3repE0EEENS1_30default_config_static_selectorELNS0_4arch9wavefront6targetE0EEEvT1_.uses_vcc, 0
	.set _ZN7rocprim17ROCPRIM_400000_NS6detail17trampoline_kernelINS0_14default_configENS1_25partition_config_selectorILNS1_17partition_subalgoE6EiNS0_10empty_typeEbEEZZNS1_14partition_implILS5_6ELb0ES3_mN6thrust23THRUST_200600_302600_NS6detail15normal_iteratorINSA_10device_ptrIiEEEEPS6_SG_NS0_5tupleIJSF_S6_EEENSH_IJSG_SG_EEES6_PlJ6is_oddIiEEEE10hipError_tPvRmT3_T4_T5_T6_T7_T9_mT8_P12ihipStream_tbDpT10_ENKUlT_T0_E_clISt17integral_constantIbLb1EES16_EEDaS11_S12_EUlS11_E_NS1_11comp_targetILNS1_3genE10ELNS1_11target_archE1200ELNS1_3gpuE4ELNS1_3repE0EEENS1_30default_config_static_selectorELNS0_4arch9wavefront6targetE0EEEvT1_.uses_flat_scratch, 0
	.set _ZN7rocprim17ROCPRIM_400000_NS6detail17trampoline_kernelINS0_14default_configENS1_25partition_config_selectorILNS1_17partition_subalgoE6EiNS0_10empty_typeEbEEZZNS1_14partition_implILS5_6ELb0ES3_mN6thrust23THRUST_200600_302600_NS6detail15normal_iteratorINSA_10device_ptrIiEEEEPS6_SG_NS0_5tupleIJSF_S6_EEENSH_IJSG_SG_EEES6_PlJ6is_oddIiEEEE10hipError_tPvRmT3_T4_T5_T6_T7_T9_mT8_P12ihipStream_tbDpT10_ENKUlT_T0_E_clISt17integral_constantIbLb1EES16_EEDaS11_S12_EUlS11_E_NS1_11comp_targetILNS1_3genE10ELNS1_11target_archE1200ELNS1_3gpuE4ELNS1_3repE0EEENS1_30default_config_static_selectorELNS0_4arch9wavefront6targetE0EEEvT1_.has_dyn_sized_stack, 0
	.set _ZN7rocprim17ROCPRIM_400000_NS6detail17trampoline_kernelINS0_14default_configENS1_25partition_config_selectorILNS1_17partition_subalgoE6EiNS0_10empty_typeEbEEZZNS1_14partition_implILS5_6ELb0ES3_mN6thrust23THRUST_200600_302600_NS6detail15normal_iteratorINSA_10device_ptrIiEEEEPS6_SG_NS0_5tupleIJSF_S6_EEENSH_IJSG_SG_EEES6_PlJ6is_oddIiEEEE10hipError_tPvRmT3_T4_T5_T6_T7_T9_mT8_P12ihipStream_tbDpT10_ENKUlT_T0_E_clISt17integral_constantIbLb1EES16_EEDaS11_S12_EUlS11_E_NS1_11comp_targetILNS1_3genE10ELNS1_11target_archE1200ELNS1_3gpuE4ELNS1_3repE0EEENS1_30default_config_static_selectorELNS0_4arch9wavefront6targetE0EEEvT1_.has_recursion, 0
	.set _ZN7rocprim17ROCPRIM_400000_NS6detail17trampoline_kernelINS0_14default_configENS1_25partition_config_selectorILNS1_17partition_subalgoE6EiNS0_10empty_typeEbEEZZNS1_14partition_implILS5_6ELb0ES3_mN6thrust23THRUST_200600_302600_NS6detail15normal_iteratorINSA_10device_ptrIiEEEEPS6_SG_NS0_5tupleIJSF_S6_EEENSH_IJSG_SG_EEES6_PlJ6is_oddIiEEEE10hipError_tPvRmT3_T4_T5_T6_T7_T9_mT8_P12ihipStream_tbDpT10_ENKUlT_T0_E_clISt17integral_constantIbLb1EES16_EEDaS11_S12_EUlS11_E_NS1_11comp_targetILNS1_3genE10ELNS1_11target_archE1200ELNS1_3gpuE4ELNS1_3repE0EEENS1_30default_config_static_selectorELNS0_4arch9wavefront6targetE0EEEvT1_.has_indirect_call, 0
	.section	.AMDGPU.csdata,"",@progbits
; Kernel info:
; codeLenInByte = 4
; TotalNumSgprs: 0
; NumVgprs: 0
; ScratchSize: 0
; MemoryBound: 0
; FloatMode: 240
; IeeeMode: 1
; LDSByteSize: 0 bytes/workgroup (compile time only)
; SGPRBlocks: 0
; VGPRBlocks: 0
; NumSGPRsForWavesPerEU: 1
; NumVGPRsForWavesPerEU: 1
; Occupancy: 16
; WaveLimiterHint : 0
; COMPUTE_PGM_RSRC2:SCRATCH_EN: 0
; COMPUTE_PGM_RSRC2:USER_SGPR: 2
; COMPUTE_PGM_RSRC2:TRAP_HANDLER: 0
; COMPUTE_PGM_RSRC2:TGID_X_EN: 1
; COMPUTE_PGM_RSRC2:TGID_Y_EN: 0
; COMPUTE_PGM_RSRC2:TGID_Z_EN: 0
; COMPUTE_PGM_RSRC2:TIDIG_COMP_CNT: 0
	.section	.text._ZN7rocprim17ROCPRIM_400000_NS6detail17trampoline_kernelINS0_14default_configENS1_25partition_config_selectorILNS1_17partition_subalgoE6EiNS0_10empty_typeEbEEZZNS1_14partition_implILS5_6ELb0ES3_mN6thrust23THRUST_200600_302600_NS6detail15normal_iteratorINSA_10device_ptrIiEEEEPS6_SG_NS0_5tupleIJSF_S6_EEENSH_IJSG_SG_EEES6_PlJ6is_oddIiEEEE10hipError_tPvRmT3_T4_T5_T6_T7_T9_mT8_P12ihipStream_tbDpT10_ENKUlT_T0_E_clISt17integral_constantIbLb1EES16_EEDaS11_S12_EUlS11_E_NS1_11comp_targetILNS1_3genE9ELNS1_11target_archE1100ELNS1_3gpuE3ELNS1_3repE0EEENS1_30default_config_static_selectorELNS0_4arch9wavefront6targetE0EEEvT1_,"axG",@progbits,_ZN7rocprim17ROCPRIM_400000_NS6detail17trampoline_kernelINS0_14default_configENS1_25partition_config_selectorILNS1_17partition_subalgoE6EiNS0_10empty_typeEbEEZZNS1_14partition_implILS5_6ELb0ES3_mN6thrust23THRUST_200600_302600_NS6detail15normal_iteratorINSA_10device_ptrIiEEEEPS6_SG_NS0_5tupleIJSF_S6_EEENSH_IJSG_SG_EEES6_PlJ6is_oddIiEEEE10hipError_tPvRmT3_T4_T5_T6_T7_T9_mT8_P12ihipStream_tbDpT10_ENKUlT_T0_E_clISt17integral_constantIbLb1EES16_EEDaS11_S12_EUlS11_E_NS1_11comp_targetILNS1_3genE9ELNS1_11target_archE1100ELNS1_3gpuE3ELNS1_3repE0EEENS1_30default_config_static_selectorELNS0_4arch9wavefront6targetE0EEEvT1_,comdat
	.protected	_ZN7rocprim17ROCPRIM_400000_NS6detail17trampoline_kernelINS0_14default_configENS1_25partition_config_selectorILNS1_17partition_subalgoE6EiNS0_10empty_typeEbEEZZNS1_14partition_implILS5_6ELb0ES3_mN6thrust23THRUST_200600_302600_NS6detail15normal_iteratorINSA_10device_ptrIiEEEEPS6_SG_NS0_5tupleIJSF_S6_EEENSH_IJSG_SG_EEES6_PlJ6is_oddIiEEEE10hipError_tPvRmT3_T4_T5_T6_T7_T9_mT8_P12ihipStream_tbDpT10_ENKUlT_T0_E_clISt17integral_constantIbLb1EES16_EEDaS11_S12_EUlS11_E_NS1_11comp_targetILNS1_3genE9ELNS1_11target_archE1100ELNS1_3gpuE3ELNS1_3repE0EEENS1_30default_config_static_selectorELNS0_4arch9wavefront6targetE0EEEvT1_ ; -- Begin function _ZN7rocprim17ROCPRIM_400000_NS6detail17trampoline_kernelINS0_14default_configENS1_25partition_config_selectorILNS1_17partition_subalgoE6EiNS0_10empty_typeEbEEZZNS1_14partition_implILS5_6ELb0ES3_mN6thrust23THRUST_200600_302600_NS6detail15normal_iteratorINSA_10device_ptrIiEEEEPS6_SG_NS0_5tupleIJSF_S6_EEENSH_IJSG_SG_EEES6_PlJ6is_oddIiEEEE10hipError_tPvRmT3_T4_T5_T6_T7_T9_mT8_P12ihipStream_tbDpT10_ENKUlT_T0_E_clISt17integral_constantIbLb1EES16_EEDaS11_S12_EUlS11_E_NS1_11comp_targetILNS1_3genE9ELNS1_11target_archE1100ELNS1_3gpuE3ELNS1_3repE0EEENS1_30default_config_static_selectorELNS0_4arch9wavefront6targetE0EEEvT1_
	.globl	_ZN7rocprim17ROCPRIM_400000_NS6detail17trampoline_kernelINS0_14default_configENS1_25partition_config_selectorILNS1_17partition_subalgoE6EiNS0_10empty_typeEbEEZZNS1_14partition_implILS5_6ELb0ES3_mN6thrust23THRUST_200600_302600_NS6detail15normal_iteratorINSA_10device_ptrIiEEEEPS6_SG_NS0_5tupleIJSF_S6_EEENSH_IJSG_SG_EEES6_PlJ6is_oddIiEEEE10hipError_tPvRmT3_T4_T5_T6_T7_T9_mT8_P12ihipStream_tbDpT10_ENKUlT_T0_E_clISt17integral_constantIbLb1EES16_EEDaS11_S12_EUlS11_E_NS1_11comp_targetILNS1_3genE9ELNS1_11target_archE1100ELNS1_3gpuE3ELNS1_3repE0EEENS1_30default_config_static_selectorELNS0_4arch9wavefront6targetE0EEEvT1_
	.p2align	8
	.type	_ZN7rocprim17ROCPRIM_400000_NS6detail17trampoline_kernelINS0_14default_configENS1_25partition_config_selectorILNS1_17partition_subalgoE6EiNS0_10empty_typeEbEEZZNS1_14partition_implILS5_6ELb0ES3_mN6thrust23THRUST_200600_302600_NS6detail15normal_iteratorINSA_10device_ptrIiEEEEPS6_SG_NS0_5tupleIJSF_S6_EEENSH_IJSG_SG_EEES6_PlJ6is_oddIiEEEE10hipError_tPvRmT3_T4_T5_T6_T7_T9_mT8_P12ihipStream_tbDpT10_ENKUlT_T0_E_clISt17integral_constantIbLb1EES16_EEDaS11_S12_EUlS11_E_NS1_11comp_targetILNS1_3genE9ELNS1_11target_archE1100ELNS1_3gpuE3ELNS1_3repE0EEENS1_30default_config_static_selectorELNS0_4arch9wavefront6targetE0EEEvT1_,@function
_ZN7rocprim17ROCPRIM_400000_NS6detail17trampoline_kernelINS0_14default_configENS1_25partition_config_selectorILNS1_17partition_subalgoE6EiNS0_10empty_typeEbEEZZNS1_14partition_implILS5_6ELb0ES3_mN6thrust23THRUST_200600_302600_NS6detail15normal_iteratorINSA_10device_ptrIiEEEEPS6_SG_NS0_5tupleIJSF_S6_EEENSH_IJSG_SG_EEES6_PlJ6is_oddIiEEEE10hipError_tPvRmT3_T4_T5_T6_T7_T9_mT8_P12ihipStream_tbDpT10_ENKUlT_T0_E_clISt17integral_constantIbLb1EES16_EEDaS11_S12_EUlS11_E_NS1_11comp_targetILNS1_3genE9ELNS1_11target_archE1100ELNS1_3gpuE3ELNS1_3repE0EEENS1_30default_config_static_selectorELNS0_4arch9wavefront6targetE0EEEvT1_: ; @_ZN7rocprim17ROCPRIM_400000_NS6detail17trampoline_kernelINS0_14default_configENS1_25partition_config_selectorILNS1_17partition_subalgoE6EiNS0_10empty_typeEbEEZZNS1_14partition_implILS5_6ELb0ES3_mN6thrust23THRUST_200600_302600_NS6detail15normal_iteratorINSA_10device_ptrIiEEEEPS6_SG_NS0_5tupleIJSF_S6_EEENSH_IJSG_SG_EEES6_PlJ6is_oddIiEEEE10hipError_tPvRmT3_T4_T5_T6_T7_T9_mT8_P12ihipStream_tbDpT10_ENKUlT_T0_E_clISt17integral_constantIbLb1EES16_EEDaS11_S12_EUlS11_E_NS1_11comp_targetILNS1_3genE9ELNS1_11target_archE1100ELNS1_3gpuE3ELNS1_3repE0EEENS1_30default_config_static_selectorELNS0_4arch9wavefront6targetE0EEEvT1_
; %bb.0:
	.section	.rodata,"a",@progbits
	.p2align	6, 0x0
	.amdhsa_kernel _ZN7rocprim17ROCPRIM_400000_NS6detail17trampoline_kernelINS0_14default_configENS1_25partition_config_selectorILNS1_17partition_subalgoE6EiNS0_10empty_typeEbEEZZNS1_14partition_implILS5_6ELb0ES3_mN6thrust23THRUST_200600_302600_NS6detail15normal_iteratorINSA_10device_ptrIiEEEEPS6_SG_NS0_5tupleIJSF_S6_EEENSH_IJSG_SG_EEES6_PlJ6is_oddIiEEEE10hipError_tPvRmT3_T4_T5_T6_T7_T9_mT8_P12ihipStream_tbDpT10_ENKUlT_T0_E_clISt17integral_constantIbLb1EES16_EEDaS11_S12_EUlS11_E_NS1_11comp_targetILNS1_3genE9ELNS1_11target_archE1100ELNS1_3gpuE3ELNS1_3repE0EEENS1_30default_config_static_selectorELNS0_4arch9wavefront6targetE0EEEvT1_
		.amdhsa_group_segment_fixed_size 0
		.amdhsa_private_segment_fixed_size 0
		.amdhsa_kernarg_size 128
		.amdhsa_user_sgpr_count 2
		.amdhsa_user_sgpr_dispatch_ptr 0
		.amdhsa_user_sgpr_queue_ptr 0
		.amdhsa_user_sgpr_kernarg_segment_ptr 1
		.amdhsa_user_sgpr_dispatch_id 0
		.amdhsa_user_sgpr_private_segment_size 0
		.amdhsa_wavefront_size32 1
		.amdhsa_uses_dynamic_stack 0
		.amdhsa_enable_private_segment 0
		.amdhsa_system_sgpr_workgroup_id_x 1
		.amdhsa_system_sgpr_workgroup_id_y 0
		.amdhsa_system_sgpr_workgroup_id_z 0
		.amdhsa_system_sgpr_workgroup_info 0
		.amdhsa_system_vgpr_workitem_id 0
		.amdhsa_next_free_vgpr 1
		.amdhsa_next_free_sgpr 1
		.amdhsa_reserve_vcc 0
		.amdhsa_float_round_mode_32 0
		.amdhsa_float_round_mode_16_64 0
		.amdhsa_float_denorm_mode_32 3
		.amdhsa_float_denorm_mode_16_64 3
		.amdhsa_fp16_overflow 0
		.amdhsa_workgroup_processor_mode 1
		.amdhsa_memory_ordered 1
		.amdhsa_forward_progress 1
		.amdhsa_inst_pref_size 0
		.amdhsa_round_robin_scheduling 0
		.amdhsa_exception_fp_ieee_invalid_op 0
		.amdhsa_exception_fp_denorm_src 0
		.amdhsa_exception_fp_ieee_div_zero 0
		.amdhsa_exception_fp_ieee_overflow 0
		.amdhsa_exception_fp_ieee_underflow 0
		.amdhsa_exception_fp_ieee_inexact 0
		.amdhsa_exception_int_div_zero 0
	.end_amdhsa_kernel
	.section	.text._ZN7rocprim17ROCPRIM_400000_NS6detail17trampoline_kernelINS0_14default_configENS1_25partition_config_selectorILNS1_17partition_subalgoE6EiNS0_10empty_typeEbEEZZNS1_14partition_implILS5_6ELb0ES3_mN6thrust23THRUST_200600_302600_NS6detail15normal_iteratorINSA_10device_ptrIiEEEEPS6_SG_NS0_5tupleIJSF_S6_EEENSH_IJSG_SG_EEES6_PlJ6is_oddIiEEEE10hipError_tPvRmT3_T4_T5_T6_T7_T9_mT8_P12ihipStream_tbDpT10_ENKUlT_T0_E_clISt17integral_constantIbLb1EES16_EEDaS11_S12_EUlS11_E_NS1_11comp_targetILNS1_3genE9ELNS1_11target_archE1100ELNS1_3gpuE3ELNS1_3repE0EEENS1_30default_config_static_selectorELNS0_4arch9wavefront6targetE0EEEvT1_,"axG",@progbits,_ZN7rocprim17ROCPRIM_400000_NS6detail17trampoline_kernelINS0_14default_configENS1_25partition_config_selectorILNS1_17partition_subalgoE6EiNS0_10empty_typeEbEEZZNS1_14partition_implILS5_6ELb0ES3_mN6thrust23THRUST_200600_302600_NS6detail15normal_iteratorINSA_10device_ptrIiEEEEPS6_SG_NS0_5tupleIJSF_S6_EEENSH_IJSG_SG_EEES6_PlJ6is_oddIiEEEE10hipError_tPvRmT3_T4_T5_T6_T7_T9_mT8_P12ihipStream_tbDpT10_ENKUlT_T0_E_clISt17integral_constantIbLb1EES16_EEDaS11_S12_EUlS11_E_NS1_11comp_targetILNS1_3genE9ELNS1_11target_archE1100ELNS1_3gpuE3ELNS1_3repE0EEENS1_30default_config_static_selectorELNS0_4arch9wavefront6targetE0EEEvT1_,comdat
.Lfunc_end27:
	.size	_ZN7rocprim17ROCPRIM_400000_NS6detail17trampoline_kernelINS0_14default_configENS1_25partition_config_selectorILNS1_17partition_subalgoE6EiNS0_10empty_typeEbEEZZNS1_14partition_implILS5_6ELb0ES3_mN6thrust23THRUST_200600_302600_NS6detail15normal_iteratorINSA_10device_ptrIiEEEEPS6_SG_NS0_5tupleIJSF_S6_EEENSH_IJSG_SG_EEES6_PlJ6is_oddIiEEEE10hipError_tPvRmT3_T4_T5_T6_T7_T9_mT8_P12ihipStream_tbDpT10_ENKUlT_T0_E_clISt17integral_constantIbLb1EES16_EEDaS11_S12_EUlS11_E_NS1_11comp_targetILNS1_3genE9ELNS1_11target_archE1100ELNS1_3gpuE3ELNS1_3repE0EEENS1_30default_config_static_selectorELNS0_4arch9wavefront6targetE0EEEvT1_, .Lfunc_end27-_ZN7rocprim17ROCPRIM_400000_NS6detail17trampoline_kernelINS0_14default_configENS1_25partition_config_selectorILNS1_17partition_subalgoE6EiNS0_10empty_typeEbEEZZNS1_14partition_implILS5_6ELb0ES3_mN6thrust23THRUST_200600_302600_NS6detail15normal_iteratorINSA_10device_ptrIiEEEEPS6_SG_NS0_5tupleIJSF_S6_EEENSH_IJSG_SG_EEES6_PlJ6is_oddIiEEEE10hipError_tPvRmT3_T4_T5_T6_T7_T9_mT8_P12ihipStream_tbDpT10_ENKUlT_T0_E_clISt17integral_constantIbLb1EES16_EEDaS11_S12_EUlS11_E_NS1_11comp_targetILNS1_3genE9ELNS1_11target_archE1100ELNS1_3gpuE3ELNS1_3repE0EEENS1_30default_config_static_selectorELNS0_4arch9wavefront6targetE0EEEvT1_
                                        ; -- End function
	.set _ZN7rocprim17ROCPRIM_400000_NS6detail17trampoline_kernelINS0_14default_configENS1_25partition_config_selectorILNS1_17partition_subalgoE6EiNS0_10empty_typeEbEEZZNS1_14partition_implILS5_6ELb0ES3_mN6thrust23THRUST_200600_302600_NS6detail15normal_iteratorINSA_10device_ptrIiEEEEPS6_SG_NS0_5tupleIJSF_S6_EEENSH_IJSG_SG_EEES6_PlJ6is_oddIiEEEE10hipError_tPvRmT3_T4_T5_T6_T7_T9_mT8_P12ihipStream_tbDpT10_ENKUlT_T0_E_clISt17integral_constantIbLb1EES16_EEDaS11_S12_EUlS11_E_NS1_11comp_targetILNS1_3genE9ELNS1_11target_archE1100ELNS1_3gpuE3ELNS1_3repE0EEENS1_30default_config_static_selectorELNS0_4arch9wavefront6targetE0EEEvT1_.num_vgpr, 0
	.set _ZN7rocprim17ROCPRIM_400000_NS6detail17trampoline_kernelINS0_14default_configENS1_25partition_config_selectorILNS1_17partition_subalgoE6EiNS0_10empty_typeEbEEZZNS1_14partition_implILS5_6ELb0ES3_mN6thrust23THRUST_200600_302600_NS6detail15normal_iteratorINSA_10device_ptrIiEEEEPS6_SG_NS0_5tupleIJSF_S6_EEENSH_IJSG_SG_EEES6_PlJ6is_oddIiEEEE10hipError_tPvRmT3_T4_T5_T6_T7_T9_mT8_P12ihipStream_tbDpT10_ENKUlT_T0_E_clISt17integral_constantIbLb1EES16_EEDaS11_S12_EUlS11_E_NS1_11comp_targetILNS1_3genE9ELNS1_11target_archE1100ELNS1_3gpuE3ELNS1_3repE0EEENS1_30default_config_static_selectorELNS0_4arch9wavefront6targetE0EEEvT1_.num_agpr, 0
	.set _ZN7rocprim17ROCPRIM_400000_NS6detail17trampoline_kernelINS0_14default_configENS1_25partition_config_selectorILNS1_17partition_subalgoE6EiNS0_10empty_typeEbEEZZNS1_14partition_implILS5_6ELb0ES3_mN6thrust23THRUST_200600_302600_NS6detail15normal_iteratorINSA_10device_ptrIiEEEEPS6_SG_NS0_5tupleIJSF_S6_EEENSH_IJSG_SG_EEES6_PlJ6is_oddIiEEEE10hipError_tPvRmT3_T4_T5_T6_T7_T9_mT8_P12ihipStream_tbDpT10_ENKUlT_T0_E_clISt17integral_constantIbLb1EES16_EEDaS11_S12_EUlS11_E_NS1_11comp_targetILNS1_3genE9ELNS1_11target_archE1100ELNS1_3gpuE3ELNS1_3repE0EEENS1_30default_config_static_selectorELNS0_4arch9wavefront6targetE0EEEvT1_.numbered_sgpr, 0
	.set _ZN7rocprim17ROCPRIM_400000_NS6detail17trampoline_kernelINS0_14default_configENS1_25partition_config_selectorILNS1_17partition_subalgoE6EiNS0_10empty_typeEbEEZZNS1_14partition_implILS5_6ELb0ES3_mN6thrust23THRUST_200600_302600_NS6detail15normal_iteratorINSA_10device_ptrIiEEEEPS6_SG_NS0_5tupleIJSF_S6_EEENSH_IJSG_SG_EEES6_PlJ6is_oddIiEEEE10hipError_tPvRmT3_T4_T5_T6_T7_T9_mT8_P12ihipStream_tbDpT10_ENKUlT_T0_E_clISt17integral_constantIbLb1EES16_EEDaS11_S12_EUlS11_E_NS1_11comp_targetILNS1_3genE9ELNS1_11target_archE1100ELNS1_3gpuE3ELNS1_3repE0EEENS1_30default_config_static_selectorELNS0_4arch9wavefront6targetE0EEEvT1_.num_named_barrier, 0
	.set _ZN7rocprim17ROCPRIM_400000_NS6detail17trampoline_kernelINS0_14default_configENS1_25partition_config_selectorILNS1_17partition_subalgoE6EiNS0_10empty_typeEbEEZZNS1_14partition_implILS5_6ELb0ES3_mN6thrust23THRUST_200600_302600_NS6detail15normal_iteratorINSA_10device_ptrIiEEEEPS6_SG_NS0_5tupleIJSF_S6_EEENSH_IJSG_SG_EEES6_PlJ6is_oddIiEEEE10hipError_tPvRmT3_T4_T5_T6_T7_T9_mT8_P12ihipStream_tbDpT10_ENKUlT_T0_E_clISt17integral_constantIbLb1EES16_EEDaS11_S12_EUlS11_E_NS1_11comp_targetILNS1_3genE9ELNS1_11target_archE1100ELNS1_3gpuE3ELNS1_3repE0EEENS1_30default_config_static_selectorELNS0_4arch9wavefront6targetE0EEEvT1_.private_seg_size, 0
	.set _ZN7rocprim17ROCPRIM_400000_NS6detail17trampoline_kernelINS0_14default_configENS1_25partition_config_selectorILNS1_17partition_subalgoE6EiNS0_10empty_typeEbEEZZNS1_14partition_implILS5_6ELb0ES3_mN6thrust23THRUST_200600_302600_NS6detail15normal_iteratorINSA_10device_ptrIiEEEEPS6_SG_NS0_5tupleIJSF_S6_EEENSH_IJSG_SG_EEES6_PlJ6is_oddIiEEEE10hipError_tPvRmT3_T4_T5_T6_T7_T9_mT8_P12ihipStream_tbDpT10_ENKUlT_T0_E_clISt17integral_constantIbLb1EES16_EEDaS11_S12_EUlS11_E_NS1_11comp_targetILNS1_3genE9ELNS1_11target_archE1100ELNS1_3gpuE3ELNS1_3repE0EEENS1_30default_config_static_selectorELNS0_4arch9wavefront6targetE0EEEvT1_.uses_vcc, 0
	.set _ZN7rocprim17ROCPRIM_400000_NS6detail17trampoline_kernelINS0_14default_configENS1_25partition_config_selectorILNS1_17partition_subalgoE6EiNS0_10empty_typeEbEEZZNS1_14partition_implILS5_6ELb0ES3_mN6thrust23THRUST_200600_302600_NS6detail15normal_iteratorINSA_10device_ptrIiEEEEPS6_SG_NS0_5tupleIJSF_S6_EEENSH_IJSG_SG_EEES6_PlJ6is_oddIiEEEE10hipError_tPvRmT3_T4_T5_T6_T7_T9_mT8_P12ihipStream_tbDpT10_ENKUlT_T0_E_clISt17integral_constantIbLb1EES16_EEDaS11_S12_EUlS11_E_NS1_11comp_targetILNS1_3genE9ELNS1_11target_archE1100ELNS1_3gpuE3ELNS1_3repE0EEENS1_30default_config_static_selectorELNS0_4arch9wavefront6targetE0EEEvT1_.uses_flat_scratch, 0
	.set _ZN7rocprim17ROCPRIM_400000_NS6detail17trampoline_kernelINS0_14default_configENS1_25partition_config_selectorILNS1_17partition_subalgoE6EiNS0_10empty_typeEbEEZZNS1_14partition_implILS5_6ELb0ES3_mN6thrust23THRUST_200600_302600_NS6detail15normal_iteratorINSA_10device_ptrIiEEEEPS6_SG_NS0_5tupleIJSF_S6_EEENSH_IJSG_SG_EEES6_PlJ6is_oddIiEEEE10hipError_tPvRmT3_T4_T5_T6_T7_T9_mT8_P12ihipStream_tbDpT10_ENKUlT_T0_E_clISt17integral_constantIbLb1EES16_EEDaS11_S12_EUlS11_E_NS1_11comp_targetILNS1_3genE9ELNS1_11target_archE1100ELNS1_3gpuE3ELNS1_3repE0EEENS1_30default_config_static_selectorELNS0_4arch9wavefront6targetE0EEEvT1_.has_dyn_sized_stack, 0
	.set _ZN7rocprim17ROCPRIM_400000_NS6detail17trampoline_kernelINS0_14default_configENS1_25partition_config_selectorILNS1_17partition_subalgoE6EiNS0_10empty_typeEbEEZZNS1_14partition_implILS5_6ELb0ES3_mN6thrust23THRUST_200600_302600_NS6detail15normal_iteratorINSA_10device_ptrIiEEEEPS6_SG_NS0_5tupleIJSF_S6_EEENSH_IJSG_SG_EEES6_PlJ6is_oddIiEEEE10hipError_tPvRmT3_T4_T5_T6_T7_T9_mT8_P12ihipStream_tbDpT10_ENKUlT_T0_E_clISt17integral_constantIbLb1EES16_EEDaS11_S12_EUlS11_E_NS1_11comp_targetILNS1_3genE9ELNS1_11target_archE1100ELNS1_3gpuE3ELNS1_3repE0EEENS1_30default_config_static_selectorELNS0_4arch9wavefront6targetE0EEEvT1_.has_recursion, 0
	.set _ZN7rocprim17ROCPRIM_400000_NS6detail17trampoline_kernelINS0_14default_configENS1_25partition_config_selectorILNS1_17partition_subalgoE6EiNS0_10empty_typeEbEEZZNS1_14partition_implILS5_6ELb0ES3_mN6thrust23THRUST_200600_302600_NS6detail15normal_iteratorINSA_10device_ptrIiEEEEPS6_SG_NS0_5tupleIJSF_S6_EEENSH_IJSG_SG_EEES6_PlJ6is_oddIiEEEE10hipError_tPvRmT3_T4_T5_T6_T7_T9_mT8_P12ihipStream_tbDpT10_ENKUlT_T0_E_clISt17integral_constantIbLb1EES16_EEDaS11_S12_EUlS11_E_NS1_11comp_targetILNS1_3genE9ELNS1_11target_archE1100ELNS1_3gpuE3ELNS1_3repE0EEENS1_30default_config_static_selectorELNS0_4arch9wavefront6targetE0EEEvT1_.has_indirect_call, 0
	.section	.AMDGPU.csdata,"",@progbits
; Kernel info:
; codeLenInByte = 0
; TotalNumSgprs: 0
; NumVgprs: 0
; ScratchSize: 0
; MemoryBound: 0
; FloatMode: 240
; IeeeMode: 1
; LDSByteSize: 0 bytes/workgroup (compile time only)
; SGPRBlocks: 0
; VGPRBlocks: 0
; NumSGPRsForWavesPerEU: 1
; NumVGPRsForWavesPerEU: 1
; Occupancy: 16
; WaveLimiterHint : 0
; COMPUTE_PGM_RSRC2:SCRATCH_EN: 0
; COMPUTE_PGM_RSRC2:USER_SGPR: 2
; COMPUTE_PGM_RSRC2:TRAP_HANDLER: 0
; COMPUTE_PGM_RSRC2:TGID_X_EN: 1
; COMPUTE_PGM_RSRC2:TGID_Y_EN: 0
; COMPUTE_PGM_RSRC2:TGID_Z_EN: 0
; COMPUTE_PGM_RSRC2:TIDIG_COMP_CNT: 0
	.section	.text._ZN7rocprim17ROCPRIM_400000_NS6detail17trampoline_kernelINS0_14default_configENS1_25partition_config_selectorILNS1_17partition_subalgoE6EiNS0_10empty_typeEbEEZZNS1_14partition_implILS5_6ELb0ES3_mN6thrust23THRUST_200600_302600_NS6detail15normal_iteratorINSA_10device_ptrIiEEEEPS6_SG_NS0_5tupleIJSF_S6_EEENSH_IJSG_SG_EEES6_PlJ6is_oddIiEEEE10hipError_tPvRmT3_T4_T5_T6_T7_T9_mT8_P12ihipStream_tbDpT10_ENKUlT_T0_E_clISt17integral_constantIbLb1EES16_EEDaS11_S12_EUlS11_E_NS1_11comp_targetILNS1_3genE8ELNS1_11target_archE1030ELNS1_3gpuE2ELNS1_3repE0EEENS1_30default_config_static_selectorELNS0_4arch9wavefront6targetE0EEEvT1_,"axG",@progbits,_ZN7rocprim17ROCPRIM_400000_NS6detail17trampoline_kernelINS0_14default_configENS1_25partition_config_selectorILNS1_17partition_subalgoE6EiNS0_10empty_typeEbEEZZNS1_14partition_implILS5_6ELb0ES3_mN6thrust23THRUST_200600_302600_NS6detail15normal_iteratorINSA_10device_ptrIiEEEEPS6_SG_NS0_5tupleIJSF_S6_EEENSH_IJSG_SG_EEES6_PlJ6is_oddIiEEEE10hipError_tPvRmT3_T4_T5_T6_T7_T9_mT8_P12ihipStream_tbDpT10_ENKUlT_T0_E_clISt17integral_constantIbLb1EES16_EEDaS11_S12_EUlS11_E_NS1_11comp_targetILNS1_3genE8ELNS1_11target_archE1030ELNS1_3gpuE2ELNS1_3repE0EEENS1_30default_config_static_selectorELNS0_4arch9wavefront6targetE0EEEvT1_,comdat
	.protected	_ZN7rocprim17ROCPRIM_400000_NS6detail17trampoline_kernelINS0_14default_configENS1_25partition_config_selectorILNS1_17partition_subalgoE6EiNS0_10empty_typeEbEEZZNS1_14partition_implILS5_6ELb0ES3_mN6thrust23THRUST_200600_302600_NS6detail15normal_iteratorINSA_10device_ptrIiEEEEPS6_SG_NS0_5tupleIJSF_S6_EEENSH_IJSG_SG_EEES6_PlJ6is_oddIiEEEE10hipError_tPvRmT3_T4_T5_T6_T7_T9_mT8_P12ihipStream_tbDpT10_ENKUlT_T0_E_clISt17integral_constantIbLb1EES16_EEDaS11_S12_EUlS11_E_NS1_11comp_targetILNS1_3genE8ELNS1_11target_archE1030ELNS1_3gpuE2ELNS1_3repE0EEENS1_30default_config_static_selectorELNS0_4arch9wavefront6targetE0EEEvT1_ ; -- Begin function _ZN7rocprim17ROCPRIM_400000_NS6detail17trampoline_kernelINS0_14default_configENS1_25partition_config_selectorILNS1_17partition_subalgoE6EiNS0_10empty_typeEbEEZZNS1_14partition_implILS5_6ELb0ES3_mN6thrust23THRUST_200600_302600_NS6detail15normal_iteratorINSA_10device_ptrIiEEEEPS6_SG_NS0_5tupleIJSF_S6_EEENSH_IJSG_SG_EEES6_PlJ6is_oddIiEEEE10hipError_tPvRmT3_T4_T5_T6_T7_T9_mT8_P12ihipStream_tbDpT10_ENKUlT_T0_E_clISt17integral_constantIbLb1EES16_EEDaS11_S12_EUlS11_E_NS1_11comp_targetILNS1_3genE8ELNS1_11target_archE1030ELNS1_3gpuE2ELNS1_3repE0EEENS1_30default_config_static_selectorELNS0_4arch9wavefront6targetE0EEEvT1_
	.globl	_ZN7rocprim17ROCPRIM_400000_NS6detail17trampoline_kernelINS0_14default_configENS1_25partition_config_selectorILNS1_17partition_subalgoE6EiNS0_10empty_typeEbEEZZNS1_14partition_implILS5_6ELb0ES3_mN6thrust23THRUST_200600_302600_NS6detail15normal_iteratorINSA_10device_ptrIiEEEEPS6_SG_NS0_5tupleIJSF_S6_EEENSH_IJSG_SG_EEES6_PlJ6is_oddIiEEEE10hipError_tPvRmT3_T4_T5_T6_T7_T9_mT8_P12ihipStream_tbDpT10_ENKUlT_T0_E_clISt17integral_constantIbLb1EES16_EEDaS11_S12_EUlS11_E_NS1_11comp_targetILNS1_3genE8ELNS1_11target_archE1030ELNS1_3gpuE2ELNS1_3repE0EEENS1_30default_config_static_selectorELNS0_4arch9wavefront6targetE0EEEvT1_
	.p2align	8
	.type	_ZN7rocprim17ROCPRIM_400000_NS6detail17trampoline_kernelINS0_14default_configENS1_25partition_config_selectorILNS1_17partition_subalgoE6EiNS0_10empty_typeEbEEZZNS1_14partition_implILS5_6ELb0ES3_mN6thrust23THRUST_200600_302600_NS6detail15normal_iteratorINSA_10device_ptrIiEEEEPS6_SG_NS0_5tupleIJSF_S6_EEENSH_IJSG_SG_EEES6_PlJ6is_oddIiEEEE10hipError_tPvRmT3_T4_T5_T6_T7_T9_mT8_P12ihipStream_tbDpT10_ENKUlT_T0_E_clISt17integral_constantIbLb1EES16_EEDaS11_S12_EUlS11_E_NS1_11comp_targetILNS1_3genE8ELNS1_11target_archE1030ELNS1_3gpuE2ELNS1_3repE0EEENS1_30default_config_static_selectorELNS0_4arch9wavefront6targetE0EEEvT1_,@function
_ZN7rocprim17ROCPRIM_400000_NS6detail17trampoline_kernelINS0_14default_configENS1_25partition_config_selectorILNS1_17partition_subalgoE6EiNS0_10empty_typeEbEEZZNS1_14partition_implILS5_6ELb0ES3_mN6thrust23THRUST_200600_302600_NS6detail15normal_iteratorINSA_10device_ptrIiEEEEPS6_SG_NS0_5tupleIJSF_S6_EEENSH_IJSG_SG_EEES6_PlJ6is_oddIiEEEE10hipError_tPvRmT3_T4_T5_T6_T7_T9_mT8_P12ihipStream_tbDpT10_ENKUlT_T0_E_clISt17integral_constantIbLb1EES16_EEDaS11_S12_EUlS11_E_NS1_11comp_targetILNS1_3genE8ELNS1_11target_archE1030ELNS1_3gpuE2ELNS1_3repE0EEENS1_30default_config_static_selectorELNS0_4arch9wavefront6targetE0EEEvT1_: ; @_ZN7rocprim17ROCPRIM_400000_NS6detail17trampoline_kernelINS0_14default_configENS1_25partition_config_selectorILNS1_17partition_subalgoE6EiNS0_10empty_typeEbEEZZNS1_14partition_implILS5_6ELb0ES3_mN6thrust23THRUST_200600_302600_NS6detail15normal_iteratorINSA_10device_ptrIiEEEEPS6_SG_NS0_5tupleIJSF_S6_EEENSH_IJSG_SG_EEES6_PlJ6is_oddIiEEEE10hipError_tPvRmT3_T4_T5_T6_T7_T9_mT8_P12ihipStream_tbDpT10_ENKUlT_T0_E_clISt17integral_constantIbLb1EES16_EEDaS11_S12_EUlS11_E_NS1_11comp_targetILNS1_3genE8ELNS1_11target_archE1030ELNS1_3gpuE2ELNS1_3repE0EEENS1_30default_config_static_selectorELNS0_4arch9wavefront6targetE0EEEvT1_
; %bb.0:
	.section	.rodata,"a",@progbits
	.p2align	6, 0x0
	.amdhsa_kernel _ZN7rocprim17ROCPRIM_400000_NS6detail17trampoline_kernelINS0_14default_configENS1_25partition_config_selectorILNS1_17partition_subalgoE6EiNS0_10empty_typeEbEEZZNS1_14partition_implILS5_6ELb0ES3_mN6thrust23THRUST_200600_302600_NS6detail15normal_iteratorINSA_10device_ptrIiEEEEPS6_SG_NS0_5tupleIJSF_S6_EEENSH_IJSG_SG_EEES6_PlJ6is_oddIiEEEE10hipError_tPvRmT3_T4_T5_T6_T7_T9_mT8_P12ihipStream_tbDpT10_ENKUlT_T0_E_clISt17integral_constantIbLb1EES16_EEDaS11_S12_EUlS11_E_NS1_11comp_targetILNS1_3genE8ELNS1_11target_archE1030ELNS1_3gpuE2ELNS1_3repE0EEENS1_30default_config_static_selectorELNS0_4arch9wavefront6targetE0EEEvT1_
		.amdhsa_group_segment_fixed_size 0
		.amdhsa_private_segment_fixed_size 0
		.amdhsa_kernarg_size 128
		.amdhsa_user_sgpr_count 2
		.amdhsa_user_sgpr_dispatch_ptr 0
		.amdhsa_user_sgpr_queue_ptr 0
		.amdhsa_user_sgpr_kernarg_segment_ptr 1
		.amdhsa_user_sgpr_dispatch_id 0
		.amdhsa_user_sgpr_private_segment_size 0
		.amdhsa_wavefront_size32 1
		.amdhsa_uses_dynamic_stack 0
		.amdhsa_enable_private_segment 0
		.amdhsa_system_sgpr_workgroup_id_x 1
		.amdhsa_system_sgpr_workgroup_id_y 0
		.amdhsa_system_sgpr_workgroup_id_z 0
		.amdhsa_system_sgpr_workgroup_info 0
		.amdhsa_system_vgpr_workitem_id 0
		.amdhsa_next_free_vgpr 1
		.amdhsa_next_free_sgpr 1
		.amdhsa_reserve_vcc 0
		.amdhsa_float_round_mode_32 0
		.amdhsa_float_round_mode_16_64 0
		.amdhsa_float_denorm_mode_32 3
		.amdhsa_float_denorm_mode_16_64 3
		.amdhsa_fp16_overflow 0
		.amdhsa_workgroup_processor_mode 1
		.amdhsa_memory_ordered 1
		.amdhsa_forward_progress 1
		.amdhsa_inst_pref_size 0
		.amdhsa_round_robin_scheduling 0
		.amdhsa_exception_fp_ieee_invalid_op 0
		.amdhsa_exception_fp_denorm_src 0
		.amdhsa_exception_fp_ieee_div_zero 0
		.amdhsa_exception_fp_ieee_overflow 0
		.amdhsa_exception_fp_ieee_underflow 0
		.amdhsa_exception_fp_ieee_inexact 0
		.amdhsa_exception_int_div_zero 0
	.end_amdhsa_kernel
	.section	.text._ZN7rocprim17ROCPRIM_400000_NS6detail17trampoline_kernelINS0_14default_configENS1_25partition_config_selectorILNS1_17partition_subalgoE6EiNS0_10empty_typeEbEEZZNS1_14partition_implILS5_6ELb0ES3_mN6thrust23THRUST_200600_302600_NS6detail15normal_iteratorINSA_10device_ptrIiEEEEPS6_SG_NS0_5tupleIJSF_S6_EEENSH_IJSG_SG_EEES6_PlJ6is_oddIiEEEE10hipError_tPvRmT3_T4_T5_T6_T7_T9_mT8_P12ihipStream_tbDpT10_ENKUlT_T0_E_clISt17integral_constantIbLb1EES16_EEDaS11_S12_EUlS11_E_NS1_11comp_targetILNS1_3genE8ELNS1_11target_archE1030ELNS1_3gpuE2ELNS1_3repE0EEENS1_30default_config_static_selectorELNS0_4arch9wavefront6targetE0EEEvT1_,"axG",@progbits,_ZN7rocprim17ROCPRIM_400000_NS6detail17trampoline_kernelINS0_14default_configENS1_25partition_config_selectorILNS1_17partition_subalgoE6EiNS0_10empty_typeEbEEZZNS1_14partition_implILS5_6ELb0ES3_mN6thrust23THRUST_200600_302600_NS6detail15normal_iteratorINSA_10device_ptrIiEEEEPS6_SG_NS0_5tupleIJSF_S6_EEENSH_IJSG_SG_EEES6_PlJ6is_oddIiEEEE10hipError_tPvRmT3_T4_T5_T6_T7_T9_mT8_P12ihipStream_tbDpT10_ENKUlT_T0_E_clISt17integral_constantIbLb1EES16_EEDaS11_S12_EUlS11_E_NS1_11comp_targetILNS1_3genE8ELNS1_11target_archE1030ELNS1_3gpuE2ELNS1_3repE0EEENS1_30default_config_static_selectorELNS0_4arch9wavefront6targetE0EEEvT1_,comdat
.Lfunc_end28:
	.size	_ZN7rocprim17ROCPRIM_400000_NS6detail17trampoline_kernelINS0_14default_configENS1_25partition_config_selectorILNS1_17partition_subalgoE6EiNS0_10empty_typeEbEEZZNS1_14partition_implILS5_6ELb0ES3_mN6thrust23THRUST_200600_302600_NS6detail15normal_iteratorINSA_10device_ptrIiEEEEPS6_SG_NS0_5tupleIJSF_S6_EEENSH_IJSG_SG_EEES6_PlJ6is_oddIiEEEE10hipError_tPvRmT3_T4_T5_T6_T7_T9_mT8_P12ihipStream_tbDpT10_ENKUlT_T0_E_clISt17integral_constantIbLb1EES16_EEDaS11_S12_EUlS11_E_NS1_11comp_targetILNS1_3genE8ELNS1_11target_archE1030ELNS1_3gpuE2ELNS1_3repE0EEENS1_30default_config_static_selectorELNS0_4arch9wavefront6targetE0EEEvT1_, .Lfunc_end28-_ZN7rocprim17ROCPRIM_400000_NS6detail17trampoline_kernelINS0_14default_configENS1_25partition_config_selectorILNS1_17partition_subalgoE6EiNS0_10empty_typeEbEEZZNS1_14partition_implILS5_6ELb0ES3_mN6thrust23THRUST_200600_302600_NS6detail15normal_iteratorINSA_10device_ptrIiEEEEPS6_SG_NS0_5tupleIJSF_S6_EEENSH_IJSG_SG_EEES6_PlJ6is_oddIiEEEE10hipError_tPvRmT3_T4_T5_T6_T7_T9_mT8_P12ihipStream_tbDpT10_ENKUlT_T0_E_clISt17integral_constantIbLb1EES16_EEDaS11_S12_EUlS11_E_NS1_11comp_targetILNS1_3genE8ELNS1_11target_archE1030ELNS1_3gpuE2ELNS1_3repE0EEENS1_30default_config_static_selectorELNS0_4arch9wavefront6targetE0EEEvT1_
                                        ; -- End function
	.set _ZN7rocprim17ROCPRIM_400000_NS6detail17trampoline_kernelINS0_14default_configENS1_25partition_config_selectorILNS1_17partition_subalgoE6EiNS0_10empty_typeEbEEZZNS1_14partition_implILS5_6ELb0ES3_mN6thrust23THRUST_200600_302600_NS6detail15normal_iteratorINSA_10device_ptrIiEEEEPS6_SG_NS0_5tupleIJSF_S6_EEENSH_IJSG_SG_EEES6_PlJ6is_oddIiEEEE10hipError_tPvRmT3_T4_T5_T6_T7_T9_mT8_P12ihipStream_tbDpT10_ENKUlT_T0_E_clISt17integral_constantIbLb1EES16_EEDaS11_S12_EUlS11_E_NS1_11comp_targetILNS1_3genE8ELNS1_11target_archE1030ELNS1_3gpuE2ELNS1_3repE0EEENS1_30default_config_static_selectorELNS0_4arch9wavefront6targetE0EEEvT1_.num_vgpr, 0
	.set _ZN7rocprim17ROCPRIM_400000_NS6detail17trampoline_kernelINS0_14default_configENS1_25partition_config_selectorILNS1_17partition_subalgoE6EiNS0_10empty_typeEbEEZZNS1_14partition_implILS5_6ELb0ES3_mN6thrust23THRUST_200600_302600_NS6detail15normal_iteratorINSA_10device_ptrIiEEEEPS6_SG_NS0_5tupleIJSF_S6_EEENSH_IJSG_SG_EEES6_PlJ6is_oddIiEEEE10hipError_tPvRmT3_T4_T5_T6_T7_T9_mT8_P12ihipStream_tbDpT10_ENKUlT_T0_E_clISt17integral_constantIbLb1EES16_EEDaS11_S12_EUlS11_E_NS1_11comp_targetILNS1_3genE8ELNS1_11target_archE1030ELNS1_3gpuE2ELNS1_3repE0EEENS1_30default_config_static_selectorELNS0_4arch9wavefront6targetE0EEEvT1_.num_agpr, 0
	.set _ZN7rocprim17ROCPRIM_400000_NS6detail17trampoline_kernelINS0_14default_configENS1_25partition_config_selectorILNS1_17partition_subalgoE6EiNS0_10empty_typeEbEEZZNS1_14partition_implILS5_6ELb0ES3_mN6thrust23THRUST_200600_302600_NS6detail15normal_iteratorINSA_10device_ptrIiEEEEPS6_SG_NS0_5tupleIJSF_S6_EEENSH_IJSG_SG_EEES6_PlJ6is_oddIiEEEE10hipError_tPvRmT3_T4_T5_T6_T7_T9_mT8_P12ihipStream_tbDpT10_ENKUlT_T0_E_clISt17integral_constantIbLb1EES16_EEDaS11_S12_EUlS11_E_NS1_11comp_targetILNS1_3genE8ELNS1_11target_archE1030ELNS1_3gpuE2ELNS1_3repE0EEENS1_30default_config_static_selectorELNS0_4arch9wavefront6targetE0EEEvT1_.numbered_sgpr, 0
	.set _ZN7rocprim17ROCPRIM_400000_NS6detail17trampoline_kernelINS0_14default_configENS1_25partition_config_selectorILNS1_17partition_subalgoE6EiNS0_10empty_typeEbEEZZNS1_14partition_implILS5_6ELb0ES3_mN6thrust23THRUST_200600_302600_NS6detail15normal_iteratorINSA_10device_ptrIiEEEEPS6_SG_NS0_5tupleIJSF_S6_EEENSH_IJSG_SG_EEES6_PlJ6is_oddIiEEEE10hipError_tPvRmT3_T4_T5_T6_T7_T9_mT8_P12ihipStream_tbDpT10_ENKUlT_T0_E_clISt17integral_constantIbLb1EES16_EEDaS11_S12_EUlS11_E_NS1_11comp_targetILNS1_3genE8ELNS1_11target_archE1030ELNS1_3gpuE2ELNS1_3repE0EEENS1_30default_config_static_selectorELNS0_4arch9wavefront6targetE0EEEvT1_.num_named_barrier, 0
	.set _ZN7rocprim17ROCPRIM_400000_NS6detail17trampoline_kernelINS0_14default_configENS1_25partition_config_selectorILNS1_17partition_subalgoE6EiNS0_10empty_typeEbEEZZNS1_14partition_implILS5_6ELb0ES3_mN6thrust23THRUST_200600_302600_NS6detail15normal_iteratorINSA_10device_ptrIiEEEEPS6_SG_NS0_5tupleIJSF_S6_EEENSH_IJSG_SG_EEES6_PlJ6is_oddIiEEEE10hipError_tPvRmT3_T4_T5_T6_T7_T9_mT8_P12ihipStream_tbDpT10_ENKUlT_T0_E_clISt17integral_constantIbLb1EES16_EEDaS11_S12_EUlS11_E_NS1_11comp_targetILNS1_3genE8ELNS1_11target_archE1030ELNS1_3gpuE2ELNS1_3repE0EEENS1_30default_config_static_selectorELNS0_4arch9wavefront6targetE0EEEvT1_.private_seg_size, 0
	.set _ZN7rocprim17ROCPRIM_400000_NS6detail17trampoline_kernelINS0_14default_configENS1_25partition_config_selectorILNS1_17partition_subalgoE6EiNS0_10empty_typeEbEEZZNS1_14partition_implILS5_6ELb0ES3_mN6thrust23THRUST_200600_302600_NS6detail15normal_iteratorINSA_10device_ptrIiEEEEPS6_SG_NS0_5tupleIJSF_S6_EEENSH_IJSG_SG_EEES6_PlJ6is_oddIiEEEE10hipError_tPvRmT3_T4_T5_T6_T7_T9_mT8_P12ihipStream_tbDpT10_ENKUlT_T0_E_clISt17integral_constantIbLb1EES16_EEDaS11_S12_EUlS11_E_NS1_11comp_targetILNS1_3genE8ELNS1_11target_archE1030ELNS1_3gpuE2ELNS1_3repE0EEENS1_30default_config_static_selectorELNS0_4arch9wavefront6targetE0EEEvT1_.uses_vcc, 0
	.set _ZN7rocprim17ROCPRIM_400000_NS6detail17trampoline_kernelINS0_14default_configENS1_25partition_config_selectorILNS1_17partition_subalgoE6EiNS0_10empty_typeEbEEZZNS1_14partition_implILS5_6ELb0ES3_mN6thrust23THRUST_200600_302600_NS6detail15normal_iteratorINSA_10device_ptrIiEEEEPS6_SG_NS0_5tupleIJSF_S6_EEENSH_IJSG_SG_EEES6_PlJ6is_oddIiEEEE10hipError_tPvRmT3_T4_T5_T6_T7_T9_mT8_P12ihipStream_tbDpT10_ENKUlT_T0_E_clISt17integral_constantIbLb1EES16_EEDaS11_S12_EUlS11_E_NS1_11comp_targetILNS1_3genE8ELNS1_11target_archE1030ELNS1_3gpuE2ELNS1_3repE0EEENS1_30default_config_static_selectorELNS0_4arch9wavefront6targetE0EEEvT1_.uses_flat_scratch, 0
	.set _ZN7rocprim17ROCPRIM_400000_NS6detail17trampoline_kernelINS0_14default_configENS1_25partition_config_selectorILNS1_17partition_subalgoE6EiNS0_10empty_typeEbEEZZNS1_14partition_implILS5_6ELb0ES3_mN6thrust23THRUST_200600_302600_NS6detail15normal_iteratorINSA_10device_ptrIiEEEEPS6_SG_NS0_5tupleIJSF_S6_EEENSH_IJSG_SG_EEES6_PlJ6is_oddIiEEEE10hipError_tPvRmT3_T4_T5_T6_T7_T9_mT8_P12ihipStream_tbDpT10_ENKUlT_T0_E_clISt17integral_constantIbLb1EES16_EEDaS11_S12_EUlS11_E_NS1_11comp_targetILNS1_3genE8ELNS1_11target_archE1030ELNS1_3gpuE2ELNS1_3repE0EEENS1_30default_config_static_selectorELNS0_4arch9wavefront6targetE0EEEvT1_.has_dyn_sized_stack, 0
	.set _ZN7rocprim17ROCPRIM_400000_NS6detail17trampoline_kernelINS0_14default_configENS1_25partition_config_selectorILNS1_17partition_subalgoE6EiNS0_10empty_typeEbEEZZNS1_14partition_implILS5_6ELb0ES3_mN6thrust23THRUST_200600_302600_NS6detail15normal_iteratorINSA_10device_ptrIiEEEEPS6_SG_NS0_5tupleIJSF_S6_EEENSH_IJSG_SG_EEES6_PlJ6is_oddIiEEEE10hipError_tPvRmT3_T4_T5_T6_T7_T9_mT8_P12ihipStream_tbDpT10_ENKUlT_T0_E_clISt17integral_constantIbLb1EES16_EEDaS11_S12_EUlS11_E_NS1_11comp_targetILNS1_3genE8ELNS1_11target_archE1030ELNS1_3gpuE2ELNS1_3repE0EEENS1_30default_config_static_selectorELNS0_4arch9wavefront6targetE0EEEvT1_.has_recursion, 0
	.set _ZN7rocprim17ROCPRIM_400000_NS6detail17trampoline_kernelINS0_14default_configENS1_25partition_config_selectorILNS1_17partition_subalgoE6EiNS0_10empty_typeEbEEZZNS1_14partition_implILS5_6ELb0ES3_mN6thrust23THRUST_200600_302600_NS6detail15normal_iteratorINSA_10device_ptrIiEEEEPS6_SG_NS0_5tupleIJSF_S6_EEENSH_IJSG_SG_EEES6_PlJ6is_oddIiEEEE10hipError_tPvRmT3_T4_T5_T6_T7_T9_mT8_P12ihipStream_tbDpT10_ENKUlT_T0_E_clISt17integral_constantIbLb1EES16_EEDaS11_S12_EUlS11_E_NS1_11comp_targetILNS1_3genE8ELNS1_11target_archE1030ELNS1_3gpuE2ELNS1_3repE0EEENS1_30default_config_static_selectorELNS0_4arch9wavefront6targetE0EEEvT1_.has_indirect_call, 0
	.section	.AMDGPU.csdata,"",@progbits
; Kernel info:
; codeLenInByte = 0
; TotalNumSgprs: 0
; NumVgprs: 0
; ScratchSize: 0
; MemoryBound: 0
; FloatMode: 240
; IeeeMode: 1
; LDSByteSize: 0 bytes/workgroup (compile time only)
; SGPRBlocks: 0
; VGPRBlocks: 0
; NumSGPRsForWavesPerEU: 1
; NumVGPRsForWavesPerEU: 1
; Occupancy: 16
; WaveLimiterHint : 0
; COMPUTE_PGM_RSRC2:SCRATCH_EN: 0
; COMPUTE_PGM_RSRC2:USER_SGPR: 2
; COMPUTE_PGM_RSRC2:TRAP_HANDLER: 0
; COMPUTE_PGM_RSRC2:TGID_X_EN: 1
; COMPUTE_PGM_RSRC2:TGID_Y_EN: 0
; COMPUTE_PGM_RSRC2:TGID_Z_EN: 0
; COMPUTE_PGM_RSRC2:TIDIG_COMP_CNT: 0
	.section	.text._ZN7rocprim17ROCPRIM_400000_NS6detail31init_lookback_scan_state_kernelINS1_19lookback_scan_stateImLb1ELb1EEENS1_16block_id_wrapperIjLb0EEEEEvT_jT0_jPNS7_10value_typeE,"axG",@progbits,_ZN7rocprim17ROCPRIM_400000_NS6detail31init_lookback_scan_state_kernelINS1_19lookback_scan_stateImLb1ELb1EEENS1_16block_id_wrapperIjLb0EEEEEvT_jT0_jPNS7_10value_typeE,comdat
	.protected	_ZN7rocprim17ROCPRIM_400000_NS6detail31init_lookback_scan_state_kernelINS1_19lookback_scan_stateImLb1ELb1EEENS1_16block_id_wrapperIjLb0EEEEEvT_jT0_jPNS7_10value_typeE ; -- Begin function _ZN7rocprim17ROCPRIM_400000_NS6detail31init_lookback_scan_state_kernelINS1_19lookback_scan_stateImLb1ELb1EEENS1_16block_id_wrapperIjLb0EEEEEvT_jT0_jPNS7_10value_typeE
	.globl	_ZN7rocprim17ROCPRIM_400000_NS6detail31init_lookback_scan_state_kernelINS1_19lookback_scan_stateImLb1ELb1EEENS1_16block_id_wrapperIjLb0EEEEEvT_jT0_jPNS7_10value_typeE
	.p2align	8
	.type	_ZN7rocprim17ROCPRIM_400000_NS6detail31init_lookback_scan_state_kernelINS1_19lookback_scan_stateImLb1ELb1EEENS1_16block_id_wrapperIjLb0EEEEEvT_jT0_jPNS7_10value_typeE,@function
_ZN7rocprim17ROCPRIM_400000_NS6detail31init_lookback_scan_state_kernelINS1_19lookback_scan_stateImLb1ELb1EEENS1_16block_id_wrapperIjLb0EEEEEvT_jT0_jPNS7_10value_typeE: ; @_ZN7rocprim17ROCPRIM_400000_NS6detail31init_lookback_scan_state_kernelINS1_19lookback_scan_stateImLb1ELb1EEENS1_16block_id_wrapperIjLb0EEEEEvT_jT0_jPNS7_10value_typeE
; %bb.0:
	s_clause 0x2
	s_load_b32 s7, s[0:1], 0x2c
	s_load_b64 s[2:3], s[0:1], 0x18
	s_load_b96 s[4:6], s[0:1], 0x0
	s_wait_kmcnt 0x0
	s_and_b32 s7, s7, 0xffff
	s_cmp_eq_u64 s[2:3], 0
	v_mad_co_u64_u32 v[0:1], null, ttmp9, s7, v[0:1]
	s_cbranch_scc1 .LBB29_10
; %bb.1:
	s_load_b32 s0, s[0:1], 0x10
	s_wait_kmcnt 0x0
	s_cmp_lt_u32 s0, s6
	s_cselect_b32 s1, s0, 0
	s_wait_alu 0xfffe
	v_cmp_eq_u32_e32 vcc_lo, s1, v0
	s_mov_b32 s1, 0
	s_and_saveexec_b32 s7, vcc_lo
	s_cbranch_execz .LBB29_9
; %bb.2:
	s_add_co_i32 s0, s0, 32
	s_mov_b32 s8, exec_lo
	s_wait_alu 0xfffe
	s_lshl_b64 s[0:1], s[0:1], 4
	v_mov_b32_e32 v5, 0
	s_wait_alu 0xfffe
	s_add_nc_u64 s[0:1], s[4:5], s[0:1]
	s_wait_alu 0xfffe
	v_dual_mov_b32 v2, s1 :: v_dual_mov_b32 v1, s0
	;;#ASMSTART
	global_load_b128 v[1:4], v[1:2] off scope:SCOPE_DEV	
s_wait_loadcnt 0x0
	;;#ASMEND
	v_and_b32_e32 v4, 0xff, v3
	s_delay_alu instid0(VALU_DEP_1)
	v_cmpx_eq_u64_e32 0, v[4:5]
	s_cbranch_execz .LBB29_8
; %bb.3:
	v_dual_mov_b32 v7, s1 :: v_dual_mov_b32 v6, s0
	s_mov_b32 s1, 1
	s_mov_b32 s0, 0
.LBB29_4:                               ; =>This Loop Header: Depth=1
                                        ;     Child Loop BB29_5 Depth 2
	s_wait_alu 0xfffe
	s_mov_b32 s9, s1
.LBB29_5:                               ;   Parent Loop BB29_4 Depth=1
                                        ; =>  This Inner Loop Header: Depth=2
	s_delay_alu instid0(SALU_CYCLE_1)
	s_add_co_i32 s9, s9, -1
	s_sleep 1
	s_cmp_eq_u32 s9, 0
	s_cbranch_scc0 .LBB29_5
; %bb.6:                                ;   in Loop: Header=BB29_4 Depth=1
	;;#ASMSTART
	global_load_b128 v[1:4], v[6:7] off scope:SCOPE_DEV	
s_wait_loadcnt 0x0
	;;#ASMEND
	v_and_b32_e32 v4, 0xff, v3
	s_cmp_lt_u32 s1, 32
	s_cselect_b32 s9, -1, 0
	s_delay_alu instid0(SALU_CYCLE_1) | instskip(NEXT) | instid1(VALU_DEP_1)
	s_cmp_lg_u32 s9, 0
	v_cmp_ne_u64_e32 vcc_lo, 0, v[4:5]
	s_add_co_ci_u32 s1, s1, 0
	s_or_b32 s0, vcc_lo, s0
	s_wait_alu 0xfffe
	s_and_not1_b32 exec_lo, exec_lo, s0
	s_cbranch_execnz .LBB29_4
; %bb.7:
	s_or_b32 exec_lo, exec_lo, s0
.LBB29_8:
	s_delay_alu instid0(SALU_CYCLE_1)
	s_or_b32 exec_lo, exec_lo, s8
	v_mov_b32_e32 v3, 0
	global_store_b64 v3, v[1:2], s[2:3]
.LBB29_9:
	s_wait_alu 0xfffe
	s_or_b32 exec_lo, exec_lo, s7
.LBB29_10:
	s_delay_alu instid0(SALU_CYCLE_1)
	s_mov_b32 s0, exec_lo
	v_cmpx_gt_u32_e64 s6, v0
	s_cbranch_execz .LBB29_12
; %bb.11:
	v_dual_mov_b32 v2, 0 :: v_dual_add_nc_u32 v1, 32, v0
	s_delay_alu instid0(VALU_DEP_1) | instskip(SKIP_2) | instid1(VALU_DEP_3)
	v_lshlrev_b64_e32 v[4:5], 4, v[1:2]
	v_mov_b32_e32 v1, v2
	v_mov_b32_e32 v3, v2
	v_add_co_u32 v6, vcc_lo, s4, v4
	s_delay_alu instid0(VALU_DEP_1)
	v_add_co_ci_u32_e64 v7, null, s5, v5, vcc_lo
	v_mov_b32_e32 v4, v2
	global_store_b128 v[6:7], v[1:4], off
.LBB29_12:
	s_wait_alu 0xfffe
	s_or_b32 exec_lo, exec_lo, s0
	s_delay_alu instid0(SALU_CYCLE_1)
	s_mov_b32 s0, exec_lo
	v_cmpx_gt_u32_e32 32, v0
	s_cbranch_execz .LBB29_14
; %bb.13:
	v_dual_mov_b32 v1, 0 :: v_dual_mov_b32 v2, 0xff
	s_delay_alu instid0(VALU_DEP_1) | instskip(SKIP_1) | instid1(VALU_DEP_2)
	v_lshlrev_b64_e32 v[3:4], 4, v[0:1]
	v_mov_b32_e32 v0, v1
	v_add_co_u32 v5, vcc_lo, s4, v3
	s_wait_alu 0xfffd
	s_delay_alu instid0(VALU_DEP_3)
	v_add_co_ci_u32_e64 v6, null, s5, v4, vcc_lo
	v_mov_b32_e32 v3, v1
	global_store_b128 v[5:6], v[0:3], off
.LBB29_14:
	s_endpgm
	.section	.rodata,"a",@progbits
	.p2align	6, 0x0
	.amdhsa_kernel _ZN7rocprim17ROCPRIM_400000_NS6detail31init_lookback_scan_state_kernelINS1_19lookback_scan_stateImLb1ELb1EEENS1_16block_id_wrapperIjLb0EEEEEvT_jT0_jPNS7_10value_typeE
		.amdhsa_group_segment_fixed_size 0
		.amdhsa_private_segment_fixed_size 0
		.amdhsa_kernarg_size 288
		.amdhsa_user_sgpr_count 2
		.amdhsa_user_sgpr_dispatch_ptr 0
		.amdhsa_user_sgpr_queue_ptr 0
		.amdhsa_user_sgpr_kernarg_segment_ptr 1
		.amdhsa_user_sgpr_dispatch_id 0
		.amdhsa_user_sgpr_private_segment_size 0
		.amdhsa_wavefront_size32 1
		.amdhsa_uses_dynamic_stack 0
		.amdhsa_enable_private_segment 0
		.amdhsa_system_sgpr_workgroup_id_x 1
		.amdhsa_system_sgpr_workgroup_id_y 0
		.amdhsa_system_sgpr_workgroup_id_z 0
		.amdhsa_system_sgpr_workgroup_info 0
		.amdhsa_system_vgpr_workitem_id 0
		.amdhsa_next_free_vgpr 8
		.amdhsa_next_free_sgpr 10
		.amdhsa_reserve_vcc 1
		.amdhsa_float_round_mode_32 0
		.amdhsa_float_round_mode_16_64 0
		.amdhsa_float_denorm_mode_32 3
		.amdhsa_float_denorm_mode_16_64 3
		.amdhsa_fp16_overflow 0
		.amdhsa_workgroup_processor_mode 1
		.amdhsa_memory_ordered 1
		.amdhsa_forward_progress 1
		.amdhsa_inst_pref_size 4
		.amdhsa_round_robin_scheduling 0
		.amdhsa_exception_fp_ieee_invalid_op 0
		.amdhsa_exception_fp_denorm_src 0
		.amdhsa_exception_fp_ieee_div_zero 0
		.amdhsa_exception_fp_ieee_overflow 0
		.amdhsa_exception_fp_ieee_underflow 0
		.amdhsa_exception_fp_ieee_inexact 0
		.amdhsa_exception_int_div_zero 0
	.end_amdhsa_kernel
	.section	.text._ZN7rocprim17ROCPRIM_400000_NS6detail31init_lookback_scan_state_kernelINS1_19lookback_scan_stateImLb1ELb1EEENS1_16block_id_wrapperIjLb0EEEEEvT_jT0_jPNS7_10value_typeE,"axG",@progbits,_ZN7rocprim17ROCPRIM_400000_NS6detail31init_lookback_scan_state_kernelINS1_19lookback_scan_stateImLb1ELb1EEENS1_16block_id_wrapperIjLb0EEEEEvT_jT0_jPNS7_10value_typeE,comdat
.Lfunc_end29:
	.size	_ZN7rocprim17ROCPRIM_400000_NS6detail31init_lookback_scan_state_kernelINS1_19lookback_scan_stateImLb1ELb1EEENS1_16block_id_wrapperIjLb0EEEEEvT_jT0_jPNS7_10value_typeE, .Lfunc_end29-_ZN7rocprim17ROCPRIM_400000_NS6detail31init_lookback_scan_state_kernelINS1_19lookback_scan_stateImLb1ELb1EEENS1_16block_id_wrapperIjLb0EEEEEvT_jT0_jPNS7_10value_typeE
                                        ; -- End function
	.set _ZN7rocprim17ROCPRIM_400000_NS6detail31init_lookback_scan_state_kernelINS1_19lookback_scan_stateImLb1ELb1EEENS1_16block_id_wrapperIjLb0EEEEEvT_jT0_jPNS7_10value_typeE.num_vgpr, 8
	.set _ZN7rocprim17ROCPRIM_400000_NS6detail31init_lookback_scan_state_kernelINS1_19lookback_scan_stateImLb1ELb1EEENS1_16block_id_wrapperIjLb0EEEEEvT_jT0_jPNS7_10value_typeE.num_agpr, 0
	.set _ZN7rocprim17ROCPRIM_400000_NS6detail31init_lookback_scan_state_kernelINS1_19lookback_scan_stateImLb1ELb1EEENS1_16block_id_wrapperIjLb0EEEEEvT_jT0_jPNS7_10value_typeE.numbered_sgpr, 10
	.set _ZN7rocprim17ROCPRIM_400000_NS6detail31init_lookback_scan_state_kernelINS1_19lookback_scan_stateImLb1ELb1EEENS1_16block_id_wrapperIjLb0EEEEEvT_jT0_jPNS7_10value_typeE.num_named_barrier, 0
	.set _ZN7rocprim17ROCPRIM_400000_NS6detail31init_lookback_scan_state_kernelINS1_19lookback_scan_stateImLb1ELb1EEENS1_16block_id_wrapperIjLb0EEEEEvT_jT0_jPNS7_10value_typeE.private_seg_size, 0
	.set _ZN7rocprim17ROCPRIM_400000_NS6detail31init_lookback_scan_state_kernelINS1_19lookback_scan_stateImLb1ELb1EEENS1_16block_id_wrapperIjLb0EEEEEvT_jT0_jPNS7_10value_typeE.uses_vcc, 1
	.set _ZN7rocprim17ROCPRIM_400000_NS6detail31init_lookback_scan_state_kernelINS1_19lookback_scan_stateImLb1ELb1EEENS1_16block_id_wrapperIjLb0EEEEEvT_jT0_jPNS7_10value_typeE.uses_flat_scratch, 0
	.set _ZN7rocprim17ROCPRIM_400000_NS6detail31init_lookback_scan_state_kernelINS1_19lookback_scan_stateImLb1ELb1EEENS1_16block_id_wrapperIjLb0EEEEEvT_jT0_jPNS7_10value_typeE.has_dyn_sized_stack, 0
	.set _ZN7rocprim17ROCPRIM_400000_NS6detail31init_lookback_scan_state_kernelINS1_19lookback_scan_stateImLb1ELb1EEENS1_16block_id_wrapperIjLb0EEEEEvT_jT0_jPNS7_10value_typeE.has_recursion, 0
	.set _ZN7rocprim17ROCPRIM_400000_NS6detail31init_lookback_scan_state_kernelINS1_19lookback_scan_stateImLb1ELb1EEENS1_16block_id_wrapperIjLb0EEEEEvT_jT0_jPNS7_10value_typeE.has_indirect_call, 0
	.section	.AMDGPU.csdata,"",@progbits
; Kernel info:
; codeLenInByte = 456
; TotalNumSgprs: 12
; NumVgprs: 8
; ScratchSize: 0
; MemoryBound: 0
; FloatMode: 240
; IeeeMode: 1
; LDSByteSize: 0 bytes/workgroup (compile time only)
; SGPRBlocks: 0
; VGPRBlocks: 0
; NumSGPRsForWavesPerEU: 12
; NumVGPRsForWavesPerEU: 8
; Occupancy: 16
; WaveLimiterHint : 0
; COMPUTE_PGM_RSRC2:SCRATCH_EN: 0
; COMPUTE_PGM_RSRC2:USER_SGPR: 2
; COMPUTE_PGM_RSRC2:TRAP_HANDLER: 0
; COMPUTE_PGM_RSRC2:TGID_X_EN: 1
; COMPUTE_PGM_RSRC2:TGID_Y_EN: 0
; COMPUTE_PGM_RSRC2:TGID_Z_EN: 0
; COMPUTE_PGM_RSRC2:TIDIG_COMP_CNT: 0
	.section	.text._ZN7rocprim17ROCPRIM_400000_NS6detail17trampoline_kernelINS0_14default_configENS1_25partition_config_selectorILNS1_17partition_subalgoE6EiNS0_10empty_typeEbEEZZNS1_14partition_implILS5_6ELb0ES3_mN6thrust23THRUST_200600_302600_NS6detail15normal_iteratorINSA_10device_ptrIiEEEEPS6_SG_NS0_5tupleIJSF_S6_EEENSH_IJSG_SG_EEES6_PlJ6is_oddIiEEEE10hipError_tPvRmT3_T4_T5_T6_T7_T9_mT8_P12ihipStream_tbDpT10_ENKUlT_T0_E_clISt17integral_constantIbLb1EES15_IbLb0EEEEDaS11_S12_EUlS11_E_NS1_11comp_targetILNS1_3genE0ELNS1_11target_archE4294967295ELNS1_3gpuE0ELNS1_3repE0EEENS1_30default_config_static_selectorELNS0_4arch9wavefront6targetE0EEEvT1_,"axG",@progbits,_ZN7rocprim17ROCPRIM_400000_NS6detail17trampoline_kernelINS0_14default_configENS1_25partition_config_selectorILNS1_17partition_subalgoE6EiNS0_10empty_typeEbEEZZNS1_14partition_implILS5_6ELb0ES3_mN6thrust23THRUST_200600_302600_NS6detail15normal_iteratorINSA_10device_ptrIiEEEEPS6_SG_NS0_5tupleIJSF_S6_EEENSH_IJSG_SG_EEES6_PlJ6is_oddIiEEEE10hipError_tPvRmT3_T4_T5_T6_T7_T9_mT8_P12ihipStream_tbDpT10_ENKUlT_T0_E_clISt17integral_constantIbLb1EES15_IbLb0EEEEDaS11_S12_EUlS11_E_NS1_11comp_targetILNS1_3genE0ELNS1_11target_archE4294967295ELNS1_3gpuE0ELNS1_3repE0EEENS1_30default_config_static_selectorELNS0_4arch9wavefront6targetE0EEEvT1_,comdat
	.protected	_ZN7rocprim17ROCPRIM_400000_NS6detail17trampoline_kernelINS0_14default_configENS1_25partition_config_selectorILNS1_17partition_subalgoE6EiNS0_10empty_typeEbEEZZNS1_14partition_implILS5_6ELb0ES3_mN6thrust23THRUST_200600_302600_NS6detail15normal_iteratorINSA_10device_ptrIiEEEEPS6_SG_NS0_5tupleIJSF_S6_EEENSH_IJSG_SG_EEES6_PlJ6is_oddIiEEEE10hipError_tPvRmT3_T4_T5_T6_T7_T9_mT8_P12ihipStream_tbDpT10_ENKUlT_T0_E_clISt17integral_constantIbLb1EES15_IbLb0EEEEDaS11_S12_EUlS11_E_NS1_11comp_targetILNS1_3genE0ELNS1_11target_archE4294967295ELNS1_3gpuE0ELNS1_3repE0EEENS1_30default_config_static_selectorELNS0_4arch9wavefront6targetE0EEEvT1_ ; -- Begin function _ZN7rocprim17ROCPRIM_400000_NS6detail17trampoline_kernelINS0_14default_configENS1_25partition_config_selectorILNS1_17partition_subalgoE6EiNS0_10empty_typeEbEEZZNS1_14partition_implILS5_6ELb0ES3_mN6thrust23THRUST_200600_302600_NS6detail15normal_iteratorINSA_10device_ptrIiEEEEPS6_SG_NS0_5tupleIJSF_S6_EEENSH_IJSG_SG_EEES6_PlJ6is_oddIiEEEE10hipError_tPvRmT3_T4_T5_T6_T7_T9_mT8_P12ihipStream_tbDpT10_ENKUlT_T0_E_clISt17integral_constantIbLb1EES15_IbLb0EEEEDaS11_S12_EUlS11_E_NS1_11comp_targetILNS1_3genE0ELNS1_11target_archE4294967295ELNS1_3gpuE0ELNS1_3repE0EEENS1_30default_config_static_selectorELNS0_4arch9wavefront6targetE0EEEvT1_
	.globl	_ZN7rocprim17ROCPRIM_400000_NS6detail17trampoline_kernelINS0_14default_configENS1_25partition_config_selectorILNS1_17partition_subalgoE6EiNS0_10empty_typeEbEEZZNS1_14partition_implILS5_6ELb0ES3_mN6thrust23THRUST_200600_302600_NS6detail15normal_iteratorINSA_10device_ptrIiEEEEPS6_SG_NS0_5tupleIJSF_S6_EEENSH_IJSG_SG_EEES6_PlJ6is_oddIiEEEE10hipError_tPvRmT3_T4_T5_T6_T7_T9_mT8_P12ihipStream_tbDpT10_ENKUlT_T0_E_clISt17integral_constantIbLb1EES15_IbLb0EEEEDaS11_S12_EUlS11_E_NS1_11comp_targetILNS1_3genE0ELNS1_11target_archE4294967295ELNS1_3gpuE0ELNS1_3repE0EEENS1_30default_config_static_selectorELNS0_4arch9wavefront6targetE0EEEvT1_
	.p2align	8
	.type	_ZN7rocprim17ROCPRIM_400000_NS6detail17trampoline_kernelINS0_14default_configENS1_25partition_config_selectorILNS1_17partition_subalgoE6EiNS0_10empty_typeEbEEZZNS1_14partition_implILS5_6ELb0ES3_mN6thrust23THRUST_200600_302600_NS6detail15normal_iteratorINSA_10device_ptrIiEEEEPS6_SG_NS0_5tupleIJSF_S6_EEENSH_IJSG_SG_EEES6_PlJ6is_oddIiEEEE10hipError_tPvRmT3_T4_T5_T6_T7_T9_mT8_P12ihipStream_tbDpT10_ENKUlT_T0_E_clISt17integral_constantIbLb1EES15_IbLb0EEEEDaS11_S12_EUlS11_E_NS1_11comp_targetILNS1_3genE0ELNS1_11target_archE4294967295ELNS1_3gpuE0ELNS1_3repE0EEENS1_30default_config_static_selectorELNS0_4arch9wavefront6targetE0EEEvT1_,@function
_ZN7rocprim17ROCPRIM_400000_NS6detail17trampoline_kernelINS0_14default_configENS1_25partition_config_selectorILNS1_17partition_subalgoE6EiNS0_10empty_typeEbEEZZNS1_14partition_implILS5_6ELb0ES3_mN6thrust23THRUST_200600_302600_NS6detail15normal_iteratorINSA_10device_ptrIiEEEEPS6_SG_NS0_5tupleIJSF_S6_EEENSH_IJSG_SG_EEES6_PlJ6is_oddIiEEEE10hipError_tPvRmT3_T4_T5_T6_T7_T9_mT8_P12ihipStream_tbDpT10_ENKUlT_T0_E_clISt17integral_constantIbLb1EES15_IbLb0EEEEDaS11_S12_EUlS11_E_NS1_11comp_targetILNS1_3genE0ELNS1_11target_archE4294967295ELNS1_3gpuE0ELNS1_3repE0EEENS1_30default_config_static_selectorELNS0_4arch9wavefront6targetE0EEEvT1_: ; @_ZN7rocprim17ROCPRIM_400000_NS6detail17trampoline_kernelINS0_14default_configENS1_25partition_config_selectorILNS1_17partition_subalgoE6EiNS0_10empty_typeEbEEZZNS1_14partition_implILS5_6ELb0ES3_mN6thrust23THRUST_200600_302600_NS6detail15normal_iteratorINSA_10device_ptrIiEEEEPS6_SG_NS0_5tupleIJSF_S6_EEENSH_IJSG_SG_EEES6_PlJ6is_oddIiEEEE10hipError_tPvRmT3_T4_T5_T6_T7_T9_mT8_P12ihipStream_tbDpT10_ENKUlT_T0_E_clISt17integral_constantIbLb1EES15_IbLb0EEEEDaS11_S12_EUlS11_E_NS1_11comp_targetILNS1_3genE0ELNS1_11target_archE4294967295ELNS1_3gpuE0ELNS1_3repE0EEENS1_30default_config_static_selectorELNS0_4arch9wavefront6targetE0EEEvT1_
; %bb.0:
	.section	.rodata,"a",@progbits
	.p2align	6, 0x0
	.amdhsa_kernel _ZN7rocprim17ROCPRIM_400000_NS6detail17trampoline_kernelINS0_14default_configENS1_25partition_config_selectorILNS1_17partition_subalgoE6EiNS0_10empty_typeEbEEZZNS1_14partition_implILS5_6ELb0ES3_mN6thrust23THRUST_200600_302600_NS6detail15normal_iteratorINSA_10device_ptrIiEEEEPS6_SG_NS0_5tupleIJSF_S6_EEENSH_IJSG_SG_EEES6_PlJ6is_oddIiEEEE10hipError_tPvRmT3_T4_T5_T6_T7_T9_mT8_P12ihipStream_tbDpT10_ENKUlT_T0_E_clISt17integral_constantIbLb1EES15_IbLb0EEEEDaS11_S12_EUlS11_E_NS1_11comp_targetILNS1_3genE0ELNS1_11target_archE4294967295ELNS1_3gpuE0ELNS1_3repE0EEENS1_30default_config_static_selectorELNS0_4arch9wavefront6targetE0EEEvT1_
		.amdhsa_group_segment_fixed_size 0
		.amdhsa_private_segment_fixed_size 0
		.amdhsa_kernarg_size 112
		.amdhsa_user_sgpr_count 2
		.amdhsa_user_sgpr_dispatch_ptr 0
		.amdhsa_user_sgpr_queue_ptr 0
		.amdhsa_user_sgpr_kernarg_segment_ptr 1
		.amdhsa_user_sgpr_dispatch_id 0
		.amdhsa_user_sgpr_private_segment_size 0
		.amdhsa_wavefront_size32 1
		.amdhsa_uses_dynamic_stack 0
		.amdhsa_enable_private_segment 0
		.amdhsa_system_sgpr_workgroup_id_x 1
		.amdhsa_system_sgpr_workgroup_id_y 0
		.amdhsa_system_sgpr_workgroup_id_z 0
		.amdhsa_system_sgpr_workgroup_info 0
		.amdhsa_system_vgpr_workitem_id 0
		.amdhsa_next_free_vgpr 1
		.amdhsa_next_free_sgpr 1
		.amdhsa_reserve_vcc 0
		.amdhsa_float_round_mode_32 0
		.amdhsa_float_round_mode_16_64 0
		.amdhsa_float_denorm_mode_32 3
		.amdhsa_float_denorm_mode_16_64 3
		.amdhsa_fp16_overflow 0
		.amdhsa_workgroup_processor_mode 1
		.amdhsa_memory_ordered 1
		.amdhsa_forward_progress 1
		.amdhsa_inst_pref_size 0
		.amdhsa_round_robin_scheduling 0
		.amdhsa_exception_fp_ieee_invalid_op 0
		.amdhsa_exception_fp_denorm_src 0
		.amdhsa_exception_fp_ieee_div_zero 0
		.amdhsa_exception_fp_ieee_overflow 0
		.amdhsa_exception_fp_ieee_underflow 0
		.amdhsa_exception_fp_ieee_inexact 0
		.amdhsa_exception_int_div_zero 0
	.end_amdhsa_kernel
	.section	.text._ZN7rocprim17ROCPRIM_400000_NS6detail17trampoline_kernelINS0_14default_configENS1_25partition_config_selectorILNS1_17partition_subalgoE6EiNS0_10empty_typeEbEEZZNS1_14partition_implILS5_6ELb0ES3_mN6thrust23THRUST_200600_302600_NS6detail15normal_iteratorINSA_10device_ptrIiEEEEPS6_SG_NS0_5tupleIJSF_S6_EEENSH_IJSG_SG_EEES6_PlJ6is_oddIiEEEE10hipError_tPvRmT3_T4_T5_T6_T7_T9_mT8_P12ihipStream_tbDpT10_ENKUlT_T0_E_clISt17integral_constantIbLb1EES15_IbLb0EEEEDaS11_S12_EUlS11_E_NS1_11comp_targetILNS1_3genE0ELNS1_11target_archE4294967295ELNS1_3gpuE0ELNS1_3repE0EEENS1_30default_config_static_selectorELNS0_4arch9wavefront6targetE0EEEvT1_,"axG",@progbits,_ZN7rocprim17ROCPRIM_400000_NS6detail17trampoline_kernelINS0_14default_configENS1_25partition_config_selectorILNS1_17partition_subalgoE6EiNS0_10empty_typeEbEEZZNS1_14partition_implILS5_6ELb0ES3_mN6thrust23THRUST_200600_302600_NS6detail15normal_iteratorINSA_10device_ptrIiEEEEPS6_SG_NS0_5tupleIJSF_S6_EEENSH_IJSG_SG_EEES6_PlJ6is_oddIiEEEE10hipError_tPvRmT3_T4_T5_T6_T7_T9_mT8_P12ihipStream_tbDpT10_ENKUlT_T0_E_clISt17integral_constantIbLb1EES15_IbLb0EEEEDaS11_S12_EUlS11_E_NS1_11comp_targetILNS1_3genE0ELNS1_11target_archE4294967295ELNS1_3gpuE0ELNS1_3repE0EEENS1_30default_config_static_selectorELNS0_4arch9wavefront6targetE0EEEvT1_,comdat
.Lfunc_end30:
	.size	_ZN7rocprim17ROCPRIM_400000_NS6detail17trampoline_kernelINS0_14default_configENS1_25partition_config_selectorILNS1_17partition_subalgoE6EiNS0_10empty_typeEbEEZZNS1_14partition_implILS5_6ELb0ES3_mN6thrust23THRUST_200600_302600_NS6detail15normal_iteratorINSA_10device_ptrIiEEEEPS6_SG_NS0_5tupleIJSF_S6_EEENSH_IJSG_SG_EEES6_PlJ6is_oddIiEEEE10hipError_tPvRmT3_T4_T5_T6_T7_T9_mT8_P12ihipStream_tbDpT10_ENKUlT_T0_E_clISt17integral_constantIbLb1EES15_IbLb0EEEEDaS11_S12_EUlS11_E_NS1_11comp_targetILNS1_3genE0ELNS1_11target_archE4294967295ELNS1_3gpuE0ELNS1_3repE0EEENS1_30default_config_static_selectorELNS0_4arch9wavefront6targetE0EEEvT1_, .Lfunc_end30-_ZN7rocprim17ROCPRIM_400000_NS6detail17trampoline_kernelINS0_14default_configENS1_25partition_config_selectorILNS1_17partition_subalgoE6EiNS0_10empty_typeEbEEZZNS1_14partition_implILS5_6ELb0ES3_mN6thrust23THRUST_200600_302600_NS6detail15normal_iteratorINSA_10device_ptrIiEEEEPS6_SG_NS0_5tupleIJSF_S6_EEENSH_IJSG_SG_EEES6_PlJ6is_oddIiEEEE10hipError_tPvRmT3_T4_T5_T6_T7_T9_mT8_P12ihipStream_tbDpT10_ENKUlT_T0_E_clISt17integral_constantIbLb1EES15_IbLb0EEEEDaS11_S12_EUlS11_E_NS1_11comp_targetILNS1_3genE0ELNS1_11target_archE4294967295ELNS1_3gpuE0ELNS1_3repE0EEENS1_30default_config_static_selectorELNS0_4arch9wavefront6targetE0EEEvT1_
                                        ; -- End function
	.set _ZN7rocprim17ROCPRIM_400000_NS6detail17trampoline_kernelINS0_14default_configENS1_25partition_config_selectorILNS1_17partition_subalgoE6EiNS0_10empty_typeEbEEZZNS1_14partition_implILS5_6ELb0ES3_mN6thrust23THRUST_200600_302600_NS6detail15normal_iteratorINSA_10device_ptrIiEEEEPS6_SG_NS0_5tupleIJSF_S6_EEENSH_IJSG_SG_EEES6_PlJ6is_oddIiEEEE10hipError_tPvRmT3_T4_T5_T6_T7_T9_mT8_P12ihipStream_tbDpT10_ENKUlT_T0_E_clISt17integral_constantIbLb1EES15_IbLb0EEEEDaS11_S12_EUlS11_E_NS1_11comp_targetILNS1_3genE0ELNS1_11target_archE4294967295ELNS1_3gpuE0ELNS1_3repE0EEENS1_30default_config_static_selectorELNS0_4arch9wavefront6targetE0EEEvT1_.num_vgpr, 0
	.set _ZN7rocprim17ROCPRIM_400000_NS6detail17trampoline_kernelINS0_14default_configENS1_25partition_config_selectorILNS1_17partition_subalgoE6EiNS0_10empty_typeEbEEZZNS1_14partition_implILS5_6ELb0ES3_mN6thrust23THRUST_200600_302600_NS6detail15normal_iteratorINSA_10device_ptrIiEEEEPS6_SG_NS0_5tupleIJSF_S6_EEENSH_IJSG_SG_EEES6_PlJ6is_oddIiEEEE10hipError_tPvRmT3_T4_T5_T6_T7_T9_mT8_P12ihipStream_tbDpT10_ENKUlT_T0_E_clISt17integral_constantIbLb1EES15_IbLb0EEEEDaS11_S12_EUlS11_E_NS1_11comp_targetILNS1_3genE0ELNS1_11target_archE4294967295ELNS1_3gpuE0ELNS1_3repE0EEENS1_30default_config_static_selectorELNS0_4arch9wavefront6targetE0EEEvT1_.num_agpr, 0
	.set _ZN7rocprim17ROCPRIM_400000_NS6detail17trampoline_kernelINS0_14default_configENS1_25partition_config_selectorILNS1_17partition_subalgoE6EiNS0_10empty_typeEbEEZZNS1_14partition_implILS5_6ELb0ES3_mN6thrust23THRUST_200600_302600_NS6detail15normal_iteratorINSA_10device_ptrIiEEEEPS6_SG_NS0_5tupleIJSF_S6_EEENSH_IJSG_SG_EEES6_PlJ6is_oddIiEEEE10hipError_tPvRmT3_T4_T5_T6_T7_T9_mT8_P12ihipStream_tbDpT10_ENKUlT_T0_E_clISt17integral_constantIbLb1EES15_IbLb0EEEEDaS11_S12_EUlS11_E_NS1_11comp_targetILNS1_3genE0ELNS1_11target_archE4294967295ELNS1_3gpuE0ELNS1_3repE0EEENS1_30default_config_static_selectorELNS0_4arch9wavefront6targetE0EEEvT1_.numbered_sgpr, 0
	.set _ZN7rocprim17ROCPRIM_400000_NS6detail17trampoline_kernelINS0_14default_configENS1_25partition_config_selectorILNS1_17partition_subalgoE6EiNS0_10empty_typeEbEEZZNS1_14partition_implILS5_6ELb0ES3_mN6thrust23THRUST_200600_302600_NS6detail15normal_iteratorINSA_10device_ptrIiEEEEPS6_SG_NS0_5tupleIJSF_S6_EEENSH_IJSG_SG_EEES6_PlJ6is_oddIiEEEE10hipError_tPvRmT3_T4_T5_T6_T7_T9_mT8_P12ihipStream_tbDpT10_ENKUlT_T0_E_clISt17integral_constantIbLb1EES15_IbLb0EEEEDaS11_S12_EUlS11_E_NS1_11comp_targetILNS1_3genE0ELNS1_11target_archE4294967295ELNS1_3gpuE0ELNS1_3repE0EEENS1_30default_config_static_selectorELNS0_4arch9wavefront6targetE0EEEvT1_.num_named_barrier, 0
	.set _ZN7rocprim17ROCPRIM_400000_NS6detail17trampoline_kernelINS0_14default_configENS1_25partition_config_selectorILNS1_17partition_subalgoE6EiNS0_10empty_typeEbEEZZNS1_14partition_implILS5_6ELb0ES3_mN6thrust23THRUST_200600_302600_NS6detail15normal_iteratorINSA_10device_ptrIiEEEEPS6_SG_NS0_5tupleIJSF_S6_EEENSH_IJSG_SG_EEES6_PlJ6is_oddIiEEEE10hipError_tPvRmT3_T4_T5_T6_T7_T9_mT8_P12ihipStream_tbDpT10_ENKUlT_T0_E_clISt17integral_constantIbLb1EES15_IbLb0EEEEDaS11_S12_EUlS11_E_NS1_11comp_targetILNS1_3genE0ELNS1_11target_archE4294967295ELNS1_3gpuE0ELNS1_3repE0EEENS1_30default_config_static_selectorELNS0_4arch9wavefront6targetE0EEEvT1_.private_seg_size, 0
	.set _ZN7rocprim17ROCPRIM_400000_NS6detail17trampoline_kernelINS0_14default_configENS1_25partition_config_selectorILNS1_17partition_subalgoE6EiNS0_10empty_typeEbEEZZNS1_14partition_implILS5_6ELb0ES3_mN6thrust23THRUST_200600_302600_NS6detail15normal_iteratorINSA_10device_ptrIiEEEEPS6_SG_NS0_5tupleIJSF_S6_EEENSH_IJSG_SG_EEES6_PlJ6is_oddIiEEEE10hipError_tPvRmT3_T4_T5_T6_T7_T9_mT8_P12ihipStream_tbDpT10_ENKUlT_T0_E_clISt17integral_constantIbLb1EES15_IbLb0EEEEDaS11_S12_EUlS11_E_NS1_11comp_targetILNS1_3genE0ELNS1_11target_archE4294967295ELNS1_3gpuE0ELNS1_3repE0EEENS1_30default_config_static_selectorELNS0_4arch9wavefront6targetE0EEEvT1_.uses_vcc, 0
	.set _ZN7rocprim17ROCPRIM_400000_NS6detail17trampoline_kernelINS0_14default_configENS1_25partition_config_selectorILNS1_17partition_subalgoE6EiNS0_10empty_typeEbEEZZNS1_14partition_implILS5_6ELb0ES3_mN6thrust23THRUST_200600_302600_NS6detail15normal_iteratorINSA_10device_ptrIiEEEEPS6_SG_NS0_5tupleIJSF_S6_EEENSH_IJSG_SG_EEES6_PlJ6is_oddIiEEEE10hipError_tPvRmT3_T4_T5_T6_T7_T9_mT8_P12ihipStream_tbDpT10_ENKUlT_T0_E_clISt17integral_constantIbLb1EES15_IbLb0EEEEDaS11_S12_EUlS11_E_NS1_11comp_targetILNS1_3genE0ELNS1_11target_archE4294967295ELNS1_3gpuE0ELNS1_3repE0EEENS1_30default_config_static_selectorELNS0_4arch9wavefront6targetE0EEEvT1_.uses_flat_scratch, 0
	.set _ZN7rocprim17ROCPRIM_400000_NS6detail17trampoline_kernelINS0_14default_configENS1_25partition_config_selectorILNS1_17partition_subalgoE6EiNS0_10empty_typeEbEEZZNS1_14partition_implILS5_6ELb0ES3_mN6thrust23THRUST_200600_302600_NS6detail15normal_iteratorINSA_10device_ptrIiEEEEPS6_SG_NS0_5tupleIJSF_S6_EEENSH_IJSG_SG_EEES6_PlJ6is_oddIiEEEE10hipError_tPvRmT3_T4_T5_T6_T7_T9_mT8_P12ihipStream_tbDpT10_ENKUlT_T0_E_clISt17integral_constantIbLb1EES15_IbLb0EEEEDaS11_S12_EUlS11_E_NS1_11comp_targetILNS1_3genE0ELNS1_11target_archE4294967295ELNS1_3gpuE0ELNS1_3repE0EEENS1_30default_config_static_selectorELNS0_4arch9wavefront6targetE0EEEvT1_.has_dyn_sized_stack, 0
	.set _ZN7rocprim17ROCPRIM_400000_NS6detail17trampoline_kernelINS0_14default_configENS1_25partition_config_selectorILNS1_17partition_subalgoE6EiNS0_10empty_typeEbEEZZNS1_14partition_implILS5_6ELb0ES3_mN6thrust23THRUST_200600_302600_NS6detail15normal_iteratorINSA_10device_ptrIiEEEEPS6_SG_NS0_5tupleIJSF_S6_EEENSH_IJSG_SG_EEES6_PlJ6is_oddIiEEEE10hipError_tPvRmT3_T4_T5_T6_T7_T9_mT8_P12ihipStream_tbDpT10_ENKUlT_T0_E_clISt17integral_constantIbLb1EES15_IbLb0EEEEDaS11_S12_EUlS11_E_NS1_11comp_targetILNS1_3genE0ELNS1_11target_archE4294967295ELNS1_3gpuE0ELNS1_3repE0EEENS1_30default_config_static_selectorELNS0_4arch9wavefront6targetE0EEEvT1_.has_recursion, 0
	.set _ZN7rocprim17ROCPRIM_400000_NS6detail17trampoline_kernelINS0_14default_configENS1_25partition_config_selectorILNS1_17partition_subalgoE6EiNS0_10empty_typeEbEEZZNS1_14partition_implILS5_6ELb0ES3_mN6thrust23THRUST_200600_302600_NS6detail15normal_iteratorINSA_10device_ptrIiEEEEPS6_SG_NS0_5tupleIJSF_S6_EEENSH_IJSG_SG_EEES6_PlJ6is_oddIiEEEE10hipError_tPvRmT3_T4_T5_T6_T7_T9_mT8_P12ihipStream_tbDpT10_ENKUlT_T0_E_clISt17integral_constantIbLb1EES15_IbLb0EEEEDaS11_S12_EUlS11_E_NS1_11comp_targetILNS1_3genE0ELNS1_11target_archE4294967295ELNS1_3gpuE0ELNS1_3repE0EEENS1_30default_config_static_selectorELNS0_4arch9wavefront6targetE0EEEvT1_.has_indirect_call, 0
	.section	.AMDGPU.csdata,"",@progbits
; Kernel info:
; codeLenInByte = 0
; TotalNumSgprs: 0
; NumVgprs: 0
; ScratchSize: 0
; MemoryBound: 0
; FloatMode: 240
; IeeeMode: 1
; LDSByteSize: 0 bytes/workgroup (compile time only)
; SGPRBlocks: 0
; VGPRBlocks: 0
; NumSGPRsForWavesPerEU: 1
; NumVGPRsForWavesPerEU: 1
; Occupancy: 16
; WaveLimiterHint : 0
; COMPUTE_PGM_RSRC2:SCRATCH_EN: 0
; COMPUTE_PGM_RSRC2:USER_SGPR: 2
; COMPUTE_PGM_RSRC2:TRAP_HANDLER: 0
; COMPUTE_PGM_RSRC2:TGID_X_EN: 1
; COMPUTE_PGM_RSRC2:TGID_Y_EN: 0
; COMPUTE_PGM_RSRC2:TGID_Z_EN: 0
; COMPUTE_PGM_RSRC2:TIDIG_COMP_CNT: 0
	.section	.text._ZN7rocprim17ROCPRIM_400000_NS6detail17trampoline_kernelINS0_14default_configENS1_25partition_config_selectorILNS1_17partition_subalgoE6EiNS0_10empty_typeEbEEZZNS1_14partition_implILS5_6ELb0ES3_mN6thrust23THRUST_200600_302600_NS6detail15normal_iteratorINSA_10device_ptrIiEEEEPS6_SG_NS0_5tupleIJSF_S6_EEENSH_IJSG_SG_EEES6_PlJ6is_oddIiEEEE10hipError_tPvRmT3_T4_T5_T6_T7_T9_mT8_P12ihipStream_tbDpT10_ENKUlT_T0_E_clISt17integral_constantIbLb1EES15_IbLb0EEEEDaS11_S12_EUlS11_E_NS1_11comp_targetILNS1_3genE5ELNS1_11target_archE942ELNS1_3gpuE9ELNS1_3repE0EEENS1_30default_config_static_selectorELNS0_4arch9wavefront6targetE0EEEvT1_,"axG",@progbits,_ZN7rocprim17ROCPRIM_400000_NS6detail17trampoline_kernelINS0_14default_configENS1_25partition_config_selectorILNS1_17partition_subalgoE6EiNS0_10empty_typeEbEEZZNS1_14partition_implILS5_6ELb0ES3_mN6thrust23THRUST_200600_302600_NS6detail15normal_iteratorINSA_10device_ptrIiEEEEPS6_SG_NS0_5tupleIJSF_S6_EEENSH_IJSG_SG_EEES6_PlJ6is_oddIiEEEE10hipError_tPvRmT3_T4_T5_T6_T7_T9_mT8_P12ihipStream_tbDpT10_ENKUlT_T0_E_clISt17integral_constantIbLb1EES15_IbLb0EEEEDaS11_S12_EUlS11_E_NS1_11comp_targetILNS1_3genE5ELNS1_11target_archE942ELNS1_3gpuE9ELNS1_3repE0EEENS1_30default_config_static_selectorELNS0_4arch9wavefront6targetE0EEEvT1_,comdat
	.protected	_ZN7rocprim17ROCPRIM_400000_NS6detail17trampoline_kernelINS0_14default_configENS1_25partition_config_selectorILNS1_17partition_subalgoE6EiNS0_10empty_typeEbEEZZNS1_14partition_implILS5_6ELb0ES3_mN6thrust23THRUST_200600_302600_NS6detail15normal_iteratorINSA_10device_ptrIiEEEEPS6_SG_NS0_5tupleIJSF_S6_EEENSH_IJSG_SG_EEES6_PlJ6is_oddIiEEEE10hipError_tPvRmT3_T4_T5_T6_T7_T9_mT8_P12ihipStream_tbDpT10_ENKUlT_T0_E_clISt17integral_constantIbLb1EES15_IbLb0EEEEDaS11_S12_EUlS11_E_NS1_11comp_targetILNS1_3genE5ELNS1_11target_archE942ELNS1_3gpuE9ELNS1_3repE0EEENS1_30default_config_static_selectorELNS0_4arch9wavefront6targetE0EEEvT1_ ; -- Begin function _ZN7rocprim17ROCPRIM_400000_NS6detail17trampoline_kernelINS0_14default_configENS1_25partition_config_selectorILNS1_17partition_subalgoE6EiNS0_10empty_typeEbEEZZNS1_14partition_implILS5_6ELb0ES3_mN6thrust23THRUST_200600_302600_NS6detail15normal_iteratorINSA_10device_ptrIiEEEEPS6_SG_NS0_5tupleIJSF_S6_EEENSH_IJSG_SG_EEES6_PlJ6is_oddIiEEEE10hipError_tPvRmT3_T4_T5_T6_T7_T9_mT8_P12ihipStream_tbDpT10_ENKUlT_T0_E_clISt17integral_constantIbLb1EES15_IbLb0EEEEDaS11_S12_EUlS11_E_NS1_11comp_targetILNS1_3genE5ELNS1_11target_archE942ELNS1_3gpuE9ELNS1_3repE0EEENS1_30default_config_static_selectorELNS0_4arch9wavefront6targetE0EEEvT1_
	.globl	_ZN7rocprim17ROCPRIM_400000_NS6detail17trampoline_kernelINS0_14default_configENS1_25partition_config_selectorILNS1_17partition_subalgoE6EiNS0_10empty_typeEbEEZZNS1_14partition_implILS5_6ELb0ES3_mN6thrust23THRUST_200600_302600_NS6detail15normal_iteratorINSA_10device_ptrIiEEEEPS6_SG_NS0_5tupleIJSF_S6_EEENSH_IJSG_SG_EEES6_PlJ6is_oddIiEEEE10hipError_tPvRmT3_T4_T5_T6_T7_T9_mT8_P12ihipStream_tbDpT10_ENKUlT_T0_E_clISt17integral_constantIbLb1EES15_IbLb0EEEEDaS11_S12_EUlS11_E_NS1_11comp_targetILNS1_3genE5ELNS1_11target_archE942ELNS1_3gpuE9ELNS1_3repE0EEENS1_30default_config_static_selectorELNS0_4arch9wavefront6targetE0EEEvT1_
	.p2align	8
	.type	_ZN7rocprim17ROCPRIM_400000_NS6detail17trampoline_kernelINS0_14default_configENS1_25partition_config_selectorILNS1_17partition_subalgoE6EiNS0_10empty_typeEbEEZZNS1_14partition_implILS5_6ELb0ES3_mN6thrust23THRUST_200600_302600_NS6detail15normal_iteratorINSA_10device_ptrIiEEEEPS6_SG_NS0_5tupleIJSF_S6_EEENSH_IJSG_SG_EEES6_PlJ6is_oddIiEEEE10hipError_tPvRmT3_T4_T5_T6_T7_T9_mT8_P12ihipStream_tbDpT10_ENKUlT_T0_E_clISt17integral_constantIbLb1EES15_IbLb0EEEEDaS11_S12_EUlS11_E_NS1_11comp_targetILNS1_3genE5ELNS1_11target_archE942ELNS1_3gpuE9ELNS1_3repE0EEENS1_30default_config_static_selectorELNS0_4arch9wavefront6targetE0EEEvT1_,@function
_ZN7rocprim17ROCPRIM_400000_NS6detail17trampoline_kernelINS0_14default_configENS1_25partition_config_selectorILNS1_17partition_subalgoE6EiNS0_10empty_typeEbEEZZNS1_14partition_implILS5_6ELb0ES3_mN6thrust23THRUST_200600_302600_NS6detail15normal_iteratorINSA_10device_ptrIiEEEEPS6_SG_NS0_5tupleIJSF_S6_EEENSH_IJSG_SG_EEES6_PlJ6is_oddIiEEEE10hipError_tPvRmT3_T4_T5_T6_T7_T9_mT8_P12ihipStream_tbDpT10_ENKUlT_T0_E_clISt17integral_constantIbLb1EES15_IbLb0EEEEDaS11_S12_EUlS11_E_NS1_11comp_targetILNS1_3genE5ELNS1_11target_archE942ELNS1_3gpuE9ELNS1_3repE0EEENS1_30default_config_static_selectorELNS0_4arch9wavefront6targetE0EEEvT1_: ; @_ZN7rocprim17ROCPRIM_400000_NS6detail17trampoline_kernelINS0_14default_configENS1_25partition_config_selectorILNS1_17partition_subalgoE6EiNS0_10empty_typeEbEEZZNS1_14partition_implILS5_6ELb0ES3_mN6thrust23THRUST_200600_302600_NS6detail15normal_iteratorINSA_10device_ptrIiEEEEPS6_SG_NS0_5tupleIJSF_S6_EEENSH_IJSG_SG_EEES6_PlJ6is_oddIiEEEE10hipError_tPvRmT3_T4_T5_T6_T7_T9_mT8_P12ihipStream_tbDpT10_ENKUlT_T0_E_clISt17integral_constantIbLb1EES15_IbLb0EEEEDaS11_S12_EUlS11_E_NS1_11comp_targetILNS1_3genE5ELNS1_11target_archE942ELNS1_3gpuE9ELNS1_3repE0EEENS1_30default_config_static_selectorELNS0_4arch9wavefront6targetE0EEEvT1_
; %bb.0:
	.section	.rodata,"a",@progbits
	.p2align	6, 0x0
	.amdhsa_kernel _ZN7rocprim17ROCPRIM_400000_NS6detail17trampoline_kernelINS0_14default_configENS1_25partition_config_selectorILNS1_17partition_subalgoE6EiNS0_10empty_typeEbEEZZNS1_14partition_implILS5_6ELb0ES3_mN6thrust23THRUST_200600_302600_NS6detail15normal_iteratorINSA_10device_ptrIiEEEEPS6_SG_NS0_5tupleIJSF_S6_EEENSH_IJSG_SG_EEES6_PlJ6is_oddIiEEEE10hipError_tPvRmT3_T4_T5_T6_T7_T9_mT8_P12ihipStream_tbDpT10_ENKUlT_T0_E_clISt17integral_constantIbLb1EES15_IbLb0EEEEDaS11_S12_EUlS11_E_NS1_11comp_targetILNS1_3genE5ELNS1_11target_archE942ELNS1_3gpuE9ELNS1_3repE0EEENS1_30default_config_static_selectorELNS0_4arch9wavefront6targetE0EEEvT1_
		.amdhsa_group_segment_fixed_size 0
		.amdhsa_private_segment_fixed_size 0
		.amdhsa_kernarg_size 112
		.amdhsa_user_sgpr_count 2
		.amdhsa_user_sgpr_dispatch_ptr 0
		.amdhsa_user_sgpr_queue_ptr 0
		.amdhsa_user_sgpr_kernarg_segment_ptr 1
		.amdhsa_user_sgpr_dispatch_id 0
		.amdhsa_user_sgpr_private_segment_size 0
		.amdhsa_wavefront_size32 1
		.amdhsa_uses_dynamic_stack 0
		.amdhsa_enable_private_segment 0
		.amdhsa_system_sgpr_workgroup_id_x 1
		.amdhsa_system_sgpr_workgroup_id_y 0
		.amdhsa_system_sgpr_workgroup_id_z 0
		.amdhsa_system_sgpr_workgroup_info 0
		.amdhsa_system_vgpr_workitem_id 0
		.amdhsa_next_free_vgpr 1
		.amdhsa_next_free_sgpr 1
		.amdhsa_reserve_vcc 0
		.amdhsa_float_round_mode_32 0
		.amdhsa_float_round_mode_16_64 0
		.amdhsa_float_denorm_mode_32 3
		.amdhsa_float_denorm_mode_16_64 3
		.amdhsa_fp16_overflow 0
		.amdhsa_workgroup_processor_mode 1
		.amdhsa_memory_ordered 1
		.amdhsa_forward_progress 1
		.amdhsa_inst_pref_size 0
		.amdhsa_round_robin_scheduling 0
		.amdhsa_exception_fp_ieee_invalid_op 0
		.amdhsa_exception_fp_denorm_src 0
		.amdhsa_exception_fp_ieee_div_zero 0
		.amdhsa_exception_fp_ieee_overflow 0
		.amdhsa_exception_fp_ieee_underflow 0
		.amdhsa_exception_fp_ieee_inexact 0
		.amdhsa_exception_int_div_zero 0
	.end_amdhsa_kernel
	.section	.text._ZN7rocprim17ROCPRIM_400000_NS6detail17trampoline_kernelINS0_14default_configENS1_25partition_config_selectorILNS1_17partition_subalgoE6EiNS0_10empty_typeEbEEZZNS1_14partition_implILS5_6ELb0ES3_mN6thrust23THRUST_200600_302600_NS6detail15normal_iteratorINSA_10device_ptrIiEEEEPS6_SG_NS0_5tupleIJSF_S6_EEENSH_IJSG_SG_EEES6_PlJ6is_oddIiEEEE10hipError_tPvRmT3_T4_T5_T6_T7_T9_mT8_P12ihipStream_tbDpT10_ENKUlT_T0_E_clISt17integral_constantIbLb1EES15_IbLb0EEEEDaS11_S12_EUlS11_E_NS1_11comp_targetILNS1_3genE5ELNS1_11target_archE942ELNS1_3gpuE9ELNS1_3repE0EEENS1_30default_config_static_selectorELNS0_4arch9wavefront6targetE0EEEvT1_,"axG",@progbits,_ZN7rocprim17ROCPRIM_400000_NS6detail17trampoline_kernelINS0_14default_configENS1_25partition_config_selectorILNS1_17partition_subalgoE6EiNS0_10empty_typeEbEEZZNS1_14partition_implILS5_6ELb0ES3_mN6thrust23THRUST_200600_302600_NS6detail15normal_iteratorINSA_10device_ptrIiEEEEPS6_SG_NS0_5tupleIJSF_S6_EEENSH_IJSG_SG_EEES6_PlJ6is_oddIiEEEE10hipError_tPvRmT3_T4_T5_T6_T7_T9_mT8_P12ihipStream_tbDpT10_ENKUlT_T0_E_clISt17integral_constantIbLb1EES15_IbLb0EEEEDaS11_S12_EUlS11_E_NS1_11comp_targetILNS1_3genE5ELNS1_11target_archE942ELNS1_3gpuE9ELNS1_3repE0EEENS1_30default_config_static_selectorELNS0_4arch9wavefront6targetE0EEEvT1_,comdat
.Lfunc_end31:
	.size	_ZN7rocprim17ROCPRIM_400000_NS6detail17trampoline_kernelINS0_14default_configENS1_25partition_config_selectorILNS1_17partition_subalgoE6EiNS0_10empty_typeEbEEZZNS1_14partition_implILS5_6ELb0ES3_mN6thrust23THRUST_200600_302600_NS6detail15normal_iteratorINSA_10device_ptrIiEEEEPS6_SG_NS0_5tupleIJSF_S6_EEENSH_IJSG_SG_EEES6_PlJ6is_oddIiEEEE10hipError_tPvRmT3_T4_T5_T6_T7_T9_mT8_P12ihipStream_tbDpT10_ENKUlT_T0_E_clISt17integral_constantIbLb1EES15_IbLb0EEEEDaS11_S12_EUlS11_E_NS1_11comp_targetILNS1_3genE5ELNS1_11target_archE942ELNS1_3gpuE9ELNS1_3repE0EEENS1_30default_config_static_selectorELNS0_4arch9wavefront6targetE0EEEvT1_, .Lfunc_end31-_ZN7rocprim17ROCPRIM_400000_NS6detail17trampoline_kernelINS0_14default_configENS1_25partition_config_selectorILNS1_17partition_subalgoE6EiNS0_10empty_typeEbEEZZNS1_14partition_implILS5_6ELb0ES3_mN6thrust23THRUST_200600_302600_NS6detail15normal_iteratorINSA_10device_ptrIiEEEEPS6_SG_NS0_5tupleIJSF_S6_EEENSH_IJSG_SG_EEES6_PlJ6is_oddIiEEEE10hipError_tPvRmT3_T4_T5_T6_T7_T9_mT8_P12ihipStream_tbDpT10_ENKUlT_T0_E_clISt17integral_constantIbLb1EES15_IbLb0EEEEDaS11_S12_EUlS11_E_NS1_11comp_targetILNS1_3genE5ELNS1_11target_archE942ELNS1_3gpuE9ELNS1_3repE0EEENS1_30default_config_static_selectorELNS0_4arch9wavefront6targetE0EEEvT1_
                                        ; -- End function
	.set _ZN7rocprim17ROCPRIM_400000_NS6detail17trampoline_kernelINS0_14default_configENS1_25partition_config_selectorILNS1_17partition_subalgoE6EiNS0_10empty_typeEbEEZZNS1_14partition_implILS5_6ELb0ES3_mN6thrust23THRUST_200600_302600_NS6detail15normal_iteratorINSA_10device_ptrIiEEEEPS6_SG_NS0_5tupleIJSF_S6_EEENSH_IJSG_SG_EEES6_PlJ6is_oddIiEEEE10hipError_tPvRmT3_T4_T5_T6_T7_T9_mT8_P12ihipStream_tbDpT10_ENKUlT_T0_E_clISt17integral_constantIbLb1EES15_IbLb0EEEEDaS11_S12_EUlS11_E_NS1_11comp_targetILNS1_3genE5ELNS1_11target_archE942ELNS1_3gpuE9ELNS1_3repE0EEENS1_30default_config_static_selectorELNS0_4arch9wavefront6targetE0EEEvT1_.num_vgpr, 0
	.set _ZN7rocprim17ROCPRIM_400000_NS6detail17trampoline_kernelINS0_14default_configENS1_25partition_config_selectorILNS1_17partition_subalgoE6EiNS0_10empty_typeEbEEZZNS1_14partition_implILS5_6ELb0ES3_mN6thrust23THRUST_200600_302600_NS6detail15normal_iteratorINSA_10device_ptrIiEEEEPS6_SG_NS0_5tupleIJSF_S6_EEENSH_IJSG_SG_EEES6_PlJ6is_oddIiEEEE10hipError_tPvRmT3_T4_T5_T6_T7_T9_mT8_P12ihipStream_tbDpT10_ENKUlT_T0_E_clISt17integral_constantIbLb1EES15_IbLb0EEEEDaS11_S12_EUlS11_E_NS1_11comp_targetILNS1_3genE5ELNS1_11target_archE942ELNS1_3gpuE9ELNS1_3repE0EEENS1_30default_config_static_selectorELNS0_4arch9wavefront6targetE0EEEvT1_.num_agpr, 0
	.set _ZN7rocprim17ROCPRIM_400000_NS6detail17trampoline_kernelINS0_14default_configENS1_25partition_config_selectorILNS1_17partition_subalgoE6EiNS0_10empty_typeEbEEZZNS1_14partition_implILS5_6ELb0ES3_mN6thrust23THRUST_200600_302600_NS6detail15normal_iteratorINSA_10device_ptrIiEEEEPS6_SG_NS0_5tupleIJSF_S6_EEENSH_IJSG_SG_EEES6_PlJ6is_oddIiEEEE10hipError_tPvRmT3_T4_T5_T6_T7_T9_mT8_P12ihipStream_tbDpT10_ENKUlT_T0_E_clISt17integral_constantIbLb1EES15_IbLb0EEEEDaS11_S12_EUlS11_E_NS1_11comp_targetILNS1_3genE5ELNS1_11target_archE942ELNS1_3gpuE9ELNS1_3repE0EEENS1_30default_config_static_selectorELNS0_4arch9wavefront6targetE0EEEvT1_.numbered_sgpr, 0
	.set _ZN7rocprim17ROCPRIM_400000_NS6detail17trampoline_kernelINS0_14default_configENS1_25partition_config_selectorILNS1_17partition_subalgoE6EiNS0_10empty_typeEbEEZZNS1_14partition_implILS5_6ELb0ES3_mN6thrust23THRUST_200600_302600_NS6detail15normal_iteratorINSA_10device_ptrIiEEEEPS6_SG_NS0_5tupleIJSF_S6_EEENSH_IJSG_SG_EEES6_PlJ6is_oddIiEEEE10hipError_tPvRmT3_T4_T5_T6_T7_T9_mT8_P12ihipStream_tbDpT10_ENKUlT_T0_E_clISt17integral_constantIbLb1EES15_IbLb0EEEEDaS11_S12_EUlS11_E_NS1_11comp_targetILNS1_3genE5ELNS1_11target_archE942ELNS1_3gpuE9ELNS1_3repE0EEENS1_30default_config_static_selectorELNS0_4arch9wavefront6targetE0EEEvT1_.num_named_barrier, 0
	.set _ZN7rocprim17ROCPRIM_400000_NS6detail17trampoline_kernelINS0_14default_configENS1_25partition_config_selectorILNS1_17partition_subalgoE6EiNS0_10empty_typeEbEEZZNS1_14partition_implILS5_6ELb0ES3_mN6thrust23THRUST_200600_302600_NS6detail15normal_iteratorINSA_10device_ptrIiEEEEPS6_SG_NS0_5tupleIJSF_S6_EEENSH_IJSG_SG_EEES6_PlJ6is_oddIiEEEE10hipError_tPvRmT3_T4_T5_T6_T7_T9_mT8_P12ihipStream_tbDpT10_ENKUlT_T0_E_clISt17integral_constantIbLb1EES15_IbLb0EEEEDaS11_S12_EUlS11_E_NS1_11comp_targetILNS1_3genE5ELNS1_11target_archE942ELNS1_3gpuE9ELNS1_3repE0EEENS1_30default_config_static_selectorELNS0_4arch9wavefront6targetE0EEEvT1_.private_seg_size, 0
	.set _ZN7rocprim17ROCPRIM_400000_NS6detail17trampoline_kernelINS0_14default_configENS1_25partition_config_selectorILNS1_17partition_subalgoE6EiNS0_10empty_typeEbEEZZNS1_14partition_implILS5_6ELb0ES3_mN6thrust23THRUST_200600_302600_NS6detail15normal_iteratorINSA_10device_ptrIiEEEEPS6_SG_NS0_5tupleIJSF_S6_EEENSH_IJSG_SG_EEES6_PlJ6is_oddIiEEEE10hipError_tPvRmT3_T4_T5_T6_T7_T9_mT8_P12ihipStream_tbDpT10_ENKUlT_T0_E_clISt17integral_constantIbLb1EES15_IbLb0EEEEDaS11_S12_EUlS11_E_NS1_11comp_targetILNS1_3genE5ELNS1_11target_archE942ELNS1_3gpuE9ELNS1_3repE0EEENS1_30default_config_static_selectorELNS0_4arch9wavefront6targetE0EEEvT1_.uses_vcc, 0
	.set _ZN7rocprim17ROCPRIM_400000_NS6detail17trampoline_kernelINS0_14default_configENS1_25partition_config_selectorILNS1_17partition_subalgoE6EiNS0_10empty_typeEbEEZZNS1_14partition_implILS5_6ELb0ES3_mN6thrust23THRUST_200600_302600_NS6detail15normal_iteratorINSA_10device_ptrIiEEEEPS6_SG_NS0_5tupleIJSF_S6_EEENSH_IJSG_SG_EEES6_PlJ6is_oddIiEEEE10hipError_tPvRmT3_T4_T5_T6_T7_T9_mT8_P12ihipStream_tbDpT10_ENKUlT_T0_E_clISt17integral_constantIbLb1EES15_IbLb0EEEEDaS11_S12_EUlS11_E_NS1_11comp_targetILNS1_3genE5ELNS1_11target_archE942ELNS1_3gpuE9ELNS1_3repE0EEENS1_30default_config_static_selectorELNS0_4arch9wavefront6targetE0EEEvT1_.uses_flat_scratch, 0
	.set _ZN7rocprim17ROCPRIM_400000_NS6detail17trampoline_kernelINS0_14default_configENS1_25partition_config_selectorILNS1_17partition_subalgoE6EiNS0_10empty_typeEbEEZZNS1_14partition_implILS5_6ELb0ES3_mN6thrust23THRUST_200600_302600_NS6detail15normal_iteratorINSA_10device_ptrIiEEEEPS6_SG_NS0_5tupleIJSF_S6_EEENSH_IJSG_SG_EEES6_PlJ6is_oddIiEEEE10hipError_tPvRmT3_T4_T5_T6_T7_T9_mT8_P12ihipStream_tbDpT10_ENKUlT_T0_E_clISt17integral_constantIbLb1EES15_IbLb0EEEEDaS11_S12_EUlS11_E_NS1_11comp_targetILNS1_3genE5ELNS1_11target_archE942ELNS1_3gpuE9ELNS1_3repE0EEENS1_30default_config_static_selectorELNS0_4arch9wavefront6targetE0EEEvT1_.has_dyn_sized_stack, 0
	.set _ZN7rocprim17ROCPRIM_400000_NS6detail17trampoline_kernelINS0_14default_configENS1_25partition_config_selectorILNS1_17partition_subalgoE6EiNS0_10empty_typeEbEEZZNS1_14partition_implILS5_6ELb0ES3_mN6thrust23THRUST_200600_302600_NS6detail15normal_iteratorINSA_10device_ptrIiEEEEPS6_SG_NS0_5tupleIJSF_S6_EEENSH_IJSG_SG_EEES6_PlJ6is_oddIiEEEE10hipError_tPvRmT3_T4_T5_T6_T7_T9_mT8_P12ihipStream_tbDpT10_ENKUlT_T0_E_clISt17integral_constantIbLb1EES15_IbLb0EEEEDaS11_S12_EUlS11_E_NS1_11comp_targetILNS1_3genE5ELNS1_11target_archE942ELNS1_3gpuE9ELNS1_3repE0EEENS1_30default_config_static_selectorELNS0_4arch9wavefront6targetE0EEEvT1_.has_recursion, 0
	.set _ZN7rocprim17ROCPRIM_400000_NS6detail17trampoline_kernelINS0_14default_configENS1_25partition_config_selectorILNS1_17partition_subalgoE6EiNS0_10empty_typeEbEEZZNS1_14partition_implILS5_6ELb0ES3_mN6thrust23THRUST_200600_302600_NS6detail15normal_iteratorINSA_10device_ptrIiEEEEPS6_SG_NS0_5tupleIJSF_S6_EEENSH_IJSG_SG_EEES6_PlJ6is_oddIiEEEE10hipError_tPvRmT3_T4_T5_T6_T7_T9_mT8_P12ihipStream_tbDpT10_ENKUlT_T0_E_clISt17integral_constantIbLb1EES15_IbLb0EEEEDaS11_S12_EUlS11_E_NS1_11comp_targetILNS1_3genE5ELNS1_11target_archE942ELNS1_3gpuE9ELNS1_3repE0EEENS1_30default_config_static_selectorELNS0_4arch9wavefront6targetE0EEEvT1_.has_indirect_call, 0
	.section	.AMDGPU.csdata,"",@progbits
; Kernel info:
; codeLenInByte = 0
; TotalNumSgprs: 0
; NumVgprs: 0
; ScratchSize: 0
; MemoryBound: 0
; FloatMode: 240
; IeeeMode: 1
; LDSByteSize: 0 bytes/workgroup (compile time only)
; SGPRBlocks: 0
; VGPRBlocks: 0
; NumSGPRsForWavesPerEU: 1
; NumVGPRsForWavesPerEU: 1
; Occupancy: 16
; WaveLimiterHint : 0
; COMPUTE_PGM_RSRC2:SCRATCH_EN: 0
; COMPUTE_PGM_RSRC2:USER_SGPR: 2
; COMPUTE_PGM_RSRC2:TRAP_HANDLER: 0
; COMPUTE_PGM_RSRC2:TGID_X_EN: 1
; COMPUTE_PGM_RSRC2:TGID_Y_EN: 0
; COMPUTE_PGM_RSRC2:TGID_Z_EN: 0
; COMPUTE_PGM_RSRC2:TIDIG_COMP_CNT: 0
	.section	.text._ZN7rocprim17ROCPRIM_400000_NS6detail17trampoline_kernelINS0_14default_configENS1_25partition_config_selectorILNS1_17partition_subalgoE6EiNS0_10empty_typeEbEEZZNS1_14partition_implILS5_6ELb0ES3_mN6thrust23THRUST_200600_302600_NS6detail15normal_iteratorINSA_10device_ptrIiEEEEPS6_SG_NS0_5tupleIJSF_S6_EEENSH_IJSG_SG_EEES6_PlJ6is_oddIiEEEE10hipError_tPvRmT3_T4_T5_T6_T7_T9_mT8_P12ihipStream_tbDpT10_ENKUlT_T0_E_clISt17integral_constantIbLb1EES15_IbLb0EEEEDaS11_S12_EUlS11_E_NS1_11comp_targetILNS1_3genE4ELNS1_11target_archE910ELNS1_3gpuE8ELNS1_3repE0EEENS1_30default_config_static_selectorELNS0_4arch9wavefront6targetE0EEEvT1_,"axG",@progbits,_ZN7rocprim17ROCPRIM_400000_NS6detail17trampoline_kernelINS0_14default_configENS1_25partition_config_selectorILNS1_17partition_subalgoE6EiNS0_10empty_typeEbEEZZNS1_14partition_implILS5_6ELb0ES3_mN6thrust23THRUST_200600_302600_NS6detail15normal_iteratorINSA_10device_ptrIiEEEEPS6_SG_NS0_5tupleIJSF_S6_EEENSH_IJSG_SG_EEES6_PlJ6is_oddIiEEEE10hipError_tPvRmT3_T4_T5_T6_T7_T9_mT8_P12ihipStream_tbDpT10_ENKUlT_T0_E_clISt17integral_constantIbLb1EES15_IbLb0EEEEDaS11_S12_EUlS11_E_NS1_11comp_targetILNS1_3genE4ELNS1_11target_archE910ELNS1_3gpuE8ELNS1_3repE0EEENS1_30default_config_static_selectorELNS0_4arch9wavefront6targetE0EEEvT1_,comdat
	.protected	_ZN7rocprim17ROCPRIM_400000_NS6detail17trampoline_kernelINS0_14default_configENS1_25partition_config_selectorILNS1_17partition_subalgoE6EiNS0_10empty_typeEbEEZZNS1_14partition_implILS5_6ELb0ES3_mN6thrust23THRUST_200600_302600_NS6detail15normal_iteratorINSA_10device_ptrIiEEEEPS6_SG_NS0_5tupleIJSF_S6_EEENSH_IJSG_SG_EEES6_PlJ6is_oddIiEEEE10hipError_tPvRmT3_T4_T5_T6_T7_T9_mT8_P12ihipStream_tbDpT10_ENKUlT_T0_E_clISt17integral_constantIbLb1EES15_IbLb0EEEEDaS11_S12_EUlS11_E_NS1_11comp_targetILNS1_3genE4ELNS1_11target_archE910ELNS1_3gpuE8ELNS1_3repE0EEENS1_30default_config_static_selectorELNS0_4arch9wavefront6targetE0EEEvT1_ ; -- Begin function _ZN7rocprim17ROCPRIM_400000_NS6detail17trampoline_kernelINS0_14default_configENS1_25partition_config_selectorILNS1_17partition_subalgoE6EiNS0_10empty_typeEbEEZZNS1_14partition_implILS5_6ELb0ES3_mN6thrust23THRUST_200600_302600_NS6detail15normal_iteratorINSA_10device_ptrIiEEEEPS6_SG_NS0_5tupleIJSF_S6_EEENSH_IJSG_SG_EEES6_PlJ6is_oddIiEEEE10hipError_tPvRmT3_T4_T5_T6_T7_T9_mT8_P12ihipStream_tbDpT10_ENKUlT_T0_E_clISt17integral_constantIbLb1EES15_IbLb0EEEEDaS11_S12_EUlS11_E_NS1_11comp_targetILNS1_3genE4ELNS1_11target_archE910ELNS1_3gpuE8ELNS1_3repE0EEENS1_30default_config_static_selectorELNS0_4arch9wavefront6targetE0EEEvT1_
	.globl	_ZN7rocprim17ROCPRIM_400000_NS6detail17trampoline_kernelINS0_14default_configENS1_25partition_config_selectorILNS1_17partition_subalgoE6EiNS0_10empty_typeEbEEZZNS1_14partition_implILS5_6ELb0ES3_mN6thrust23THRUST_200600_302600_NS6detail15normal_iteratorINSA_10device_ptrIiEEEEPS6_SG_NS0_5tupleIJSF_S6_EEENSH_IJSG_SG_EEES6_PlJ6is_oddIiEEEE10hipError_tPvRmT3_T4_T5_T6_T7_T9_mT8_P12ihipStream_tbDpT10_ENKUlT_T0_E_clISt17integral_constantIbLb1EES15_IbLb0EEEEDaS11_S12_EUlS11_E_NS1_11comp_targetILNS1_3genE4ELNS1_11target_archE910ELNS1_3gpuE8ELNS1_3repE0EEENS1_30default_config_static_selectorELNS0_4arch9wavefront6targetE0EEEvT1_
	.p2align	8
	.type	_ZN7rocprim17ROCPRIM_400000_NS6detail17trampoline_kernelINS0_14default_configENS1_25partition_config_selectorILNS1_17partition_subalgoE6EiNS0_10empty_typeEbEEZZNS1_14partition_implILS5_6ELb0ES3_mN6thrust23THRUST_200600_302600_NS6detail15normal_iteratorINSA_10device_ptrIiEEEEPS6_SG_NS0_5tupleIJSF_S6_EEENSH_IJSG_SG_EEES6_PlJ6is_oddIiEEEE10hipError_tPvRmT3_T4_T5_T6_T7_T9_mT8_P12ihipStream_tbDpT10_ENKUlT_T0_E_clISt17integral_constantIbLb1EES15_IbLb0EEEEDaS11_S12_EUlS11_E_NS1_11comp_targetILNS1_3genE4ELNS1_11target_archE910ELNS1_3gpuE8ELNS1_3repE0EEENS1_30default_config_static_selectorELNS0_4arch9wavefront6targetE0EEEvT1_,@function
_ZN7rocprim17ROCPRIM_400000_NS6detail17trampoline_kernelINS0_14default_configENS1_25partition_config_selectorILNS1_17partition_subalgoE6EiNS0_10empty_typeEbEEZZNS1_14partition_implILS5_6ELb0ES3_mN6thrust23THRUST_200600_302600_NS6detail15normal_iteratorINSA_10device_ptrIiEEEEPS6_SG_NS0_5tupleIJSF_S6_EEENSH_IJSG_SG_EEES6_PlJ6is_oddIiEEEE10hipError_tPvRmT3_T4_T5_T6_T7_T9_mT8_P12ihipStream_tbDpT10_ENKUlT_T0_E_clISt17integral_constantIbLb1EES15_IbLb0EEEEDaS11_S12_EUlS11_E_NS1_11comp_targetILNS1_3genE4ELNS1_11target_archE910ELNS1_3gpuE8ELNS1_3repE0EEENS1_30default_config_static_selectorELNS0_4arch9wavefront6targetE0EEEvT1_: ; @_ZN7rocprim17ROCPRIM_400000_NS6detail17trampoline_kernelINS0_14default_configENS1_25partition_config_selectorILNS1_17partition_subalgoE6EiNS0_10empty_typeEbEEZZNS1_14partition_implILS5_6ELb0ES3_mN6thrust23THRUST_200600_302600_NS6detail15normal_iteratorINSA_10device_ptrIiEEEEPS6_SG_NS0_5tupleIJSF_S6_EEENSH_IJSG_SG_EEES6_PlJ6is_oddIiEEEE10hipError_tPvRmT3_T4_T5_T6_T7_T9_mT8_P12ihipStream_tbDpT10_ENKUlT_T0_E_clISt17integral_constantIbLb1EES15_IbLb0EEEEDaS11_S12_EUlS11_E_NS1_11comp_targetILNS1_3genE4ELNS1_11target_archE910ELNS1_3gpuE8ELNS1_3repE0EEENS1_30default_config_static_selectorELNS0_4arch9wavefront6targetE0EEEvT1_
; %bb.0:
	.section	.rodata,"a",@progbits
	.p2align	6, 0x0
	.amdhsa_kernel _ZN7rocprim17ROCPRIM_400000_NS6detail17trampoline_kernelINS0_14default_configENS1_25partition_config_selectorILNS1_17partition_subalgoE6EiNS0_10empty_typeEbEEZZNS1_14partition_implILS5_6ELb0ES3_mN6thrust23THRUST_200600_302600_NS6detail15normal_iteratorINSA_10device_ptrIiEEEEPS6_SG_NS0_5tupleIJSF_S6_EEENSH_IJSG_SG_EEES6_PlJ6is_oddIiEEEE10hipError_tPvRmT3_T4_T5_T6_T7_T9_mT8_P12ihipStream_tbDpT10_ENKUlT_T0_E_clISt17integral_constantIbLb1EES15_IbLb0EEEEDaS11_S12_EUlS11_E_NS1_11comp_targetILNS1_3genE4ELNS1_11target_archE910ELNS1_3gpuE8ELNS1_3repE0EEENS1_30default_config_static_selectorELNS0_4arch9wavefront6targetE0EEEvT1_
		.amdhsa_group_segment_fixed_size 0
		.amdhsa_private_segment_fixed_size 0
		.amdhsa_kernarg_size 112
		.amdhsa_user_sgpr_count 2
		.amdhsa_user_sgpr_dispatch_ptr 0
		.amdhsa_user_sgpr_queue_ptr 0
		.amdhsa_user_sgpr_kernarg_segment_ptr 1
		.amdhsa_user_sgpr_dispatch_id 0
		.amdhsa_user_sgpr_private_segment_size 0
		.amdhsa_wavefront_size32 1
		.amdhsa_uses_dynamic_stack 0
		.amdhsa_enable_private_segment 0
		.amdhsa_system_sgpr_workgroup_id_x 1
		.amdhsa_system_sgpr_workgroup_id_y 0
		.amdhsa_system_sgpr_workgroup_id_z 0
		.amdhsa_system_sgpr_workgroup_info 0
		.amdhsa_system_vgpr_workitem_id 0
		.amdhsa_next_free_vgpr 1
		.amdhsa_next_free_sgpr 1
		.amdhsa_reserve_vcc 0
		.amdhsa_float_round_mode_32 0
		.amdhsa_float_round_mode_16_64 0
		.amdhsa_float_denorm_mode_32 3
		.amdhsa_float_denorm_mode_16_64 3
		.amdhsa_fp16_overflow 0
		.amdhsa_workgroup_processor_mode 1
		.amdhsa_memory_ordered 1
		.amdhsa_forward_progress 1
		.amdhsa_inst_pref_size 0
		.amdhsa_round_robin_scheduling 0
		.amdhsa_exception_fp_ieee_invalid_op 0
		.amdhsa_exception_fp_denorm_src 0
		.amdhsa_exception_fp_ieee_div_zero 0
		.amdhsa_exception_fp_ieee_overflow 0
		.amdhsa_exception_fp_ieee_underflow 0
		.amdhsa_exception_fp_ieee_inexact 0
		.amdhsa_exception_int_div_zero 0
	.end_amdhsa_kernel
	.section	.text._ZN7rocprim17ROCPRIM_400000_NS6detail17trampoline_kernelINS0_14default_configENS1_25partition_config_selectorILNS1_17partition_subalgoE6EiNS0_10empty_typeEbEEZZNS1_14partition_implILS5_6ELb0ES3_mN6thrust23THRUST_200600_302600_NS6detail15normal_iteratorINSA_10device_ptrIiEEEEPS6_SG_NS0_5tupleIJSF_S6_EEENSH_IJSG_SG_EEES6_PlJ6is_oddIiEEEE10hipError_tPvRmT3_T4_T5_T6_T7_T9_mT8_P12ihipStream_tbDpT10_ENKUlT_T0_E_clISt17integral_constantIbLb1EES15_IbLb0EEEEDaS11_S12_EUlS11_E_NS1_11comp_targetILNS1_3genE4ELNS1_11target_archE910ELNS1_3gpuE8ELNS1_3repE0EEENS1_30default_config_static_selectorELNS0_4arch9wavefront6targetE0EEEvT1_,"axG",@progbits,_ZN7rocprim17ROCPRIM_400000_NS6detail17trampoline_kernelINS0_14default_configENS1_25partition_config_selectorILNS1_17partition_subalgoE6EiNS0_10empty_typeEbEEZZNS1_14partition_implILS5_6ELb0ES3_mN6thrust23THRUST_200600_302600_NS6detail15normal_iteratorINSA_10device_ptrIiEEEEPS6_SG_NS0_5tupleIJSF_S6_EEENSH_IJSG_SG_EEES6_PlJ6is_oddIiEEEE10hipError_tPvRmT3_T4_T5_T6_T7_T9_mT8_P12ihipStream_tbDpT10_ENKUlT_T0_E_clISt17integral_constantIbLb1EES15_IbLb0EEEEDaS11_S12_EUlS11_E_NS1_11comp_targetILNS1_3genE4ELNS1_11target_archE910ELNS1_3gpuE8ELNS1_3repE0EEENS1_30default_config_static_selectorELNS0_4arch9wavefront6targetE0EEEvT1_,comdat
.Lfunc_end32:
	.size	_ZN7rocprim17ROCPRIM_400000_NS6detail17trampoline_kernelINS0_14default_configENS1_25partition_config_selectorILNS1_17partition_subalgoE6EiNS0_10empty_typeEbEEZZNS1_14partition_implILS5_6ELb0ES3_mN6thrust23THRUST_200600_302600_NS6detail15normal_iteratorINSA_10device_ptrIiEEEEPS6_SG_NS0_5tupleIJSF_S6_EEENSH_IJSG_SG_EEES6_PlJ6is_oddIiEEEE10hipError_tPvRmT3_T4_T5_T6_T7_T9_mT8_P12ihipStream_tbDpT10_ENKUlT_T0_E_clISt17integral_constantIbLb1EES15_IbLb0EEEEDaS11_S12_EUlS11_E_NS1_11comp_targetILNS1_3genE4ELNS1_11target_archE910ELNS1_3gpuE8ELNS1_3repE0EEENS1_30default_config_static_selectorELNS0_4arch9wavefront6targetE0EEEvT1_, .Lfunc_end32-_ZN7rocprim17ROCPRIM_400000_NS6detail17trampoline_kernelINS0_14default_configENS1_25partition_config_selectorILNS1_17partition_subalgoE6EiNS0_10empty_typeEbEEZZNS1_14partition_implILS5_6ELb0ES3_mN6thrust23THRUST_200600_302600_NS6detail15normal_iteratorINSA_10device_ptrIiEEEEPS6_SG_NS0_5tupleIJSF_S6_EEENSH_IJSG_SG_EEES6_PlJ6is_oddIiEEEE10hipError_tPvRmT3_T4_T5_T6_T7_T9_mT8_P12ihipStream_tbDpT10_ENKUlT_T0_E_clISt17integral_constantIbLb1EES15_IbLb0EEEEDaS11_S12_EUlS11_E_NS1_11comp_targetILNS1_3genE4ELNS1_11target_archE910ELNS1_3gpuE8ELNS1_3repE0EEENS1_30default_config_static_selectorELNS0_4arch9wavefront6targetE0EEEvT1_
                                        ; -- End function
	.set _ZN7rocprim17ROCPRIM_400000_NS6detail17trampoline_kernelINS0_14default_configENS1_25partition_config_selectorILNS1_17partition_subalgoE6EiNS0_10empty_typeEbEEZZNS1_14partition_implILS5_6ELb0ES3_mN6thrust23THRUST_200600_302600_NS6detail15normal_iteratorINSA_10device_ptrIiEEEEPS6_SG_NS0_5tupleIJSF_S6_EEENSH_IJSG_SG_EEES6_PlJ6is_oddIiEEEE10hipError_tPvRmT3_T4_T5_T6_T7_T9_mT8_P12ihipStream_tbDpT10_ENKUlT_T0_E_clISt17integral_constantIbLb1EES15_IbLb0EEEEDaS11_S12_EUlS11_E_NS1_11comp_targetILNS1_3genE4ELNS1_11target_archE910ELNS1_3gpuE8ELNS1_3repE0EEENS1_30default_config_static_selectorELNS0_4arch9wavefront6targetE0EEEvT1_.num_vgpr, 0
	.set _ZN7rocprim17ROCPRIM_400000_NS6detail17trampoline_kernelINS0_14default_configENS1_25partition_config_selectorILNS1_17partition_subalgoE6EiNS0_10empty_typeEbEEZZNS1_14partition_implILS5_6ELb0ES3_mN6thrust23THRUST_200600_302600_NS6detail15normal_iteratorINSA_10device_ptrIiEEEEPS6_SG_NS0_5tupleIJSF_S6_EEENSH_IJSG_SG_EEES6_PlJ6is_oddIiEEEE10hipError_tPvRmT3_T4_T5_T6_T7_T9_mT8_P12ihipStream_tbDpT10_ENKUlT_T0_E_clISt17integral_constantIbLb1EES15_IbLb0EEEEDaS11_S12_EUlS11_E_NS1_11comp_targetILNS1_3genE4ELNS1_11target_archE910ELNS1_3gpuE8ELNS1_3repE0EEENS1_30default_config_static_selectorELNS0_4arch9wavefront6targetE0EEEvT1_.num_agpr, 0
	.set _ZN7rocprim17ROCPRIM_400000_NS6detail17trampoline_kernelINS0_14default_configENS1_25partition_config_selectorILNS1_17partition_subalgoE6EiNS0_10empty_typeEbEEZZNS1_14partition_implILS5_6ELb0ES3_mN6thrust23THRUST_200600_302600_NS6detail15normal_iteratorINSA_10device_ptrIiEEEEPS6_SG_NS0_5tupleIJSF_S6_EEENSH_IJSG_SG_EEES6_PlJ6is_oddIiEEEE10hipError_tPvRmT3_T4_T5_T6_T7_T9_mT8_P12ihipStream_tbDpT10_ENKUlT_T0_E_clISt17integral_constantIbLb1EES15_IbLb0EEEEDaS11_S12_EUlS11_E_NS1_11comp_targetILNS1_3genE4ELNS1_11target_archE910ELNS1_3gpuE8ELNS1_3repE0EEENS1_30default_config_static_selectorELNS0_4arch9wavefront6targetE0EEEvT1_.numbered_sgpr, 0
	.set _ZN7rocprim17ROCPRIM_400000_NS6detail17trampoline_kernelINS0_14default_configENS1_25partition_config_selectorILNS1_17partition_subalgoE6EiNS0_10empty_typeEbEEZZNS1_14partition_implILS5_6ELb0ES3_mN6thrust23THRUST_200600_302600_NS6detail15normal_iteratorINSA_10device_ptrIiEEEEPS6_SG_NS0_5tupleIJSF_S6_EEENSH_IJSG_SG_EEES6_PlJ6is_oddIiEEEE10hipError_tPvRmT3_T4_T5_T6_T7_T9_mT8_P12ihipStream_tbDpT10_ENKUlT_T0_E_clISt17integral_constantIbLb1EES15_IbLb0EEEEDaS11_S12_EUlS11_E_NS1_11comp_targetILNS1_3genE4ELNS1_11target_archE910ELNS1_3gpuE8ELNS1_3repE0EEENS1_30default_config_static_selectorELNS0_4arch9wavefront6targetE0EEEvT1_.num_named_barrier, 0
	.set _ZN7rocprim17ROCPRIM_400000_NS6detail17trampoline_kernelINS0_14default_configENS1_25partition_config_selectorILNS1_17partition_subalgoE6EiNS0_10empty_typeEbEEZZNS1_14partition_implILS5_6ELb0ES3_mN6thrust23THRUST_200600_302600_NS6detail15normal_iteratorINSA_10device_ptrIiEEEEPS6_SG_NS0_5tupleIJSF_S6_EEENSH_IJSG_SG_EEES6_PlJ6is_oddIiEEEE10hipError_tPvRmT3_T4_T5_T6_T7_T9_mT8_P12ihipStream_tbDpT10_ENKUlT_T0_E_clISt17integral_constantIbLb1EES15_IbLb0EEEEDaS11_S12_EUlS11_E_NS1_11comp_targetILNS1_3genE4ELNS1_11target_archE910ELNS1_3gpuE8ELNS1_3repE0EEENS1_30default_config_static_selectorELNS0_4arch9wavefront6targetE0EEEvT1_.private_seg_size, 0
	.set _ZN7rocprim17ROCPRIM_400000_NS6detail17trampoline_kernelINS0_14default_configENS1_25partition_config_selectorILNS1_17partition_subalgoE6EiNS0_10empty_typeEbEEZZNS1_14partition_implILS5_6ELb0ES3_mN6thrust23THRUST_200600_302600_NS6detail15normal_iteratorINSA_10device_ptrIiEEEEPS6_SG_NS0_5tupleIJSF_S6_EEENSH_IJSG_SG_EEES6_PlJ6is_oddIiEEEE10hipError_tPvRmT3_T4_T5_T6_T7_T9_mT8_P12ihipStream_tbDpT10_ENKUlT_T0_E_clISt17integral_constantIbLb1EES15_IbLb0EEEEDaS11_S12_EUlS11_E_NS1_11comp_targetILNS1_3genE4ELNS1_11target_archE910ELNS1_3gpuE8ELNS1_3repE0EEENS1_30default_config_static_selectorELNS0_4arch9wavefront6targetE0EEEvT1_.uses_vcc, 0
	.set _ZN7rocprim17ROCPRIM_400000_NS6detail17trampoline_kernelINS0_14default_configENS1_25partition_config_selectorILNS1_17partition_subalgoE6EiNS0_10empty_typeEbEEZZNS1_14partition_implILS5_6ELb0ES3_mN6thrust23THRUST_200600_302600_NS6detail15normal_iteratorINSA_10device_ptrIiEEEEPS6_SG_NS0_5tupleIJSF_S6_EEENSH_IJSG_SG_EEES6_PlJ6is_oddIiEEEE10hipError_tPvRmT3_T4_T5_T6_T7_T9_mT8_P12ihipStream_tbDpT10_ENKUlT_T0_E_clISt17integral_constantIbLb1EES15_IbLb0EEEEDaS11_S12_EUlS11_E_NS1_11comp_targetILNS1_3genE4ELNS1_11target_archE910ELNS1_3gpuE8ELNS1_3repE0EEENS1_30default_config_static_selectorELNS0_4arch9wavefront6targetE0EEEvT1_.uses_flat_scratch, 0
	.set _ZN7rocprim17ROCPRIM_400000_NS6detail17trampoline_kernelINS0_14default_configENS1_25partition_config_selectorILNS1_17partition_subalgoE6EiNS0_10empty_typeEbEEZZNS1_14partition_implILS5_6ELb0ES3_mN6thrust23THRUST_200600_302600_NS6detail15normal_iteratorINSA_10device_ptrIiEEEEPS6_SG_NS0_5tupleIJSF_S6_EEENSH_IJSG_SG_EEES6_PlJ6is_oddIiEEEE10hipError_tPvRmT3_T4_T5_T6_T7_T9_mT8_P12ihipStream_tbDpT10_ENKUlT_T0_E_clISt17integral_constantIbLb1EES15_IbLb0EEEEDaS11_S12_EUlS11_E_NS1_11comp_targetILNS1_3genE4ELNS1_11target_archE910ELNS1_3gpuE8ELNS1_3repE0EEENS1_30default_config_static_selectorELNS0_4arch9wavefront6targetE0EEEvT1_.has_dyn_sized_stack, 0
	.set _ZN7rocprim17ROCPRIM_400000_NS6detail17trampoline_kernelINS0_14default_configENS1_25partition_config_selectorILNS1_17partition_subalgoE6EiNS0_10empty_typeEbEEZZNS1_14partition_implILS5_6ELb0ES3_mN6thrust23THRUST_200600_302600_NS6detail15normal_iteratorINSA_10device_ptrIiEEEEPS6_SG_NS0_5tupleIJSF_S6_EEENSH_IJSG_SG_EEES6_PlJ6is_oddIiEEEE10hipError_tPvRmT3_T4_T5_T6_T7_T9_mT8_P12ihipStream_tbDpT10_ENKUlT_T0_E_clISt17integral_constantIbLb1EES15_IbLb0EEEEDaS11_S12_EUlS11_E_NS1_11comp_targetILNS1_3genE4ELNS1_11target_archE910ELNS1_3gpuE8ELNS1_3repE0EEENS1_30default_config_static_selectorELNS0_4arch9wavefront6targetE0EEEvT1_.has_recursion, 0
	.set _ZN7rocprim17ROCPRIM_400000_NS6detail17trampoline_kernelINS0_14default_configENS1_25partition_config_selectorILNS1_17partition_subalgoE6EiNS0_10empty_typeEbEEZZNS1_14partition_implILS5_6ELb0ES3_mN6thrust23THRUST_200600_302600_NS6detail15normal_iteratorINSA_10device_ptrIiEEEEPS6_SG_NS0_5tupleIJSF_S6_EEENSH_IJSG_SG_EEES6_PlJ6is_oddIiEEEE10hipError_tPvRmT3_T4_T5_T6_T7_T9_mT8_P12ihipStream_tbDpT10_ENKUlT_T0_E_clISt17integral_constantIbLb1EES15_IbLb0EEEEDaS11_S12_EUlS11_E_NS1_11comp_targetILNS1_3genE4ELNS1_11target_archE910ELNS1_3gpuE8ELNS1_3repE0EEENS1_30default_config_static_selectorELNS0_4arch9wavefront6targetE0EEEvT1_.has_indirect_call, 0
	.section	.AMDGPU.csdata,"",@progbits
; Kernel info:
; codeLenInByte = 0
; TotalNumSgprs: 0
; NumVgprs: 0
; ScratchSize: 0
; MemoryBound: 0
; FloatMode: 240
; IeeeMode: 1
; LDSByteSize: 0 bytes/workgroup (compile time only)
; SGPRBlocks: 0
; VGPRBlocks: 0
; NumSGPRsForWavesPerEU: 1
; NumVGPRsForWavesPerEU: 1
; Occupancy: 16
; WaveLimiterHint : 0
; COMPUTE_PGM_RSRC2:SCRATCH_EN: 0
; COMPUTE_PGM_RSRC2:USER_SGPR: 2
; COMPUTE_PGM_RSRC2:TRAP_HANDLER: 0
; COMPUTE_PGM_RSRC2:TGID_X_EN: 1
; COMPUTE_PGM_RSRC2:TGID_Y_EN: 0
; COMPUTE_PGM_RSRC2:TGID_Z_EN: 0
; COMPUTE_PGM_RSRC2:TIDIG_COMP_CNT: 0
	.section	.text._ZN7rocprim17ROCPRIM_400000_NS6detail17trampoline_kernelINS0_14default_configENS1_25partition_config_selectorILNS1_17partition_subalgoE6EiNS0_10empty_typeEbEEZZNS1_14partition_implILS5_6ELb0ES3_mN6thrust23THRUST_200600_302600_NS6detail15normal_iteratorINSA_10device_ptrIiEEEEPS6_SG_NS0_5tupleIJSF_S6_EEENSH_IJSG_SG_EEES6_PlJ6is_oddIiEEEE10hipError_tPvRmT3_T4_T5_T6_T7_T9_mT8_P12ihipStream_tbDpT10_ENKUlT_T0_E_clISt17integral_constantIbLb1EES15_IbLb0EEEEDaS11_S12_EUlS11_E_NS1_11comp_targetILNS1_3genE3ELNS1_11target_archE908ELNS1_3gpuE7ELNS1_3repE0EEENS1_30default_config_static_selectorELNS0_4arch9wavefront6targetE0EEEvT1_,"axG",@progbits,_ZN7rocprim17ROCPRIM_400000_NS6detail17trampoline_kernelINS0_14default_configENS1_25partition_config_selectorILNS1_17partition_subalgoE6EiNS0_10empty_typeEbEEZZNS1_14partition_implILS5_6ELb0ES3_mN6thrust23THRUST_200600_302600_NS6detail15normal_iteratorINSA_10device_ptrIiEEEEPS6_SG_NS0_5tupleIJSF_S6_EEENSH_IJSG_SG_EEES6_PlJ6is_oddIiEEEE10hipError_tPvRmT3_T4_T5_T6_T7_T9_mT8_P12ihipStream_tbDpT10_ENKUlT_T0_E_clISt17integral_constantIbLb1EES15_IbLb0EEEEDaS11_S12_EUlS11_E_NS1_11comp_targetILNS1_3genE3ELNS1_11target_archE908ELNS1_3gpuE7ELNS1_3repE0EEENS1_30default_config_static_selectorELNS0_4arch9wavefront6targetE0EEEvT1_,comdat
	.protected	_ZN7rocprim17ROCPRIM_400000_NS6detail17trampoline_kernelINS0_14default_configENS1_25partition_config_selectorILNS1_17partition_subalgoE6EiNS0_10empty_typeEbEEZZNS1_14partition_implILS5_6ELb0ES3_mN6thrust23THRUST_200600_302600_NS6detail15normal_iteratorINSA_10device_ptrIiEEEEPS6_SG_NS0_5tupleIJSF_S6_EEENSH_IJSG_SG_EEES6_PlJ6is_oddIiEEEE10hipError_tPvRmT3_T4_T5_T6_T7_T9_mT8_P12ihipStream_tbDpT10_ENKUlT_T0_E_clISt17integral_constantIbLb1EES15_IbLb0EEEEDaS11_S12_EUlS11_E_NS1_11comp_targetILNS1_3genE3ELNS1_11target_archE908ELNS1_3gpuE7ELNS1_3repE0EEENS1_30default_config_static_selectorELNS0_4arch9wavefront6targetE0EEEvT1_ ; -- Begin function _ZN7rocprim17ROCPRIM_400000_NS6detail17trampoline_kernelINS0_14default_configENS1_25partition_config_selectorILNS1_17partition_subalgoE6EiNS0_10empty_typeEbEEZZNS1_14partition_implILS5_6ELb0ES3_mN6thrust23THRUST_200600_302600_NS6detail15normal_iteratorINSA_10device_ptrIiEEEEPS6_SG_NS0_5tupleIJSF_S6_EEENSH_IJSG_SG_EEES6_PlJ6is_oddIiEEEE10hipError_tPvRmT3_T4_T5_T6_T7_T9_mT8_P12ihipStream_tbDpT10_ENKUlT_T0_E_clISt17integral_constantIbLb1EES15_IbLb0EEEEDaS11_S12_EUlS11_E_NS1_11comp_targetILNS1_3genE3ELNS1_11target_archE908ELNS1_3gpuE7ELNS1_3repE0EEENS1_30default_config_static_selectorELNS0_4arch9wavefront6targetE0EEEvT1_
	.globl	_ZN7rocprim17ROCPRIM_400000_NS6detail17trampoline_kernelINS0_14default_configENS1_25partition_config_selectorILNS1_17partition_subalgoE6EiNS0_10empty_typeEbEEZZNS1_14partition_implILS5_6ELb0ES3_mN6thrust23THRUST_200600_302600_NS6detail15normal_iteratorINSA_10device_ptrIiEEEEPS6_SG_NS0_5tupleIJSF_S6_EEENSH_IJSG_SG_EEES6_PlJ6is_oddIiEEEE10hipError_tPvRmT3_T4_T5_T6_T7_T9_mT8_P12ihipStream_tbDpT10_ENKUlT_T0_E_clISt17integral_constantIbLb1EES15_IbLb0EEEEDaS11_S12_EUlS11_E_NS1_11comp_targetILNS1_3genE3ELNS1_11target_archE908ELNS1_3gpuE7ELNS1_3repE0EEENS1_30default_config_static_selectorELNS0_4arch9wavefront6targetE0EEEvT1_
	.p2align	8
	.type	_ZN7rocprim17ROCPRIM_400000_NS6detail17trampoline_kernelINS0_14default_configENS1_25partition_config_selectorILNS1_17partition_subalgoE6EiNS0_10empty_typeEbEEZZNS1_14partition_implILS5_6ELb0ES3_mN6thrust23THRUST_200600_302600_NS6detail15normal_iteratorINSA_10device_ptrIiEEEEPS6_SG_NS0_5tupleIJSF_S6_EEENSH_IJSG_SG_EEES6_PlJ6is_oddIiEEEE10hipError_tPvRmT3_T4_T5_T6_T7_T9_mT8_P12ihipStream_tbDpT10_ENKUlT_T0_E_clISt17integral_constantIbLb1EES15_IbLb0EEEEDaS11_S12_EUlS11_E_NS1_11comp_targetILNS1_3genE3ELNS1_11target_archE908ELNS1_3gpuE7ELNS1_3repE0EEENS1_30default_config_static_selectorELNS0_4arch9wavefront6targetE0EEEvT1_,@function
_ZN7rocprim17ROCPRIM_400000_NS6detail17trampoline_kernelINS0_14default_configENS1_25partition_config_selectorILNS1_17partition_subalgoE6EiNS0_10empty_typeEbEEZZNS1_14partition_implILS5_6ELb0ES3_mN6thrust23THRUST_200600_302600_NS6detail15normal_iteratorINSA_10device_ptrIiEEEEPS6_SG_NS0_5tupleIJSF_S6_EEENSH_IJSG_SG_EEES6_PlJ6is_oddIiEEEE10hipError_tPvRmT3_T4_T5_T6_T7_T9_mT8_P12ihipStream_tbDpT10_ENKUlT_T0_E_clISt17integral_constantIbLb1EES15_IbLb0EEEEDaS11_S12_EUlS11_E_NS1_11comp_targetILNS1_3genE3ELNS1_11target_archE908ELNS1_3gpuE7ELNS1_3repE0EEENS1_30default_config_static_selectorELNS0_4arch9wavefront6targetE0EEEvT1_: ; @_ZN7rocprim17ROCPRIM_400000_NS6detail17trampoline_kernelINS0_14default_configENS1_25partition_config_selectorILNS1_17partition_subalgoE6EiNS0_10empty_typeEbEEZZNS1_14partition_implILS5_6ELb0ES3_mN6thrust23THRUST_200600_302600_NS6detail15normal_iteratorINSA_10device_ptrIiEEEEPS6_SG_NS0_5tupleIJSF_S6_EEENSH_IJSG_SG_EEES6_PlJ6is_oddIiEEEE10hipError_tPvRmT3_T4_T5_T6_T7_T9_mT8_P12ihipStream_tbDpT10_ENKUlT_T0_E_clISt17integral_constantIbLb1EES15_IbLb0EEEEDaS11_S12_EUlS11_E_NS1_11comp_targetILNS1_3genE3ELNS1_11target_archE908ELNS1_3gpuE7ELNS1_3repE0EEENS1_30default_config_static_selectorELNS0_4arch9wavefront6targetE0EEEvT1_
; %bb.0:
	.section	.rodata,"a",@progbits
	.p2align	6, 0x0
	.amdhsa_kernel _ZN7rocprim17ROCPRIM_400000_NS6detail17trampoline_kernelINS0_14default_configENS1_25partition_config_selectorILNS1_17partition_subalgoE6EiNS0_10empty_typeEbEEZZNS1_14partition_implILS5_6ELb0ES3_mN6thrust23THRUST_200600_302600_NS6detail15normal_iteratorINSA_10device_ptrIiEEEEPS6_SG_NS0_5tupleIJSF_S6_EEENSH_IJSG_SG_EEES6_PlJ6is_oddIiEEEE10hipError_tPvRmT3_T4_T5_T6_T7_T9_mT8_P12ihipStream_tbDpT10_ENKUlT_T0_E_clISt17integral_constantIbLb1EES15_IbLb0EEEEDaS11_S12_EUlS11_E_NS1_11comp_targetILNS1_3genE3ELNS1_11target_archE908ELNS1_3gpuE7ELNS1_3repE0EEENS1_30default_config_static_selectorELNS0_4arch9wavefront6targetE0EEEvT1_
		.amdhsa_group_segment_fixed_size 0
		.amdhsa_private_segment_fixed_size 0
		.amdhsa_kernarg_size 112
		.amdhsa_user_sgpr_count 2
		.amdhsa_user_sgpr_dispatch_ptr 0
		.amdhsa_user_sgpr_queue_ptr 0
		.amdhsa_user_sgpr_kernarg_segment_ptr 1
		.amdhsa_user_sgpr_dispatch_id 0
		.amdhsa_user_sgpr_private_segment_size 0
		.amdhsa_wavefront_size32 1
		.amdhsa_uses_dynamic_stack 0
		.amdhsa_enable_private_segment 0
		.amdhsa_system_sgpr_workgroup_id_x 1
		.amdhsa_system_sgpr_workgroup_id_y 0
		.amdhsa_system_sgpr_workgroup_id_z 0
		.amdhsa_system_sgpr_workgroup_info 0
		.amdhsa_system_vgpr_workitem_id 0
		.amdhsa_next_free_vgpr 1
		.amdhsa_next_free_sgpr 1
		.amdhsa_reserve_vcc 0
		.amdhsa_float_round_mode_32 0
		.amdhsa_float_round_mode_16_64 0
		.amdhsa_float_denorm_mode_32 3
		.amdhsa_float_denorm_mode_16_64 3
		.amdhsa_fp16_overflow 0
		.amdhsa_workgroup_processor_mode 1
		.amdhsa_memory_ordered 1
		.amdhsa_forward_progress 1
		.amdhsa_inst_pref_size 0
		.amdhsa_round_robin_scheduling 0
		.amdhsa_exception_fp_ieee_invalid_op 0
		.amdhsa_exception_fp_denorm_src 0
		.amdhsa_exception_fp_ieee_div_zero 0
		.amdhsa_exception_fp_ieee_overflow 0
		.amdhsa_exception_fp_ieee_underflow 0
		.amdhsa_exception_fp_ieee_inexact 0
		.amdhsa_exception_int_div_zero 0
	.end_amdhsa_kernel
	.section	.text._ZN7rocprim17ROCPRIM_400000_NS6detail17trampoline_kernelINS0_14default_configENS1_25partition_config_selectorILNS1_17partition_subalgoE6EiNS0_10empty_typeEbEEZZNS1_14partition_implILS5_6ELb0ES3_mN6thrust23THRUST_200600_302600_NS6detail15normal_iteratorINSA_10device_ptrIiEEEEPS6_SG_NS0_5tupleIJSF_S6_EEENSH_IJSG_SG_EEES6_PlJ6is_oddIiEEEE10hipError_tPvRmT3_T4_T5_T6_T7_T9_mT8_P12ihipStream_tbDpT10_ENKUlT_T0_E_clISt17integral_constantIbLb1EES15_IbLb0EEEEDaS11_S12_EUlS11_E_NS1_11comp_targetILNS1_3genE3ELNS1_11target_archE908ELNS1_3gpuE7ELNS1_3repE0EEENS1_30default_config_static_selectorELNS0_4arch9wavefront6targetE0EEEvT1_,"axG",@progbits,_ZN7rocprim17ROCPRIM_400000_NS6detail17trampoline_kernelINS0_14default_configENS1_25partition_config_selectorILNS1_17partition_subalgoE6EiNS0_10empty_typeEbEEZZNS1_14partition_implILS5_6ELb0ES3_mN6thrust23THRUST_200600_302600_NS6detail15normal_iteratorINSA_10device_ptrIiEEEEPS6_SG_NS0_5tupleIJSF_S6_EEENSH_IJSG_SG_EEES6_PlJ6is_oddIiEEEE10hipError_tPvRmT3_T4_T5_T6_T7_T9_mT8_P12ihipStream_tbDpT10_ENKUlT_T0_E_clISt17integral_constantIbLb1EES15_IbLb0EEEEDaS11_S12_EUlS11_E_NS1_11comp_targetILNS1_3genE3ELNS1_11target_archE908ELNS1_3gpuE7ELNS1_3repE0EEENS1_30default_config_static_selectorELNS0_4arch9wavefront6targetE0EEEvT1_,comdat
.Lfunc_end33:
	.size	_ZN7rocprim17ROCPRIM_400000_NS6detail17trampoline_kernelINS0_14default_configENS1_25partition_config_selectorILNS1_17partition_subalgoE6EiNS0_10empty_typeEbEEZZNS1_14partition_implILS5_6ELb0ES3_mN6thrust23THRUST_200600_302600_NS6detail15normal_iteratorINSA_10device_ptrIiEEEEPS6_SG_NS0_5tupleIJSF_S6_EEENSH_IJSG_SG_EEES6_PlJ6is_oddIiEEEE10hipError_tPvRmT3_T4_T5_T6_T7_T9_mT8_P12ihipStream_tbDpT10_ENKUlT_T0_E_clISt17integral_constantIbLb1EES15_IbLb0EEEEDaS11_S12_EUlS11_E_NS1_11comp_targetILNS1_3genE3ELNS1_11target_archE908ELNS1_3gpuE7ELNS1_3repE0EEENS1_30default_config_static_selectorELNS0_4arch9wavefront6targetE0EEEvT1_, .Lfunc_end33-_ZN7rocprim17ROCPRIM_400000_NS6detail17trampoline_kernelINS0_14default_configENS1_25partition_config_selectorILNS1_17partition_subalgoE6EiNS0_10empty_typeEbEEZZNS1_14partition_implILS5_6ELb0ES3_mN6thrust23THRUST_200600_302600_NS6detail15normal_iteratorINSA_10device_ptrIiEEEEPS6_SG_NS0_5tupleIJSF_S6_EEENSH_IJSG_SG_EEES6_PlJ6is_oddIiEEEE10hipError_tPvRmT3_T4_T5_T6_T7_T9_mT8_P12ihipStream_tbDpT10_ENKUlT_T0_E_clISt17integral_constantIbLb1EES15_IbLb0EEEEDaS11_S12_EUlS11_E_NS1_11comp_targetILNS1_3genE3ELNS1_11target_archE908ELNS1_3gpuE7ELNS1_3repE0EEENS1_30default_config_static_selectorELNS0_4arch9wavefront6targetE0EEEvT1_
                                        ; -- End function
	.set _ZN7rocprim17ROCPRIM_400000_NS6detail17trampoline_kernelINS0_14default_configENS1_25partition_config_selectorILNS1_17partition_subalgoE6EiNS0_10empty_typeEbEEZZNS1_14partition_implILS5_6ELb0ES3_mN6thrust23THRUST_200600_302600_NS6detail15normal_iteratorINSA_10device_ptrIiEEEEPS6_SG_NS0_5tupleIJSF_S6_EEENSH_IJSG_SG_EEES6_PlJ6is_oddIiEEEE10hipError_tPvRmT3_T4_T5_T6_T7_T9_mT8_P12ihipStream_tbDpT10_ENKUlT_T0_E_clISt17integral_constantIbLb1EES15_IbLb0EEEEDaS11_S12_EUlS11_E_NS1_11comp_targetILNS1_3genE3ELNS1_11target_archE908ELNS1_3gpuE7ELNS1_3repE0EEENS1_30default_config_static_selectorELNS0_4arch9wavefront6targetE0EEEvT1_.num_vgpr, 0
	.set _ZN7rocprim17ROCPRIM_400000_NS6detail17trampoline_kernelINS0_14default_configENS1_25partition_config_selectorILNS1_17partition_subalgoE6EiNS0_10empty_typeEbEEZZNS1_14partition_implILS5_6ELb0ES3_mN6thrust23THRUST_200600_302600_NS6detail15normal_iteratorINSA_10device_ptrIiEEEEPS6_SG_NS0_5tupleIJSF_S6_EEENSH_IJSG_SG_EEES6_PlJ6is_oddIiEEEE10hipError_tPvRmT3_T4_T5_T6_T7_T9_mT8_P12ihipStream_tbDpT10_ENKUlT_T0_E_clISt17integral_constantIbLb1EES15_IbLb0EEEEDaS11_S12_EUlS11_E_NS1_11comp_targetILNS1_3genE3ELNS1_11target_archE908ELNS1_3gpuE7ELNS1_3repE0EEENS1_30default_config_static_selectorELNS0_4arch9wavefront6targetE0EEEvT1_.num_agpr, 0
	.set _ZN7rocprim17ROCPRIM_400000_NS6detail17trampoline_kernelINS0_14default_configENS1_25partition_config_selectorILNS1_17partition_subalgoE6EiNS0_10empty_typeEbEEZZNS1_14partition_implILS5_6ELb0ES3_mN6thrust23THRUST_200600_302600_NS6detail15normal_iteratorINSA_10device_ptrIiEEEEPS6_SG_NS0_5tupleIJSF_S6_EEENSH_IJSG_SG_EEES6_PlJ6is_oddIiEEEE10hipError_tPvRmT3_T4_T5_T6_T7_T9_mT8_P12ihipStream_tbDpT10_ENKUlT_T0_E_clISt17integral_constantIbLb1EES15_IbLb0EEEEDaS11_S12_EUlS11_E_NS1_11comp_targetILNS1_3genE3ELNS1_11target_archE908ELNS1_3gpuE7ELNS1_3repE0EEENS1_30default_config_static_selectorELNS0_4arch9wavefront6targetE0EEEvT1_.numbered_sgpr, 0
	.set _ZN7rocprim17ROCPRIM_400000_NS6detail17trampoline_kernelINS0_14default_configENS1_25partition_config_selectorILNS1_17partition_subalgoE6EiNS0_10empty_typeEbEEZZNS1_14partition_implILS5_6ELb0ES3_mN6thrust23THRUST_200600_302600_NS6detail15normal_iteratorINSA_10device_ptrIiEEEEPS6_SG_NS0_5tupleIJSF_S6_EEENSH_IJSG_SG_EEES6_PlJ6is_oddIiEEEE10hipError_tPvRmT3_T4_T5_T6_T7_T9_mT8_P12ihipStream_tbDpT10_ENKUlT_T0_E_clISt17integral_constantIbLb1EES15_IbLb0EEEEDaS11_S12_EUlS11_E_NS1_11comp_targetILNS1_3genE3ELNS1_11target_archE908ELNS1_3gpuE7ELNS1_3repE0EEENS1_30default_config_static_selectorELNS0_4arch9wavefront6targetE0EEEvT1_.num_named_barrier, 0
	.set _ZN7rocprim17ROCPRIM_400000_NS6detail17trampoline_kernelINS0_14default_configENS1_25partition_config_selectorILNS1_17partition_subalgoE6EiNS0_10empty_typeEbEEZZNS1_14partition_implILS5_6ELb0ES3_mN6thrust23THRUST_200600_302600_NS6detail15normal_iteratorINSA_10device_ptrIiEEEEPS6_SG_NS0_5tupleIJSF_S6_EEENSH_IJSG_SG_EEES6_PlJ6is_oddIiEEEE10hipError_tPvRmT3_T4_T5_T6_T7_T9_mT8_P12ihipStream_tbDpT10_ENKUlT_T0_E_clISt17integral_constantIbLb1EES15_IbLb0EEEEDaS11_S12_EUlS11_E_NS1_11comp_targetILNS1_3genE3ELNS1_11target_archE908ELNS1_3gpuE7ELNS1_3repE0EEENS1_30default_config_static_selectorELNS0_4arch9wavefront6targetE0EEEvT1_.private_seg_size, 0
	.set _ZN7rocprim17ROCPRIM_400000_NS6detail17trampoline_kernelINS0_14default_configENS1_25partition_config_selectorILNS1_17partition_subalgoE6EiNS0_10empty_typeEbEEZZNS1_14partition_implILS5_6ELb0ES3_mN6thrust23THRUST_200600_302600_NS6detail15normal_iteratorINSA_10device_ptrIiEEEEPS6_SG_NS0_5tupleIJSF_S6_EEENSH_IJSG_SG_EEES6_PlJ6is_oddIiEEEE10hipError_tPvRmT3_T4_T5_T6_T7_T9_mT8_P12ihipStream_tbDpT10_ENKUlT_T0_E_clISt17integral_constantIbLb1EES15_IbLb0EEEEDaS11_S12_EUlS11_E_NS1_11comp_targetILNS1_3genE3ELNS1_11target_archE908ELNS1_3gpuE7ELNS1_3repE0EEENS1_30default_config_static_selectorELNS0_4arch9wavefront6targetE0EEEvT1_.uses_vcc, 0
	.set _ZN7rocprim17ROCPRIM_400000_NS6detail17trampoline_kernelINS0_14default_configENS1_25partition_config_selectorILNS1_17partition_subalgoE6EiNS0_10empty_typeEbEEZZNS1_14partition_implILS5_6ELb0ES3_mN6thrust23THRUST_200600_302600_NS6detail15normal_iteratorINSA_10device_ptrIiEEEEPS6_SG_NS0_5tupleIJSF_S6_EEENSH_IJSG_SG_EEES6_PlJ6is_oddIiEEEE10hipError_tPvRmT3_T4_T5_T6_T7_T9_mT8_P12ihipStream_tbDpT10_ENKUlT_T0_E_clISt17integral_constantIbLb1EES15_IbLb0EEEEDaS11_S12_EUlS11_E_NS1_11comp_targetILNS1_3genE3ELNS1_11target_archE908ELNS1_3gpuE7ELNS1_3repE0EEENS1_30default_config_static_selectorELNS0_4arch9wavefront6targetE0EEEvT1_.uses_flat_scratch, 0
	.set _ZN7rocprim17ROCPRIM_400000_NS6detail17trampoline_kernelINS0_14default_configENS1_25partition_config_selectorILNS1_17partition_subalgoE6EiNS0_10empty_typeEbEEZZNS1_14partition_implILS5_6ELb0ES3_mN6thrust23THRUST_200600_302600_NS6detail15normal_iteratorINSA_10device_ptrIiEEEEPS6_SG_NS0_5tupleIJSF_S6_EEENSH_IJSG_SG_EEES6_PlJ6is_oddIiEEEE10hipError_tPvRmT3_T4_T5_T6_T7_T9_mT8_P12ihipStream_tbDpT10_ENKUlT_T0_E_clISt17integral_constantIbLb1EES15_IbLb0EEEEDaS11_S12_EUlS11_E_NS1_11comp_targetILNS1_3genE3ELNS1_11target_archE908ELNS1_3gpuE7ELNS1_3repE0EEENS1_30default_config_static_selectorELNS0_4arch9wavefront6targetE0EEEvT1_.has_dyn_sized_stack, 0
	.set _ZN7rocprim17ROCPRIM_400000_NS6detail17trampoline_kernelINS0_14default_configENS1_25partition_config_selectorILNS1_17partition_subalgoE6EiNS0_10empty_typeEbEEZZNS1_14partition_implILS5_6ELb0ES3_mN6thrust23THRUST_200600_302600_NS6detail15normal_iteratorINSA_10device_ptrIiEEEEPS6_SG_NS0_5tupleIJSF_S6_EEENSH_IJSG_SG_EEES6_PlJ6is_oddIiEEEE10hipError_tPvRmT3_T4_T5_T6_T7_T9_mT8_P12ihipStream_tbDpT10_ENKUlT_T0_E_clISt17integral_constantIbLb1EES15_IbLb0EEEEDaS11_S12_EUlS11_E_NS1_11comp_targetILNS1_3genE3ELNS1_11target_archE908ELNS1_3gpuE7ELNS1_3repE0EEENS1_30default_config_static_selectorELNS0_4arch9wavefront6targetE0EEEvT1_.has_recursion, 0
	.set _ZN7rocprim17ROCPRIM_400000_NS6detail17trampoline_kernelINS0_14default_configENS1_25partition_config_selectorILNS1_17partition_subalgoE6EiNS0_10empty_typeEbEEZZNS1_14partition_implILS5_6ELb0ES3_mN6thrust23THRUST_200600_302600_NS6detail15normal_iteratorINSA_10device_ptrIiEEEEPS6_SG_NS0_5tupleIJSF_S6_EEENSH_IJSG_SG_EEES6_PlJ6is_oddIiEEEE10hipError_tPvRmT3_T4_T5_T6_T7_T9_mT8_P12ihipStream_tbDpT10_ENKUlT_T0_E_clISt17integral_constantIbLb1EES15_IbLb0EEEEDaS11_S12_EUlS11_E_NS1_11comp_targetILNS1_3genE3ELNS1_11target_archE908ELNS1_3gpuE7ELNS1_3repE0EEENS1_30default_config_static_selectorELNS0_4arch9wavefront6targetE0EEEvT1_.has_indirect_call, 0
	.section	.AMDGPU.csdata,"",@progbits
; Kernel info:
; codeLenInByte = 0
; TotalNumSgprs: 0
; NumVgprs: 0
; ScratchSize: 0
; MemoryBound: 0
; FloatMode: 240
; IeeeMode: 1
; LDSByteSize: 0 bytes/workgroup (compile time only)
; SGPRBlocks: 0
; VGPRBlocks: 0
; NumSGPRsForWavesPerEU: 1
; NumVGPRsForWavesPerEU: 1
; Occupancy: 16
; WaveLimiterHint : 0
; COMPUTE_PGM_RSRC2:SCRATCH_EN: 0
; COMPUTE_PGM_RSRC2:USER_SGPR: 2
; COMPUTE_PGM_RSRC2:TRAP_HANDLER: 0
; COMPUTE_PGM_RSRC2:TGID_X_EN: 1
; COMPUTE_PGM_RSRC2:TGID_Y_EN: 0
; COMPUTE_PGM_RSRC2:TGID_Z_EN: 0
; COMPUTE_PGM_RSRC2:TIDIG_COMP_CNT: 0
	.section	.text._ZN7rocprim17ROCPRIM_400000_NS6detail17trampoline_kernelINS0_14default_configENS1_25partition_config_selectorILNS1_17partition_subalgoE6EiNS0_10empty_typeEbEEZZNS1_14partition_implILS5_6ELb0ES3_mN6thrust23THRUST_200600_302600_NS6detail15normal_iteratorINSA_10device_ptrIiEEEEPS6_SG_NS0_5tupleIJSF_S6_EEENSH_IJSG_SG_EEES6_PlJ6is_oddIiEEEE10hipError_tPvRmT3_T4_T5_T6_T7_T9_mT8_P12ihipStream_tbDpT10_ENKUlT_T0_E_clISt17integral_constantIbLb1EES15_IbLb0EEEEDaS11_S12_EUlS11_E_NS1_11comp_targetILNS1_3genE2ELNS1_11target_archE906ELNS1_3gpuE6ELNS1_3repE0EEENS1_30default_config_static_selectorELNS0_4arch9wavefront6targetE0EEEvT1_,"axG",@progbits,_ZN7rocprim17ROCPRIM_400000_NS6detail17trampoline_kernelINS0_14default_configENS1_25partition_config_selectorILNS1_17partition_subalgoE6EiNS0_10empty_typeEbEEZZNS1_14partition_implILS5_6ELb0ES3_mN6thrust23THRUST_200600_302600_NS6detail15normal_iteratorINSA_10device_ptrIiEEEEPS6_SG_NS0_5tupleIJSF_S6_EEENSH_IJSG_SG_EEES6_PlJ6is_oddIiEEEE10hipError_tPvRmT3_T4_T5_T6_T7_T9_mT8_P12ihipStream_tbDpT10_ENKUlT_T0_E_clISt17integral_constantIbLb1EES15_IbLb0EEEEDaS11_S12_EUlS11_E_NS1_11comp_targetILNS1_3genE2ELNS1_11target_archE906ELNS1_3gpuE6ELNS1_3repE0EEENS1_30default_config_static_selectorELNS0_4arch9wavefront6targetE0EEEvT1_,comdat
	.protected	_ZN7rocprim17ROCPRIM_400000_NS6detail17trampoline_kernelINS0_14default_configENS1_25partition_config_selectorILNS1_17partition_subalgoE6EiNS0_10empty_typeEbEEZZNS1_14partition_implILS5_6ELb0ES3_mN6thrust23THRUST_200600_302600_NS6detail15normal_iteratorINSA_10device_ptrIiEEEEPS6_SG_NS0_5tupleIJSF_S6_EEENSH_IJSG_SG_EEES6_PlJ6is_oddIiEEEE10hipError_tPvRmT3_T4_T5_T6_T7_T9_mT8_P12ihipStream_tbDpT10_ENKUlT_T0_E_clISt17integral_constantIbLb1EES15_IbLb0EEEEDaS11_S12_EUlS11_E_NS1_11comp_targetILNS1_3genE2ELNS1_11target_archE906ELNS1_3gpuE6ELNS1_3repE0EEENS1_30default_config_static_selectorELNS0_4arch9wavefront6targetE0EEEvT1_ ; -- Begin function _ZN7rocprim17ROCPRIM_400000_NS6detail17trampoline_kernelINS0_14default_configENS1_25partition_config_selectorILNS1_17partition_subalgoE6EiNS0_10empty_typeEbEEZZNS1_14partition_implILS5_6ELb0ES3_mN6thrust23THRUST_200600_302600_NS6detail15normal_iteratorINSA_10device_ptrIiEEEEPS6_SG_NS0_5tupleIJSF_S6_EEENSH_IJSG_SG_EEES6_PlJ6is_oddIiEEEE10hipError_tPvRmT3_T4_T5_T6_T7_T9_mT8_P12ihipStream_tbDpT10_ENKUlT_T0_E_clISt17integral_constantIbLb1EES15_IbLb0EEEEDaS11_S12_EUlS11_E_NS1_11comp_targetILNS1_3genE2ELNS1_11target_archE906ELNS1_3gpuE6ELNS1_3repE0EEENS1_30default_config_static_selectorELNS0_4arch9wavefront6targetE0EEEvT1_
	.globl	_ZN7rocprim17ROCPRIM_400000_NS6detail17trampoline_kernelINS0_14default_configENS1_25partition_config_selectorILNS1_17partition_subalgoE6EiNS0_10empty_typeEbEEZZNS1_14partition_implILS5_6ELb0ES3_mN6thrust23THRUST_200600_302600_NS6detail15normal_iteratorINSA_10device_ptrIiEEEEPS6_SG_NS0_5tupleIJSF_S6_EEENSH_IJSG_SG_EEES6_PlJ6is_oddIiEEEE10hipError_tPvRmT3_T4_T5_T6_T7_T9_mT8_P12ihipStream_tbDpT10_ENKUlT_T0_E_clISt17integral_constantIbLb1EES15_IbLb0EEEEDaS11_S12_EUlS11_E_NS1_11comp_targetILNS1_3genE2ELNS1_11target_archE906ELNS1_3gpuE6ELNS1_3repE0EEENS1_30default_config_static_selectorELNS0_4arch9wavefront6targetE0EEEvT1_
	.p2align	8
	.type	_ZN7rocprim17ROCPRIM_400000_NS6detail17trampoline_kernelINS0_14default_configENS1_25partition_config_selectorILNS1_17partition_subalgoE6EiNS0_10empty_typeEbEEZZNS1_14partition_implILS5_6ELb0ES3_mN6thrust23THRUST_200600_302600_NS6detail15normal_iteratorINSA_10device_ptrIiEEEEPS6_SG_NS0_5tupleIJSF_S6_EEENSH_IJSG_SG_EEES6_PlJ6is_oddIiEEEE10hipError_tPvRmT3_T4_T5_T6_T7_T9_mT8_P12ihipStream_tbDpT10_ENKUlT_T0_E_clISt17integral_constantIbLb1EES15_IbLb0EEEEDaS11_S12_EUlS11_E_NS1_11comp_targetILNS1_3genE2ELNS1_11target_archE906ELNS1_3gpuE6ELNS1_3repE0EEENS1_30default_config_static_selectorELNS0_4arch9wavefront6targetE0EEEvT1_,@function
_ZN7rocprim17ROCPRIM_400000_NS6detail17trampoline_kernelINS0_14default_configENS1_25partition_config_selectorILNS1_17partition_subalgoE6EiNS0_10empty_typeEbEEZZNS1_14partition_implILS5_6ELb0ES3_mN6thrust23THRUST_200600_302600_NS6detail15normal_iteratorINSA_10device_ptrIiEEEEPS6_SG_NS0_5tupleIJSF_S6_EEENSH_IJSG_SG_EEES6_PlJ6is_oddIiEEEE10hipError_tPvRmT3_T4_T5_T6_T7_T9_mT8_P12ihipStream_tbDpT10_ENKUlT_T0_E_clISt17integral_constantIbLb1EES15_IbLb0EEEEDaS11_S12_EUlS11_E_NS1_11comp_targetILNS1_3genE2ELNS1_11target_archE906ELNS1_3gpuE6ELNS1_3repE0EEENS1_30default_config_static_selectorELNS0_4arch9wavefront6targetE0EEEvT1_: ; @_ZN7rocprim17ROCPRIM_400000_NS6detail17trampoline_kernelINS0_14default_configENS1_25partition_config_selectorILNS1_17partition_subalgoE6EiNS0_10empty_typeEbEEZZNS1_14partition_implILS5_6ELb0ES3_mN6thrust23THRUST_200600_302600_NS6detail15normal_iteratorINSA_10device_ptrIiEEEEPS6_SG_NS0_5tupleIJSF_S6_EEENSH_IJSG_SG_EEES6_PlJ6is_oddIiEEEE10hipError_tPvRmT3_T4_T5_T6_T7_T9_mT8_P12ihipStream_tbDpT10_ENKUlT_T0_E_clISt17integral_constantIbLb1EES15_IbLb0EEEEDaS11_S12_EUlS11_E_NS1_11comp_targetILNS1_3genE2ELNS1_11target_archE906ELNS1_3gpuE6ELNS1_3repE0EEENS1_30default_config_static_selectorELNS0_4arch9wavefront6targetE0EEEvT1_
; %bb.0:
	.section	.rodata,"a",@progbits
	.p2align	6, 0x0
	.amdhsa_kernel _ZN7rocprim17ROCPRIM_400000_NS6detail17trampoline_kernelINS0_14default_configENS1_25partition_config_selectorILNS1_17partition_subalgoE6EiNS0_10empty_typeEbEEZZNS1_14partition_implILS5_6ELb0ES3_mN6thrust23THRUST_200600_302600_NS6detail15normal_iteratorINSA_10device_ptrIiEEEEPS6_SG_NS0_5tupleIJSF_S6_EEENSH_IJSG_SG_EEES6_PlJ6is_oddIiEEEE10hipError_tPvRmT3_T4_T5_T6_T7_T9_mT8_P12ihipStream_tbDpT10_ENKUlT_T0_E_clISt17integral_constantIbLb1EES15_IbLb0EEEEDaS11_S12_EUlS11_E_NS1_11comp_targetILNS1_3genE2ELNS1_11target_archE906ELNS1_3gpuE6ELNS1_3repE0EEENS1_30default_config_static_selectorELNS0_4arch9wavefront6targetE0EEEvT1_
		.amdhsa_group_segment_fixed_size 0
		.amdhsa_private_segment_fixed_size 0
		.amdhsa_kernarg_size 112
		.amdhsa_user_sgpr_count 2
		.amdhsa_user_sgpr_dispatch_ptr 0
		.amdhsa_user_sgpr_queue_ptr 0
		.amdhsa_user_sgpr_kernarg_segment_ptr 1
		.amdhsa_user_sgpr_dispatch_id 0
		.amdhsa_user_sgpr_private_segment_size 0
		.amdhsa_wavefront_size32 1
		.amdhsa_uses_dynamic_stack 0
		.amdhsa_enable_private_segment 0
		.amdhsa_system_sgpr_workgroup_id_x 1
		.amdhsa_system_sgpr_workgroup_id_y 0
		.amdhsa_system_sgpr_workgroup_id_z 0
		.amdhsa_system_sgpr_workgroup_info 0
		.amdhsa_system_vgpr_workitem_id 0
		.amdhsa_next_free_vgpr 1
		.amdhsa_next_free_sgpr 1
		.amdhsa_reserve_vcc 0
		.amdhsa_float_round_mode_32 0
		.amdhsa_float_round_mode_16_64 0
		.amdhsa_float_denorm_mode_32 3
		.amdhsa_float_denorm_mode_16_64 3
		.amdhsa_fp16_overflow 0
		.amdhsa_workgroup_processor_mode 1
		.amdhsa_memory_ordered 1
		.amdhsa_forward_progress 1
		.amdhsa_inst_pref_size 0
		.amdhsa_round_robin_scheduling 0
		.amdhsa_exception_fp_ieee_invalid_op 0
		.amdhsa_exception_fp_denorm_src 0
		.amdhsa_exception_fp_ieee_div_zero 0
		.amdhsa_exception_fp_ieee_overflow 0
		.amdhsa_exception_fp_ieee_underflow 0
		.amdhsa_exception_fp_ieee_inexact 0
		.amdhsa_exception_int_div_zero 0
	.end_amdhsa_kernel
	.section	.text._ZN7rocprim17ROCPRIM_400000_NS6detail17trampoline_kernelINS0_14default_configENS1_25partition_config_selectorILNS1_17partition_subalgoE6EiNS0_10empty_typeEbEEZZNS1_14partition_implILS5_6ELb0ES3_mN6thrust23THRUST_200600_302600_NS6detail15normal_iteratorINSA_10device_ptrIiEEEEPS6_SG_NS0_5tupleIJSF_S6_EEENSH_IJSG_SG_EEES6_PlJ6is_oddIiEEEE10hipError_tPvRmT3_T4_T5_T6_T7_T9_mT8_P12ihipStream_tbDpT10_ENKUlT_T0_E_clISt17integral_constantIbLb1EES15_IbLb0EEEEDaS11_S12_EUlS11_E_NS1_11comp_targetILNS1_3genE2ELNS1_11target_archE906ELNS1_3gpuE6ELNS1_3repE0EEENS1_30default_config_static_selectorELNS0_4arch9wavefront6targetE0EEEvT1_,"axG",@progbits,_ZN7rocprim17ROCPRIM_400000_NS6detail17trampoline_kernelINS0_14default_configENS1_25partition_config_selectorILNS1_17partition_subalgoE6EiNS0_10empty_typeEbEEZZNS1_14partition_implILS5_6ELb0ES3_mN6thrust23THRUST_200600_302600_NS6detail15normal_iteratorINSA_10device_ptrIiEEEEPS6_SG_NS0_5tupleIJSF_S6_EEENSH_IJSG_SG_EEES6_PlJ6is_oddIiEEEE10hipError_tPvRmT3_T4_T5_T6_T7_T9_mT8_P12ihipStream_tbDpT10_ENKUlT_T0_E_clISt17integral_constantIbLb1EES15_IbLb0EEEEDaS11_S12_EUlS11_E_NS1_11comp_targetILNS1_3genE2ELNS1_11target_archE906ELNS1_3gpuE6ELNS1_3repE0EEENS1_30default_config_static_selectorELNS0_4arch9wavefront6targetE0EEEvT1_,comdat
.Lfunc_end34:
	.size	_ZN7rocprim17ROCPRIM_400000_NS6detail17trampoline_kernelINS0_14default_configENS1_25partition_config_selectorILNS1_17partition_subalgoE6EiNS0_10empty_typeEbEEZZNS1_14partition_implILS5_6ELb0ES3_mN6thrust23THRUST_200600_302600_NS6detail15normal_iteratorINSA_10device_ptrIiEEEEPS6_SG_NS0_5tupleIJSF_S6_EEENSH_IJSG_SG_EEES6_PlJ6is_oddIiEEEE10hipError_tPvRmT3_T4_T5_T6_T7_T9_mT8_P12ihipStream_tbDpT10_ENKUlT_T0_E_clISt17integral_constantIbLb1EES15_IbLb0EEEEDaS11_S12_EUlS11_E_NS1_11comp_targetILNS1_3genE2ELNS1_11target_archE906ELNS1_3gpuE6ELNS1_3repE0EEENS1_30default_config_static_selectorELNS0_4arch9wavefront6targetE0EEEvT1_, .Lfunc_end34-_ZN7rocprim17ROCPRIM_400000_NS6detail17trampoline_kernelINS0_14default_configENS1_25partition_config_selectorILNS1_17partition_subalgoE6EiNS0_10empty_typeEbEEZZNS1_14partition_implILS5_6ELb0ES3_mN6thrust23THRUST_200600_302600_NS6detail15normal_iteratorINSA_10device_ptrIiEEEEPS6_SG_NS0_5tupleIJSF_S6_EEENSH_IJSG_SG_EEES6_PlJ6is_oddIiEEEE10hipError_tPvRmT3_T4_T5_T6_T7_T9_mT8_P12ihipStream_tbDpT10_ENKUlT_T0_E_clISt17integral_constantIbLb1EES15_IbLb0EEEEDaS11_S12_EUlS11_E_NS1_11comp_targetILNS1_3genE2ELNS1_11target_archE906ELNS1_3gpuE6ELNS1_3repE0EEENS1_30default_config_static_selectorELNS0_4arch9wavefront6targetE0EEEvT1_
                                        ; -- End function
	.set _ZN7rocprim17ROCPRIM_400000_NS6detail17trampoline_kernelINS0_14default_configENS1_25partition_config_selectorILNS1_17partition_subalgoE6EiNS0_10empty_typeEbEEZZNS1_14partition_implILS5_6ELb0ES3_mN6thrust23THRUST_200600_302600_NS6detail15normal_iteratorINSA_10device_ptrIiEEEEPS6_SG_NS0_5tupleIJSF_S6_EEENSH_IJSG_SG_EEES6_PlJ6is_oddIiEEEE10hipError_tPvRmT3_T4_T5_T6_T7_T9_mT8_P12ihipStream_tbDpT10_ENKUlT_T0_E_clISt17integral_constantIbLb1EES15_IbLb0EEEEDaS11_S12_EUlS11_E_NS1_11comp_targetILNS1_3genE2ELNS1_11target_archE906ELNS1_3gpuE6ELNS1_3repE0EEENS1_30default_config_static_selectorELNS0_4arch9wavefront6targetE0EEEvT1_.num_vgpr, 0
	.set _ZN7rocprim17ROCPRIM_400000_NS6detail17trampoline_kernelINS0_14default_configENS1_25partition_config_selectorILNS1_17partition_subalgoE6EiNS0_10empty_typeEbEEZZNS1_14partition_implILS5_6ELb0ES3_mN6thrust23THRUST_200600_302600_NS6detail15normal_iteratorINSA_10device_ptrIiEEEEPS6_SG_NS0_5tupleIJSF_S6_EEENSH_IJSG_SG_EEES6_PlJ6is_oddIiEEEE10hipError_tPvRmT3_T4_T5_T6_T7_T9_mT8_P12ihipStream_tbDpT10_ENKUlT_T0_E_clISt17integral_constantIbLb1EES15_IbLb0EEEEDaS11_S12_EUlS11_E_NS1_11comp_targetILNS1_3genE2ELNS1_11target_archE906ELNS1_3gpuE6ELNS1_3repE0EEENS1_30default_config_static_selectorELNS0_4arch9wavefront6targetE0EEEvT1_.num_agpr, 0
	.set _ZN7rocprim17ROCPRIM_400000_NS6detail17trampoline_kernelINS0_14default_configENS1_25partition_config_selectorILNS1_17partition_subalgoE6EiNS0_10empty_typeEbEEZZNS1_14partition_implILS5_6ELb0ES3_mN6thrust23THRUST_200600_302600_NS6detail15normal_iteratorINSA_10device_ptrIiEEEEPS6_SG_NS0_5tupleIJSF_S6_EEENSH_IJSG_SG_EEES6_PlJ6is_oddIiEEEE10hipError_tPvRmT3_T4_T5_T6_T7_T9_mT8_P12ihipStream_tbDpT10_ENKUlT_T0_E_clISt17integral_constantIbLb1EES15_IbLb0EEEEDaS11_S12_EUlS11_E_NS1_11comp_targetILNS1_3genE2ELNS1_11target_archE906ELNS1_3gpuE6ELNS1_3repE0EEENS1_30default_config_static_selectorELNS0_4arch9wavefront6targetE0EEEvT1_.numbered_sgpr, 0
	.set _ZN7rocprim17ROCPRIM_400000_NS6detail17trampoline_kernelINS0_14default_configENS1_25partition_config_selectorILNS1_17partition_subalgoE6EiNS0_10empty_typeEbEEZZNS1_14partition_implILS5_6ELb0ES3_mN6thrust23THRUST_200600_302600_NS6detail15normal_iteratorINSA_10device_ptrIiEEEEPS6_SG_NS0_5tupleIJSF_S6_EEENSH_IJSG_SG_EEES6_PlJ6is_oddIiEEEE10hipError_tPvRmT3_T4_T5_T6_T7_T9_mT8_P12ihipStream_tbDpT10_ENKUlT_T0_E_clISt17integral_constantIbLb1EES15_IbLb0EEEEDaS11_S12_EUlS11_E_NS1_11comp_targetILNS1_3genE2ELNS1_11target_archE906ELNS1_3gpuE6ELNS1_3repE0EEENS1_30default_config_static_selectorELNS0_4arch9wavefront6targetE0EEEvT1_.num_named_barrier, 0
	.set _ZN7rocprim17ROCPRIM_400000_NS6detail17trampoline_kernelINS0_14default_configENS1_25partition_config_selectorILNS1_17partition_subalgoE6EiNS0_10empty_typeEbEEZZNS1_14partition_implILS5_6ELb0ES3_mN6thrust23THRUST_200600_302600_NS6detail15normal_iteratorINSA_10device_ptrIiEEEEPS6_SG_NS0_5tupleIJSF_S6_EEENSH_IJSG_SG_EEES6_PlJ6is_oddIiEEEE10hipError_tPvRmT3_T4_T5_T6_T7_T9_mT8_P12ihipStream_tbDpT10_ENKUlT_T0_E_clISt17integral_constantIbLb1EES15_IbLb0EEEEDaS11_S12_EUlS11_E_NS1_11comp_targetILNS1_3genE2ELNS1_11target_archE906ELNS1_3gpuE6ELNS1_3repE0EEENS1_30default_config_static_selectorELNS0_4arch9wavefront6targetE0EEEvT1_.private_seg_size, 0
	.set _ZN7rocprim17ROCPRIM_400000_NS6detail17trampoline_kernelINS0_14default_configENS1_25partition_config_selectorILNS1_17partition_subalgoE6EiNS0_10empty_typeEbEEZZNS1_14partition_implILS5_6ELb0ES3_mN6thrust23THRUST_200600_302600_NS6detail15normal_iteratorINSA_10device_ptrIiEEEEPS6_SG_NS0_5tupleIJSF_S6_EEENSH_IJSG_SG_EEES6_PlJ6is_oddIiEEEE10hipError_tPvRmT3_T4_T5_T6_T7_T9_mT8_P12ihipStream_tbDpT10_ENKUlT_T0_E_clISt17integral_constantIbLb1EES15_IbLb0EEEEDaS11_S12_EUlS11_E_NS1_11comp_targetILNS1_3genE2ELNS1_11target_archE906ELNS1_3gpuE6ELNS1_3repE0EEENS1_30default_config_static_selectorELNS0_4arch9wavefront6targetE0EEEvT1_.uses_vcc, 0
	.set _ZN7rocprim17ROCPRIM_400000_NS6detail17trampoline_kernelINS0_14default_configENS1_25partition_config_selectorILNS1_17partition_subalgoE6EiNS0_10empty_typeEbEEZZNS1_14partition_implILS5_6ELb0ES3_mN6thrust23THRUST_200600_302600_NS6detail15normal_iteratorINSA_10device_ptrIiEEEEPS6_SG_NS0_5tupleIJSF_S6_EEENSH_IJSG_SG_EEES6_PlJ6is_oddIiEEEE10hipError_tPvRmT3_T4_T5_T6_T7_T9_mT8_P12ihipStream_tbDpT10_ENKUlT_T0_E_clISt17integral_constantIbLb1EES15_IbLb0EEEEDaS11_S12_EUlS11_E_NS1_11comp_targetILNS1_3genE2ELNS1_11target_archE906ELNS1_3gpuE6ELNS1_3repE0EEENS1_30default_config_static_selectorELNS0_4arch9wavefront6targetE0EEEvT1_.uses_flat_scratch, 0
	.set _ZN7rocprim17ROCPRIM_400000_NS6detail17trampoline_kernelINS0_14default_configENS1_25partition_config_selectorILNS1_17partition_subalgoE6EiNS0_10empty_typeEbEEZZNS1_14partition_implILS5_6ELb0ES3_mN6thrust23THRUST_200600_302600_NS6detail15normal_iteratorINSA_10device_ptrIiEEEEPS6_SG_NS0_5tupleIJSF_S6_EEENSH_IJSG_SG_EEES6_PlJ6is_oddIiEEEE10hipError_tPvRmT3_T4_T5_T6_T7_T9_mT8_P12ihipStream_tbDpT10_ENKUlT_T0_E_clISt17integral_constantIbLb1EES15_IbLb0EEEEDaS11_S12_EUlS11_E_NS1_11comp_targetILNS1_3genE2ELNS1_11target_archE906ELNS1_3gpuE6ELNS1_3repE0EEENS1_30default_config_static_selectorELNS0_4arch9wavefront6targetE0EEEvT1_.has_dyn_sized_stack, 0
	.set _ZN7rocprim17ROCPRIM_400000_NS6detail17trampoline_kernelINS0_14default_configENS1_25partition_config_selectorILNS1_17partition_subalgoE6EiNS0_10empty_typeEbEEZZNS1_14partition_implILS5_6ELb0ES3_mN6thrust23THRUST_200600_302600_NS6detail15normal_iteratorINSA_10device_ptrIiEEEEPS6_SG_NS0_5tupleIJSF_S6_EEENSH_IJSG_SG_EEES6_PlJ6is_oddIiEEEE10hipError_tPvRmT3_T4_T5_T6_T7_T9_mT8_P12ihipStream_tbDpT10_ENKUlT_T0_E_clISt17integral_constantIbLb1EES15_IbLb0EEEEDaS11_S12_EUlS11_E_NS1_11comp_targetILNS1_3genE2ELNS1_11target_archE906ELNS1_3gpuE6ELNS1_3repE0EEENS1_30default_config_static_selectorELNS0_4arch9wavefront6targetE0EEEvT1_.has_recursion, 0
	.set _ZN7rocprim17ROCPRIM_400000_NS6detail17trampoline_kernelINS0_14default_configENS1_25partition_config_selectorILNS1_17partition_subalgoE6EiNS0_10empty_typeEbEEZZNS1_14partition_implILS5_6ELb0ES3_mN6thrust23THRUST_200600_302600_NS6detail15normal_iteratorINSA_10device_ptrIiEEEEPS6_SG_NS0_5tupleIJSF_S6_EEENSH_IJSG_SG_EEES6_PlJ6is_oddIiEEEE10hipError_tPvRmT3_T4_T5_T6_T7_T9_mT8_P12ihipStream_tbDpT10_ENKUlT_T0_E_clISt17integral_constantIbLb1EES15_IbLb0EEEEDaS11_S12_EUlS11_E_NS1_11comp_targetILNS1_3genE2ELNS1_11target_archE906ELNS1_3gpuE6ELNS1_3repE0EEENS1_30default_config_static_selectorELNS0_4arch9wavefront6targetE0EEEvT1_.has_indirect_call, 0
	.section	.AMDGPU.csdata,"",@progbits
; Kernel info:
; codeLenInByte = 0
; TotalNumSgprs: 0
; NumVgprs: 0
; ScratchSize: 0
; MemoryBound: 0
; FloatMode: 240
; IeeeMode: 1
; LDSByteSize: 0 bytes/workgroup (compile time only)
; SGPRBlocks: 0
; VGPRBlocks: 0
; NumSGPRsForWavesPerEU: 1
; NumVGPRsForWavesPerEU: 1
; Occupancy: 16
; WaveLimiterHint : 0
; COMPUTE_PGM_RSRC2:SCRATCH_EN: 0
; COMPUTE_PGM_RSRC2:USER_SGPR: 2
; COMPUTE_PGM_RSRC2:TRAP_HANDLER: 0
; COMPUTE_PGM_RSRC2:TGID_X_EN: 1
; COMPUTE_PGM_RSRC2:TGID_Y_EN: 0
; COMPUTE_PGM_RSRC2:TGID_Z_EN: 0
; COMPUTE_PGM_RSRC2:TIDIG_COMP_CNT: 0
	.section	.text._ZN7rocprim17ROCPRIM_400000_NS6detail17trampoline_kernelINS0_14default_configENS1_25partition_config_selectorILNS1_17partition_subalgoE6EiNS0_10empty_typeEbEEZZNS1_14partition_implILS5_6ELb0ES3_mN6thrust23THRUST_200600_302600_NS6detail15normal_iteratorINSA_10device_ptrIiEEEEPS6_SG_NS0_5tupleIJSF_S6_EEENSH_IJSG_SG_EEES6_PlJ6is_oddIiEEEE10hipError_tPvRmT3_T4_T5_T6_T7_T9_mT8_P12ihipStream_tbDpT10_ENKUlT_T0_E_clISt17integral_constantIbLb1EES15_IbLb0EEEEDaS11_S12_EUlS11_E_NS1_11comp_targetILNS1_3genE10ELNS1_11target_archE1200ELNS1_3gpuE4ELNS1_3repE0EEENS1_30default_config_static_selectorELNS0_4arch9wavefront6targetE0EEEvT1_,"axG",@progbits,_ZN7rocprim17ROCPRIM_400000_NS6detail17trampoline_kernelINS0_14default_configENS1_25partition_config_selectorILNS1_17partition_subalgoE6EiNS0_10empty_typeEbEEZZNS1_14partition_implILS5_6ELb0ES3_mN6thrust23THRUST_200600_302600_NS6detail15normal_iteratorINSA_10device_ptrIiEEEEPS6_SG_NS0_5tupleIJSF_S6_EEENSH_IJSG_SG_EEES6_PlJ6is_oddIiEEEE10hipError_tPvRmT3_T4_T5_T6_T7_T9_mT8_P12ihipStream_tbDpT10_ENKUlT_T0_E_clISt17integral_constantIbLb1EES15_IbLb0EEEEDaS11_S12_EUlS11_E_NS1_11comp_targetILNS1_3genE10ELNS1_11target_archE1200ELNS1_3gpuE4ELNS1_3repE0EEENS1_30default_config_static_selectorELNS0_4arch9wavefront6targetE0EEEvT1_,comdat
	.protected	_ZN7rocprim17ROCPRIM_400000_NS6detail17trampoline_kernelINS0_14default_configENS1_25partition_config_selectorILNS1_17partition_subalgoE6EiNS0_10empty_typeEbEEZZNS1_14partition_implILS5_6ELb0ES3_mN6thrust23THRUST_200600_302600_NS6detail15normal_iteratorINSA_10device_ptrIiEEEEPS6_SG_NS0_5tupleIJSF_S6_EEENSH_IJSG_SG_EEES6_PlJ6is_oddIiEEEE10hipError_tPvRmT3_T4_T5_T6_T7_T9_mT8_P12ihipStream_tbDpT10_ENKUlT_T0_E_clISt17integral_constantIbLb1EES15_IbLb0EEEEDaS11_S12_EUlS11_E_NS1_11comp_targetILNS1_3genE10ELNS1_11target_archE1200ELNS1_3gpuE4ELNS1_3repE0EEENS1_30default_config_static_selectorELNS0_4arch9wavefront6targetE0EEEvT1_ ; -- Begin function _ZN7rocprim17ROCPRIM_400000_NS6detail17trampoline_kernelINS0_14default_configENS1_25partition_config_selectorILNS1_17partition_subalgoE6EiNS0_10empty_typeEbEEZZNS1_14partition_implILS5_6ELb0ES3_mN6thrust23THRUST_200600_302600_NS6detail15normal_iteratorINSA_10device_ptrIiEEEEPS6_SG_NS0_5tupleIJSF_S6_EEENSH_IJSG_SG_EEES6_PlJ6is_oddIiEEEE10hipError_tPvRmT3_T4_T5_T6_T7_T9_mT8_P12ihipStream_tbDpT10_ENKUlT_T0_E_clISt17integral_constantIbLb1EES15_IbLb0EEEEDaS11_S12_EUlS11_E_NS1_11comp_targetILNS1_3genE10ELNS1_11target_archE1200ELNS1_3gpuE4ELNS1_3repE0EEENS1_30default_config_static_selectorELNS0_4arch9wavefront6targetE0EEEvT1_
	.globl	_ZN7rocprim17ROCPRIM_400000_NS6detail17trampoline_kernelINS0_14default_configENS1_25partition_config_selectorILNS1_17partition_subalgoE6EiNS0_10empty_typeEbEEZZNS1_14partition_implILS5_6ELb0ES3_mN6thrust23THRUST_200600_302600_NS6detail15normal_iteratorINSA_10device_ptrIiEEEEPS6_SG_NS0_5tupleIJSF_S6_EEENSH_IJSG_SG_EEES6_PlJ6is_oddIiEEEE10hipError_tPvRmT3_T4_T5_T6_T7_T9_mT8_P12ihipStream_tbDpT10_ENKUlT_T0_E_clISt17integral_constantIbLb1EES15_IbLb0EEEEDaS11_S12_EUlS11_E_NS1_11comp_targetILNS1_3genE10ELNS1_11target_archE1200ELNS1_3gpuE4ELNS1_3repE0EEENS1_30default_config_static_selectorELNS0_4arch9wavefront6targetE0EEEvT1_
	.p2align	8
	.type	_ZN7rocprim17ROCPRIM_400000_NS6detail17trampoline_kernelINS0_14default_configENS1_25partition_config_selectorILNS1_17partition_subalgoE6EiNS0_10empty_typeEbEEZZNS1_14partition_implILS5_6ELb0ES3_mN6thrust23THRUST_200600_302600_NS6detail15normal_iteratorINSA_10device_ptrIiEEEEPS6_SG_NS0_5tupleIJSF_S6_EEENSH_IJSG_SG_EEES6_PlJ6is_oddIiEEEE10hipError_tPvRmT3_T4_T5_T6_T7_T9_mT8_P12ihipStream_tbDpT10_ENKUlT_T0_E_clISt17integral_constantIbLb1EES15_IbLb0EEEEDaS11_S12_EUlS11_E_NS1_11comp_targetILNS1_3genE10ELNS1_11target_archE1200ELNS1_3gpuE4ELNS1_3repE0EEENS1_30default_config_static_selectorELNS0_4arch9wavefront6targetE0EEEvT1_,@function
_ZN7rocprim17ROCPRIM_400000_NS6detail17trampoline_kernelINS0_14default_configENS1_25partition_config_selectorILNS1_17partition_subalgoE6EiNS0_10empty_typeEbEEZZNS1_14partition_implILS5_6ELb0ES3_mN6thrust23THRUST_200600_302600_NS6detail15normal_iteratorINSA_10device_ptrIiEEEEPS6_SG_NS0_5tupleIJSF_S6_EEENSH_IJSG_SG_EEES6_PlJ6is_oddIiEEEE10hipError_tPvRmT3_T4_T5_T6_T7_T9_mT8_P12ihipStream_tbDpT10_ENKUlT_T0_E_clISt17integral_constantIbLb1EES15_IbLb0EEEEDaS11_S12_EUlS11_E_NS1_11comp_targetILNS1_3genE10ELNS1_11target_archE1200ELNS1_3gpuE4ELNS1_3repE0EEENS1_30default_config_static_selectorELNS0_4arch9wavefront6targetE0EEEvT1_: ; @_ZN7rocprim17ROCPRIM_400000_NS6detail17trampoline_kernelINS0_14default_configENS1_25partition_config_selectorILNS1_17partition_subalgoE6EiNS0_10empty_typeEbEEZZNS1_14partition_implILS5_6ELb0ES3_mN6thrust23THRUST_200600_302600_NS6detail15normal_iteratorINSA_10device_ptrIiEEEEPS6_SG_NS0_5tupleIJSF_S6_EEENSH_IJSG_SG_EEES6_PlJ6is_oddIiEEEE10hipError_tPvRmT3_T4_T5_T6_T7_T9_mT8_P12ihipStream_tbDpT10_ENKUlT_T0_E_clISt17integral_constantIbLb1EES15_IbLb0EEEEDaS11_S12_EUlS11_E_NS1_11comp_targetILNS1_3genE10ELNS1_11target_archE1200ELNS1_3gpuE4ELNS1_3repE0EEENS1_30default_config_static_selectorELNS0_4arch9wavefront6targetE0EEEvT1_
; %bb.0:
	s_endpgm
	.section	.rodata,"a",@progbits
	.p2align	6, 0x0
	.amdhsa_kernel _ZN7rocprim17ROCPRIM_400000_NS6detail17trampoline_kernelINS0_14default_configENS1_25partition_config_selectorILNS1_17partition_subalgoE6EiNS0_10empty_typeEbEEZZNS1_14partition_implILS5_6ELb0ES3_mN6thrust23THRUST_200600_302600_NS6detail15normal_iteratorINSA_10device_ptrIiEEEEPS6_SG_NS0_5tupleIJSF_S6_EEENSH_IJSG_SG_EEES6_PlJ6is_oddIiEEEE10hipError_tPvRmT3_T4_T5_T6_T7_T9_mT8_P12ihipStream_tbDpT10_ENKUlT_T0_E_clISt17integral_constantIbLb1EES15_IbLb0EEEEDaS11_S12_EUlS11_E_NS1_11comp_targetILNS1_3genE10ELNS1_11target_archE1200ELNS1_3gpuE4ELNS1_3repE0EEENS1_30default_config_static_selectorELNS0_4arch9wavefront6targetE0EEEvT1_
		.amdhsa_group_segment_fixed_size 0
		.amdhsa_private_segment_fixed_size 0
		.amdhsa_kernarg_size 112
		.amdhsa_user_sgpr_count 2
		.amdhsa_user_sgpr_dispatch_ptr 0
		.amdhsa_user_sgpr_queue_ptr 0
		.amdhsa_user_sgpr_kernarg_segment_ptr 1
		.amdhsa_user_sgpr_dispatch_id 0
		.amdhsa_user_sgpr_private_segment_size 0
		.amdhsa_wavefront_size32 1
		.amdhsa_uses_dynamic_stack 0
		.amdhsa_enable_private_segment 0
		.amdhsa_system_sgpr_workgroup_id_x 1
		.amdhsa_system_sgpr_workgroup_id_y 0
		.amdhsa_system_sgpr_workgroup_id_z 0
		.amdhsa_system_sgpr_workgroup_info 0
		.amdhsa_system_vgpr_workitem_id 0
		.amdhsa_next_free_vgpr 1
		.amdhsa_next_free_sgpr 1
		.amdhsa_reserve_vcc 0
		.amdhsa_float_round_mode_32 0
		.amdhsa_float_round_mode_16_64 0
		.amdhsa_float_denorm_mode_32 3
		.amdhsa_float_denorm_mode_16_64 3
		.amdhsa_fp16_overflow 0
		.amdhsa_workgroup_processor_mode 1
		.amdhsa_memory_ordered 1
		.amdhsa_forward_progress 1
		.amdhsa_inst_pref_size 1
		.amdhsa_round_robin_scheduling 0
		.amdhsa_exception_fp_ieee_invalid_op 0
		.amdhsa_exception_fp_denorm_src 0
		.amdhsa_exception_fp_ieee_div_zero 0
		.amdhsa_exception_fp_ieee_overflow 0
		.amdhsa_exception_fp_ieee_underflow 0
		.amdhsa_exception_fp_ieee_inexact 0
		.amdhsa_exception_int_div_zero 0
	.end_amdhsa_kernel
	.section	.text._ZN7rocprim17ROCPRIM_400000_NS6detail17trampoline_kernelINS0_14default_configENS1_25partition_config_selectorILNS1_17partition_subalgoE6EiNS0_10empty_typeEbEEZZNS1_14partition_implILS5_6ELb0ES3_mN6thrust23THRUST_200600_302600_NS6detail15normal_iteratorINSA_10device_ptrIiEEEEPS6_SG_NS0_5tupleIJSF_S6_EEENSH_IJSG_SG_EEES6_PlJ6is_oddIiEEEE10hipError_tPvRmT3_T4_T5_T6_T7_T9_mT8_P12ihipStream_tbDpT10_ENKUlT_T0_E_clISt17integral_constantIbLb1EES15_IbLb0EEEEDaS11_S12_EUlS11_E_NS1_11comp_targetILNS1_3genE10ELNS1_11target_archE1200ELNS1_3gpuE4ELNS1_3repE0EEENS1_30default_config_static_selectorELNS0_4arch9wavefront6targetE0EEEvT1_,"axG",@progbits,_ZN7rocprim17ROCPRIM_400000_NS6detail17trampoline_kernelINS0_14default_configENS1_25partition_config_selectorILNS1_17partition_subalgoE6EiNS0_10empty_typeEbEEZZNS1_14partition_implILS5_6ELb0ES3_mN6thrust23THRUST_200600_302600_NS6detail15normal_iteratorINSA_10device_ptrIiEEEEPS6_SG_NS0_5tupleIJSF_S6_EEENSH_IJSG_SG_EEES6_PlJ6is_oddIiEEEE10hipError_tPvRmT3_T4_T5_T6_T7_T9_mT8_P12ihipStream_tbDpT10_ENKUlT_T0_E_clISt17integral_constantIbLb1EES15_IbLb0EEEEDaS11_S12_EUlS11_E_NS1_11comp_targetILNS1_3genE10ELNS1_11target_archE1200ELNS1_3gpuE4ELNS1_3repE0EEENS1_30default_config_static_selectorELNS0_4arch9wavefront6targetE0EEEvT1_,comdat
.Lfunc_end35:
	.size	_ZN7rocprim17ROCPRIM_400000_NS6detail17trampoline_kernelINS0_14default_configENS1_25partition_config_selectorILNS1_17partition_subalgoE6EiNS0_10empty_typeEbEEZZNS1_14partition_implILS5_6ELb0ES3_mN6thrust23THRUST_200600_302600_NS6detail15normal_iteratorINSA_10device_ptrIiEEEEPS6_SG_NS0_5tupleIJSF_S6_EEENSH_IJSG_SG_EEES6_PlJ6is_oddIiEEEE10hipError_tPvRmT3_T4_T5_T6_T7_T9_mT8_P12ihipStream_tbDpT10_ENKUlT_T0_E_clISt17integral_constantIbLb1EES15_IbLb0EEEEDaS11_S12_EUlS11_E_NS1_11comp_targetILNS1_3genE10ELNS1_11target_archE1200ELNS1_3gpuE4ELNS1_3repE0EEENS1_30default_config_static_selectorELNS0_4arch9wavefront6targetE0EEEvT1_, .Lfunc_end35-_ZN7rocprim17ROCPRIM_400000_NS6detail17trampoline_kernelINS0_14default_configENS1_25partition_config_selectorILNS1_17partition_subalgoE6EiNS0_10empty_typeEbEEZZNS1_14partition_implILS5_6ELb0ES3_mN6thrust23THRUST_200600_302600_NS6detail15normal_iteratorINSA_10device_ptrIiEEEEPS6_SG_NS0_5tupleIJSF_S6_EEENSH_IJSG_SG_EEES6_PlJ6is_oddIiEEEE10hipError_tPvRmT3_T4_T5_T6_T7_T9_mT8_P12ihipStream_tbDpT10_ENKUlT_T0_E_clISt17integral_constantIbLb1EES15_IbLb0EEEEDaS11_S12_EUlS11_E_NS1_11comp_targetILNS1_3genE10ELNS1_11target_archE1200ELNS1_3gpuE4ELNS1_3repE0EEENS1_30default_config_static_selectorELNS0_4arch9wavefront6targetE0EEEvT1_
                                        ; -- End function
	.set _ZN7rocprim17ROCPRIM_400000_NS6detail17trampoline_kernelINS0_14default_configENS1_25partition_config_selectorILNS1_17partition_subalgoE6EiNS0_10empty_typeEbEEZZNS1_14partition_implILS5_6ELb0ES3_mN6thrust23THRUST_200600_302600_NS6detail15normal_iteratorINSA_10device_ptrIiEEEEPS6_SG_NS0_5tupleIJSF_S6_EEENSH_IJSG_SG_EEES6_PlJ6is_oddIiEEEE10hipError_tPvRmT3_T4_T5_T6_T7_T9_mT8_P12ihipStream_tbDpT10_ENKUlT_T0_E_clISt17integral_constantIbLb1EES15_IbLb0EEEEDaS11_S12_EUlS11_E_NS1_11comp_targetILNS1_3genE10ELNS1_11target_archE1200ELNS1_3gpuE4ELNS1_3repE0EEENS1_30default_config_static_selectorELNS0_4arch9wavefront6targetE0EEEvT1_.num_vgpr, 0
	.set _ZN7rocprim17ROCPRIM_400000_NS6detail17trampoline_kernelINS0_14default_configENS1_25partition_config_selectorILNS1_17partition_subalgoE6EiNS0_10empty_typeEbEEZZNS1_14partition_implILS5_6ELb0ES3_mN6thrust23THRUST_200600_302600_NS6detail15normal_iteratorINSA_10device_ptrIiEEEEPS6_SG_NS0_5tupleIJSF_S6_EEENSH_IJSG_SG_EEES6_PlJ6is_oddIiEEEE10hipError_tPvRmT3_T4_T5_T6_T7_T9_mT8_P12ihipStream_tbDpT10_ENKUlT_T0_E_clISt17integral_constantIbLb1EES15_IbLb0EEEEDaS11_S12_EUlS11_E_NS1_11comp_targetILNS1_3genE10ELNS1_11target_archE1200ELNS1_3gpuE4ELNS1_3repE0EEENS1_30default_config_static_selectorELNS0_4arch9wavefront6targetE0EEEvT1_.num_agpr, 0
	.set _ZN7rocprim17ROCPRIM_400000_NS6detail17trampoline_kernelINS0_14default_configENS1_25partition_config_selectorILNS1_17partition_subalgoE6EiNS0_10empty_typeEbEEZZNS1_14partition_implILS5_6ELb0ES3_mN6thrust23THRUST_200600_302600_NS6detail15normal_iteratorINSA_10device_ptrIiEEEEPS6_SG_NS0_5tupleIJSF_S6_EEENSH_IJSG_SG_EEES6_PlJ6is_oddIiEEEE10hipError_tPvRmT3_T4_T5_T6_T7_T9_mT8_P12ihipStream_tbDpT10_ENKUlT_T0_E_clISt17integral_constantIbLb1EES15_IbLb0EEEEDaS11_S12_EUlS11_E_NS1_11comp_targetILNS1_3genE10ELNS1_11target_archE1200ELNS1_3gpuE4ELNS1_3repE0EEENS1_30default_config_static_selectorELNS0_4arch9wavefront6targetE0EEEvT1_.numbered_sgpr, 0
	.set _ZN7rocprim17ROCPRIM_400000_NS6detail17trampoline_kernelINS0_14default_configENS1_25partition_config_selectorILNS1_17partition_subalgoE6EiNS0_10empty_typeEbEEZZNS1_14partition_implILS5_6ELb0ES3_mN6thrust23THRUST_200600_302600_NS6detail15normal_iteratorINSA_10device_ptrIiEEEEPS6_SG_NS0_5tupleIJSF_S6_EEENSH_IJSG_SG_EEES6_PlJ6is_oddIiEEEE10hipError_tPvRmT3_T4_T5_T6_T7_T9_mT8_P12ihipStream_tbDpT10_ENKUlT_T0_E_clISt17integral_constantIbLb1EES15_IbLb0EEEEDaS11_S12_EUlS11_E_NS1_11comp_targetILNS1_3genE10ELNS1_11target_archE1200ELNS1_3gpuE4ELNS1_3repE0EEENS1_30default_config_static_selectorELNS0_4arch9wavefront6targetE0EEEvT1_.num_named_barrier, 0
	.set _ZN7rocprim17ROCPRIM_400000_NS6detail17trampoline_kernelINS0_14default_configENS1_25partition_config_selectorILNS1_17partition_subalgoE6EiNS0_10empty_typeEbEEZZNS1_14partition_implILS5_6ELb0ES3_mN6thrust23THRUST_200600_302600_NS6detail15normal_iteratorINSA_10device_ptrIiEEEEPS6_SG_NS0_5tupleIJSF_S6_EEENSH_IJSG_SG_EEES6_PlJ6is_oddIiEEEE10hipError_tPvRmT3_T4_T5_T6_T7_T9_mT8_P12ihipStream_tbDpT10_ENKUlT_T0_E_clISt17integral_constantIbLb1EES15_IbLb0EEEEDaS11_S12_EUlS11_E_NS1_11comp_targetILNS1_3genE10ELNS1_11target_archE1200ELNS1_3gpuE4ELNS1_3repE0EEENS1_30default_config_static_selectorELNS0_4arch9wavefront6targetE0EEEvT1_.private_seg_size, 0
	.set _ZN7rocprim17ROCPRIM_400000_NS6detail17trampoline_kernelINS0_14default_configENS1_25partition_config_selectorILNS1_17partition_subalgoE6EiNS0_10empty_typeEbEEZZNS1_14partition_implILS5_6ELb0ES3_mN6thrust23THRUST_200600_302600_NS6detail15normal_iteratorINSA_10device_ptrIiEEEEPS6_SG_NS0_5tupleIJSF_S6_EEENSH_IJSG_SG_EEES6_PlJ6is_oddIiEEEE10hipError_tPvRmT3_T4_T5_T6_T7_T9_mT8_P12ihipStream_tbDpT10_ENKUlT_T0_E_clISt17integral_constantIbLb1EES15_IbLb0EEEEDaS11_S12_EUlS11_E_NS1_11comp_targetILNS1_3genE10ELNS1_11target_archE1200ELNS1_3gpuE4ELNS1_3repE0EEENS1_30default_config_static_selectorELNS0_4arch9wavefront6targetE0EEEvT1_.uses_vcc, 0
	.set _ZN7rocprim17ROCPRIM_400000_NS6detail17trampoline_kernelINS0_14default_configENS1_25partition_config_selectorILNS1_17partition_subalgoE6EiNS0_10empty_typeEbEEZZNS1_14partition_implILS5_6ELb0ES3_mN6thrust23THRUST_200600_302600_NS6detail15normal_iteratorINSA_10device_ptrIiEEEEPS6_SG_NS0_5tupleIJSF_S6_EEENSH_IJSG_SG_EEES6_PlJ6is_oddIiEEEE10hipError_tPvRmT3_T4_T5_T6_T7_T9_mT8_P12ihipStream_tbDpT10_ENKUlT_T0_E_clISt17integral_constantIbLb1EES15_IbLb0EEEEDaS11_S12_EUlS11_E_NS1_11comp_targetILNS1_3genE10ELNS1_11target_archE1200ELNS1_3gpuE4ELNS1_3repE0EEENS1_30default_config_static_selectorELNS0_4arch9wavefront6targetE0EEEvT1_.uses_flat_scratch, 0
	.set _ZN7rocprim17ROCPRIM_400000_NS6detail17trampoline_kernelINS0_14default_configENS1_25partition_config_selectorILNS1_17partition_subalgoE6EiNS0_10empty_typeEbEEZZNS1_14partition_implILS5_6ELb0ES3_mN6thrust23THRUST_200600_302600_NS6detail15normal_iteratorINSA_10device_ptrIiEEEEPS6_SG_NS0_5tupleIJSF_S6_EEENSH_IJSG_SG_EEES6_PlJ6is_oddIiEEEE10hipError_tPvRmT3_T4_T5_T6_T7_T9_mT8_P12ihipStream_tbDpT10_ENKUlT_T0_E_clISt17integral_constantIbLb1EES15_IbLb0EEEEDaS11_S12_EUlS11_E_NS1_11comp_targetILNS1_3genE10ELNS1_11target_archE1200ELNS1_3gpuE4ELNS1_3repE0EEENS1_30default_config_static_selectorELNS0_4arch9wavefront6targetE0EEEvT1_.has_dyn_sized_stack, 0
	.set _ZN7rocprim17ROCPRIM_400000_NS6detail17trampoline_kernelINS0_14default_configENS1_25partition_config_selectorILNS1_17partition_subalgoE6EiNS0_10empty_typeEbEEZZNS1_14partition_implILS5_6ELb0ES3_mN6thrust23THRUST_200600_302600_NS6detail15normal_iteratorINSA_10device_ptrIiEEEEPS6_SG_NS0_5tupleIJSF_S6_EEENSH_IJSG_SG_EEES6_PlJ6is_oddIiEEEE10hipError_tPvRmT3_T4_T5_T6_T7_T9_mT8_P12ihipStream_tbDpT10_ENKUlT_T0_E_clISt17integral_constantIbLb1EES15_IbLb0EEEEDaS11_S12_EUlS11_E_NS1_11comp_targetILNS1_3genE10ELNS1_11target_archE1200ELNS1_3gpuE4ELNS1_3repE0EEENS1_30default_config_static_selectorELNS0_4arch9wavefront6targetE0EEEvT1_.has_recursion, 0
	.set _ZN7rocprim17ROCPRIM_400000_NS6detail17trampoline_kernelINS0_14default_configENS1_25partition_config_selectorILNS1_17partition_subalgoE6EiNS0_10empty_typeEbEEZZNS1_14partition_implILS5_6ELb0ES3_mN6thrust23THRUST_200600_302600_NS6detail15normal_iteratorINSA_10device_ptrIiEEEEPS6_SG_NS0_5tupleIJSF_S6_EEENSH_IJSG_SG_EEES6_PlJ6is_oddIiEEEE10hipError_tPvRmT3_T4_T5_T6_T7_T9_mT8_P12ihipStream_tbDpT10_ENKUlT_T0_E_clISt17integral_constantIbLb1EES15_IbLb0EEEEDaS11_S12_EUlS11_E_NS1_11comp_targetILNS1_3genE10ELNS1_11target_archE1200ELNS1_3gpuE4ELNS1_3repE0EEENS1_30default_config_static_selectorELNS0_4arch9wavefront6targetE0EEEvT1_.has_indirect_call, 0
	.section	.AMDGPU.csdata,"",@progbits
; Kernel info:
; codeLenInByte = 4
; TotalNumSgprs: 0
; NumVgprs: 0
; ScratchSize: 0
; MemoryBound: 0
; FloatMode: 240
; IeeeMode: 1
; LDSByteSize: 0 bytes/workgroup (compile time only)
; SGPRBlocks: 0
; VGPRBlocks: 0
; NumSGPRsForWavesPerEU: 1
; NumVGPRsForWavesPerEU: 1
; Occupancy: 16
; WaveLimiterHint : 0
; COMPUTE_PGM_RSRC2:SCRATCH_EN: 0
; COMPUTE_PGM_RSRC2:USER_SGPR: 2
; COMPUTE_PGM_RSRC2:TRAP_HANDLER: 0
; COMPUTE_PGM_RSRC2:TGID_X_EN: 1
; COMPUTE_PGM_RSRC2:TGID_Y_EN: 0
; COMPUTE_PGM_RSRC2:TGID_Z_EN: 0
; COMPUTE_PGM_RSRC2:TIDIG_COMP_CNT: 0
	.section	.text._ZN7rocprim17ROCPRIM_400000_NS6detail17trampoline_kernelINS0_14default_configENS1_25partition_config_selectorILNS1_17partition_subalgoE6EiNS0_10empty_typeEbEEZZNS1_14partition_implILS5_6ELb0ES3_mN6thrust23THRUST_200600_302600_NS6detail15normal_iteratorINSA_10device_ptrIiEEEEPS6_SG_NS0_5tupleIJSF_S6_EEENSH_IJSG_SG_EEES6_PlJ6is_oddIiEEEE10hipError_tPvRmT3_T4_T5_T6_T7_T9_mT8_P12ihipStream_tbDpT10_ENKUlT_T0_E_clISt17integral_constantIbLb1EES15_IbLb0EEEEDaS11_S12_EUlS11_E_NS1_11comp_targetILNS1_3genE9ELNS1_11target_archE1100ELNS1_3gpuE3ELNS1_3repE0EEENS1_30default_config_static_selectorELNS0_4arch9wavefront6targetE0EEEvT1_,"axG",@progbits,_ZN7rocprim17ROCPRIM_400000_NS6detail17trampoline_kernelINS0_14default_configENS1_25partition_config_selectorILNS1_17partition_subalgoE6EiNS0_10empty_typeEbEEZZNS1_14partition_implILS5_6ELb0ES3_mN6thrust23THRUST_200600_302600_NS6detail15normal_iteratorINSA_10device_ptrIiEEEEPS6_SG_NS0_5tupleIJSF_S6_EEENSH_IJSG_SG_EEES6_PlJ6is_oddIiEEEE10hipError_tPvRmT3_T4_T5_T6_T7_T9_mT8_P12ihipStream_tbDpT10_ENKUlT_T0_E_clISt17integral_constantIbLb1EES15_IbLb0EEEEDaS11_S12_EUlS11_E_NS1_11comp_targetILNS1_3genE9ELNS1_11target_archE1100ELNS1_3gpuE3ELNS1_3repE0EEENS1_30default_config_static_selectorELNS0_4arch9wavefront6targetE0EEEvT1_,comdat
	.protected	_ZN7rocprim17ROCPRIM_400000_NS6detail17trampoline_kernelINS0_14default_configENS1_25partition_config_selectorILNS1_17partition_subalgoE6EiNS0_10empty_typeEbEEZZNS1_14partition_implILS5_6ELb0ES3_mN6thrust23THRUST_200600_302600_NS6detail15normal_iteratorINSA_10device_ptrIiEEEEPS6_SG_NS0_5tupleIJSF_S6_EEENSH_IJSG_SG_EEES6_PlJ6is_oddIiEEEE10hipError_tPvRmT3_T4_T5_T6_T7_T9_mT8_P12ihipStream_tbDpT10_ENKUlT_T0_E_clISt17integral_constantIbLb1EES15_IbLb0EEEEDaS11_S12_EUlS11_E_NS1_11comp_targetILNS1_3genE9ELNS1_11target_archE1100ELNS1_3gpuE3ELNS1_3repE0EEENS1_30default_config_static_selectorELNS0_4arch9wavefront6targetE0EEEvT1_ ; -- Begin function _ZN7rocprim17ROCPRIM_400000_NS6detail17trampoline_kernelINS0_14default_configENS1_25partition_config_selectorILNS1_17partition_subalgoE6EiNS0_10empty_typeEbEEZZNS1_14partition_implILS5_6ELb0ES3_mN6thrust23THRUST_200600_302600_NS6detail15normal_iteratorINSA_10device_ptrIiEEEEPS6_SG_NS0_5tupleIJSF_S6_EEENSH_IJSG_SG_EEES6_PlJ6is_oddIiEEEE10hipError_tPvRmT3_T4_T5_T6_T7_T9_mT8_P12ihipStream_tbDpT10_ENKUlT_T0_E_clISt17integral_constantIbLb1EES15_IbLb0EEEEDaS11_S12_EUlS11_E_NS1_11comp_targetILNS1_3genE9ELNS1_11target_archE1100ELNS1_3gpuE3ELNS1_3repE0EEENS1_30default_config_static_selectorELNS0_4arch9wavefront6targetE0EEEvT1_
	.globl	_ZN7rocprim17ROCPRIM_400000_NS6detail17trampoline_kernelINS0_14default_configENS1_25partition_config_selectorILNS1_17partition_subalgoE6EiNS0_10empty_typeEbEEZZNS1_14partition_implILS5_6ELb0ES3_mN6thrust23THRUST_200600_302600_NS6detail15normal_iteratorINSA_10device_ptrIiEEEEPS6_SG_NS0_5tupleIJSF_S6_EEENSH_IJSG_SG_EEES6_PlJ6is_oddIiEEEE10hipError_tPvRmT3_T4_T5_T6_T7_T9_mT8_P12ihipStream_tbDpT10_ENKUlT_T0_E_clISt17integral_constantIbLb1EES15_IbLb0EEEEDaS11_S12_EUlS11_E_NS1_11comp_targetILNS1_3genE9ELNS1_11target_archE1100ELNS1_3gpuE3ELNS1_3repE0EEENS1_30default_config_static_selectorELNS0_4arch9wavefront6targetE0EEEvT1_
	.p2align	8
	.type	_ZN7rocprim17ROCPRIM_400000_NS6detail17trampoline_kernelINS0_14default_configENS1_25partition_config_selectorILNS1_17partition_subalgoE6EiNS0_10empty_typeEbEEZZNS1_14partition_implILS5_6ELb0ES3_mN6thrust23THRUST_200600_302600_NS6detail15normal_iteratorINSA_10device_ptrIiEEEEPS6_SG_NS0_5tupleIJSF_S6_EEENSH_IJSG_SG_EEES6_PlJ6is_oddIiEEEE10hipError_tPvRmT3_T4_T5_T6_T7_T9_mT8_P12ihipStream_tbDpT10_ENKUlT_T0_E_clISt17integral_constantIbLb1EES15_IbLb0EEEEDaS11_S12_EUlS11_E_NS1_11comp_targetILNS1_3genE9ELNS1_11target_archE1100ELNS1_3gpuE3ELNS1_3repE0EEENS1_30default_config_static_selectorELNS0_4arch9wavefront6targetE0EEEvT1_,@function
_ZN7rocprim17ROCPRIM_400000_NS6detail17trampoline_kernelINS0_14default_configENS1_25partition_config_selectorILNS1_17partition_subalgoE6EiNS0_10empty_typeEbEEZZNS1_14partition_implILS5_6ELb0ES3_mN6thrust23THRUST_200600_302600_NS6detail15normal_iteratorINSA_10device_ptrIiEEEEPS6_SG_NS0_5tupleIJSF_S6_EEENSH_IJSG_SG_EEES6_PlJ6is_oddIiEEEE10hipError_tPvRmT3_T4_T5_T6_T7_T9_mT8_P12ihipStream_tbDpT10_ENKUlT_T0_E_clISt17integral_constantIbLb1EES15_IbLb0EEEEDaS11_S12_EUlS11_E_NS1_11comp_targetILNS1_3genE9ELNS1_11target_archE1100ELNS1_3gpuE3ELNS1_3repE0EEENS1_30default_config_static_selectorELNS0_4arch9wavefront6targetE0EEEvT1_: ; @_ZN7rocprim17ROCPRIM_400000_NS6detail17trampoline_kernelINS0_14default_configENS1_25partition_config_selectorILNS1_17partition_subalgoE6EiNS0_10empty_typeEbEEZZNS1_14partition_implILS5_6ELb0ES3_mN6thrust23THRUST_200600_302600_NS6detail15normal_iteratorINSA_10device_ptrIiEEEEPS6_SG_NS0_5tupleIJSF_S6_EEENSH_IJSG_SG_EEES6_PlJ6is_oddIiEEEE10hipError_tPvRmT3_T4_T5_T6_T7_T9_mT8_P12ihipStream_tbDpT10_ENKUlT_T0_E_clISt17integral_constantIbLb1EES15_IbLb0EEEEDaS11_S12_EUlS11_E_NS1_11comp_targetILNS1_3genE9ELNS1_11target_archE1100ELNS1_3gpuE3ELNS1_3repE0EEENS1_30default_config_static_selectorELNS0_4arch9wavefront6targetE0EEEvT1_
; %bb.0:
	.section	.rodata,"a",@progbits
	.p2align	6, 0x0
	.amdhsa_kernel _ZN7rocprim17ROCPRIM_400000_NS6detail17trampoline_kernelINS0_14default_configENS1_25partition_config_selectorILNS1_17partition_subalgoE6EiNS0_10empty_typeEbEEZZNS1_14partition_implILS5_6ELb0ES3_mN6thrust23THRUST_200600_302600_NS6detail15normal_iteratorINSA_10device_ptrIiEEEEPS6_SG_NS0_5tupleIJSF_S6_EEENSH_IJSG_SG_EEES6_PlJ6is_oddIiEEEE10hipError_tPvRmT3_T4_T5_T6_T7_T9_mT8_P12ihipStream_tbDpT10_ENKUlT_T0_E_clISt17integral_constantIbLb1EES15_IbLb0EEEEDaS11_S12_EUlS11_E_NS1_11comp_targetILNS1_3genE9ELNS1_11target_archE1100ELNS1_3gpuE3ELNS1_3repE0EEENS1_30default_config_static_selectorELNS0_4arch9wavefront6targetE0EEEvT1_
		.amdhsa_group_segment_fixed_size 0
		.amdhsa_private_segment_fixed_size 0
		.amdhsa_kernarg_size 112
		.amdhsa_user_sgpr_count 2
		.amdhsa_user_sgpr_dispatch_ptr 0
		.amdhsa_user_sgpr_queue_ptr 0
		.amdhsa_user_sgpr_kernarg_segment_ptr 1
		.amdhsa_user_sgpr_dispatch_id 0
		.amdhsa_user_sgpr_private_segment_size 0
		.amdhsa_wavefront_size32 1
		.amdhsa_uses_dynamic_stack 0
		.amdhsa_enable_private_segment 0
		.amdhsa_system_sgpr_workgroup_id_x 1
		.amdhsa_system_sgpr_workgroup_id_y 0
		.amdhsa_system_sgpr_workgroup_id_z 0
		.amdhsa_system_sgpr_workgroup_info 0
		.amdhsa_system_vgpr_workitem_id 0
		.amdhsa_next_free_vgpr 1
		.amdhsa_next_free_sgpr 1
		.amdhsa_reserve_vcc 0
		.amdhsa_float_round_mode_32 0
		.amdhsa_float_round_mode_16_64 0
		.amdhsa_float_denorm_mode_32 3
		.amdhsa_float_denorm_mode_16_64 3
		.amdhsa_fp16_overflow 0
		.amdhsa_workgroup_processor_mode 1
		.amdhsa_memory_ordered 1
		.amdhsa_forward_progress 1
		.amdhsa_inst_pref_size 0
		.amdhsa_round_robin_scheduling 0
		.amdhsa_exception_fp_ieee_invalid_op 0
		.amdhsa_exception_fp_denorm_src 0
		.amdhsa_exception_fp_ieee_div_zero 0
		.amdhsa_exception_fp_ieee_overflow 0
		.amdhsa_exception_fp_ieee_underflow 0
		.amdhsa_exception_fp_ieee_inexact 0
		.amdhsa_exception_int_div_zero 0
	.end_amdhsa_kernel
	.section	.text._ZN7rocprim17ROCPRIM_400000_NS6detail17trampoline_kernelINS0_14default_configENS1_25partition_config_selectorILNS1_17partition_subalgoE6EiNS0_10empty_typeEbEEZZNS1_14partition_implILS5_6ELb0ES3_mN6thrust23THRUST_200600_302600_NS6detail15normal_iteratorINSA_10device_ptrIiEEEEPS6_SG_NS0_5tupleIJSF_S6_EEENSH_IJSG_SG_EEES6_PlJ6is_oddIiEEEE10hipError_tPvRmT3_T4_T5_T6_T7_T9_mT8_P12ihipStream_tbDpT10_ENKUlT_T0_E_clISt17integral_constantIbLb1EES15_IbLb0EEEEDaS11_S12_EUlS11_E_NS1_11comp_targetILNS1_3genE9ELNS1_11target_archE1100ELNS1_3gpuE3ELNS1_3repE0EEENS1_30default_config_static_selectorELNS0_4arch9wavefront6targetE0EEEvT1_,"axG",@progbits,_ZN7rocprim17ROCPRIM_400000_NS6detail17trampoline_kernelINS0_14default_configENS1_25partition_config_selectorILNS1_17partition_subalgoE6EiNS0_10empty_typeEbEEZZNS1_14partition_implILS5_6ELb0ES3_mN6thrust23THRUST_200600_302600_NS6detail15normal_iteratorINSA_10device_ptrIiEEEEPS6_SG_NS0_5tupleIJSF_S6_EEENSH_IJSG_SG_EEES6_PlJ6is_oddIiEEEE10hipError_tPvRmT3_T4_T5_T6_T7_T9_mT8_P12ihipStream_tbDpT10_ENKUlT_T0_E_clISt17integral_constantIbLb1EES15_IbLb0EEEEDaS11_S12_EUlS11_E_NS1_11comp_targetILNS1_3genE9ELNS1_11target_archE1100ELNS1_3gpuE3ELNS1_3repE0EEENS1_30default_config_static_selectorELNS0_4arch9wavefront6targetE0EEEvT1_,comdat
.Lfunc_end36:
	.size	_ZN7rocprim17ROCPRIM_400000_NS6detail17trampoline_kernelINS0_14default_configENS1_25partition_config_selectorILNS1_17partition_subalgoE6EiNS0_10empty_typeEbEEZZNS1_14partition_implILS5_6ELb0ES3_mN6thrust23THRUST_200600_302600_NS6detail15normal_iteratorINSA_10device_ptrIiEEEEPS6_SG_NS0_5tupleIJSF_S6_EEENSH_IJSG_SG_EEES6_PlJ6is_oddIiEEEE10hipError_tPvRmT3_T4_T5_T6_T7_T9_mT8_P12ihipStream_tbDpT10_ENKUlT_T0_E_clISt17integral_constantIbLb1EES15_IbLb0EEEEDaS11_S12_EUlS11_E_NS1_11comp_targetILNS1_3genE9ELNS1_11target_archE1100ELNS1_3gpuE3ELNS1_3repE0EEENS1_30default_config_static_selectorELNS0_4arch9wavefront6targetE0EEEvT1_, .Lfunc_end36-_ZN7rocprim17ROCPRIM_400000_NS6detail17trampoline_kernelINS0_14default_configENS1_25partition_config_selectorILNS1_17partition_subalgoE6EiNS0_10empty_typeEbEEZZNS1_14partition_implILS5_6ELb0ES3_mN6thrust23THRUST_200600_302600_NS6detail15normal_iteratorINSA_10device_ptrIiEEEEPS6_SG_NS0_5tupleIJSF_S6_EEENSH_IJSG_SG_EEES6_PlJ6is_oddIiEEEE10hipError_tPvRmT3_T4_T5_T6_T7_T9_mT8_P12ihipStream_tbDpT10_ENKUlT_T0_E_clISt17integral_constantIbLb1EES15_IbLb0EEEEDaS11_S12_EUlS11_E_NS1_11comp_targetILNS1_3genE9ELNS1_11target_archE1100ELNS1_3gpuE3ELNS1_3repE0EEENS1_30default_config_static_selectorELNS0_4arch9wavefront6targetE0EEEvT1_
                                        ; -- End function
	.set _ZN7rocprim17ROCPRIM_400000_NS6detail17trampoline_kernelINS0_14default_configENS1_25partition_config_selectorILNS1_17partition_subalgoE6EiNS0_10empty_typeEbEEZZNS1_14partition_implILS5_6ELb0ES3_mN6thrust23THRUST_200600_302600_NS6detail15normal_iteratorINSA_10device_ptrIiEEEEPS6_SG_NS0_5tupleIJSF_S6_EEENSH_IJSG_SG_EEES6_PlJ6is_oddIiEEEE10hipError_tPvRmT3_T4_T5_T6_T7_T9_mT8_P12ihipStream_tbDpT10_ENKUlT_T0_E_clISt17integral_constantIbLb1EES15_IbLb0EEEEDaS11_S12_EUlS11_E_NS1_11comp_targetILNS1_3genE9ELNS1_11target_archE1100ELNS1_3gpuE3ELNS1_3repE0EEENS1_30default_config_static_selectorELNS0_4arch9wavefront6targetE0EEEvT1_.num_vgpr, 0
	.set _ZN7rocprim17ROCPRIM_400000_NS6detail17trampoline_kernelINS0_14default_configENS1_25partition_config_selectorILNS1_17partition_subalgoE6EiNS0_10empty_typeEbEEZZNS1_14partition_implILS5_6ELb0ES3_mN6thrust23THRUST_200600_302600_NS6detail15normal_iteratorINSA_10device_ptrIiEEEEPS6_SG_NS0_5tupleIJSF_S6_EEENSH_IJSG_SG_EEES6_PlJ6is_oddIiEEEE10hipError_tPvRmT3_T4_T5_T6_T7_T9_mT8_P12ihipStream_tbDpT10_ENKUlT_T0_E_clISt17integral_constantIbLb1EES15_IbLb0EEEEDaS11_S12_EUlS11_E_NS1_11comp_targetILNS1_3genE9ELNS1_11target_archE1100ELNS1_3gpuE3ELNS1_3repE0EEENS1_30default_config_static_selectorELNS0_4arch9wavefront6targetE0EEEvT1_.num_agpr, 0
	.set _ZN7rocprim17ROCPRIM_400000_NS6detail17trampoline_kernelINS0_14default_configENS1_25partition_config_selectorILNS1_17partition_subalgoE6EiNS0_10empty_typeEbEEZZNS1_14partition_implILS5_6ELb0ES3_mN6thrust23THRUST_200600_302600_NS6detail15normal_iteratorINSA_10device_ptrIiEEEEPS6_SG_NS0_5tupleIJSF_S6_EEENSH_IJSG_SG_EEES6_PlJ6is_oddIiEEEE10hipError_tPvRmT3_T4_T5_T6_T7_T9_mT8_P12ihipStream_tbDpT10_ENKUlT_T0_E_clISt17integral_constantIbLb1EES15_IbLb0EEEEDaS11_S12_EUlS11_E_NS1_11comp_targetILNS1_3genE9ELNS1_11target_archE1100ELNS1_3gpuE3ELNS1_3repE0EEENS1_30default_config_static_selectorELNS0_4arch9wavefront6targetE0EEEvT1_.numbered_sgpr, 0
	.set _ZN7rocprim17ROCPRIM_400000_NS6detail17trampoline_kernelINS0_14default_configENS1_25partition_config_selectorILNS1_17partition_subalgoE6EiNS0_10empty_typeEbEEZZNS1_14partition_implILS5_6ELb0ES3_mN6thrust23THRUST_200600_302600_NS6detail15normal_iteratorINSA_10device_ptrIiEEEEPS6_SG_NS0_5tupleIJSF_S6_EEENSH_IJSG_SG_EEES6_PlJ6is_oddIiEEEE10hipError_tPvRmT3_T4_T5_T6_T7_T9_mT8_P12ihipStream_tbDpT10_ENKUlT_T0_E_clISt17integral_constantIbLb1EES15_IbLb0EEEEDaS11_S12_EUlS11_E_NS1_11comp_targetILNS1_3genE9ELNS1_11target_archE1100ELNS1_3gpuE3ELNS1_3repE0EEENS1_30default_config_static_selectorELNS0_4arch9wavefront6targetE0EEEvT1_.num_named_barrier, 0
	.set _ZN7rocprim17ROCPRIM_400000_NS6detail17trampoline_kernelINS0_14default_configENS1_25partition_config_selectorILNS1_17partition_subalgoE6EiNS0_10empty_typeEbEEZZNS1_14partition_implILS5_6ELb0ES3_mN6thrust23THRUST_200600_302600_NS6detail15normal_iteratorINSA_10device_ptrIiEEEEPS6_SG_NS0_5tupleIJSF_S6_EEENSH_IJSG_SG_EEES6_PlJ6is_oddIiEEEE10hipError_tPvRmT3_T4_T5_T6_T7_T9_mT8_P12ihipStream_tbDpT10_ENKUlT_T0_E_clISt17integral_constantIbLb1EES15_IbLb0EEEEDaS11_S12_EUlS11_E_NS1_11comp_targetILNS1_3genE9ELNS1_11target_archE1100ELNS1_3gpuE3ELNS1_3repE0EEENS1_30default_config_static_selectorELNS0_4arch9wavefront6targetE0EEEvT1_.private_seg_size, 0
	.set _ZN7rocprim17ROCPRIM_400000_NS6detail17trampoline_kernelINS0_14default_configENS1_25partition_config_selectorILNS1_17partition_subalgoE6EiNS0_10empty_typeEbEEZZNS1_14partition_implILS5_6ELb0ES3_mN6thrust23THRUST_200600_302600_NS6detail15normal_iteratorINSA_10device_ptrIiEEEEPS6_SG_NS0_5tupleIJSF_S6_EEENSH_IJSG_SG_EEES6_PlJ6is_oddIiEEEE10hipError_tPvRmT3_T4_T5_T6_T7_T9_mT8_P12ihipStream_tbDpT10_ENKUlT_T0_E_clISt17integral_constantIbLb1EES15_IbLb0EEEEDaS11_S12_EUlS11_E_NS1_11comp_targetILNS1_3genE9ELNS1_11target_archE1100ELNS1_3gpuE3ELNS1_3repE0EEENS1_30default_config_static_selectorELNS0_4arch9wavefront6targetE0EEEvT1_.uses_vcc, 0
	.set _ZN7rocprim17ROCPRIM_400000_NS6detail17trampoline_kernelINS0_14default_configENS1_25partition_config_selectorILNS1_17partition_subalgoE6EiNS0_10empty_typeEbEEZZNS1_14partition_implILS5_6ELb0ES3_mN6thrust23THRUST_200600_302600_NS6detail15normal_iteratorINSA_10device_ptrIiEEEEPS6_SG_NS0_5tupleIJSF_S6_EEENSH_IJSG_SG_EEES6_PlJ6is_oddIiEEEE10hipError_tPvRmT3_T4_T5_T6_T7_T9_mT8_P12ihipStream_tbDpT10_ENKUlT_T0_E_clISt17integral_constantIbLb1EES15_IbLb0EEEEDaS11_S12_EUlS11_E_NS1_11comp_targetILNS1_3genE9ELNS1_11target_archE1100ELNS1_3gpuE3ELNS1_3repE0EEENS1_30default_config_static_selectorELNS0_4arch9wavefront6targetE0EEEvT1_.uses_flat_scratch, 0
	.set _ZN7rocprim17ROCPRIM_400000_NS6detail17trampoline_kernelINS0_14default_configENS1_25partition_config_selectorILNS1_17partition_subalgoE6EiNS0_10empty_typeEbEEZZNS1_14partition_implILS5_6ELb0ES3_mN6thrust23THRUST_200600_302600_NS6detail15normal_iteratorINSA_10device_ptrIiEEEEPS6_SG_NS0_5tupleIJSF_S6_EEENSH_IJSG_SG_EEES6_PlJ6is_oddIiEEEE10hipError_tPvRmT3_T4_T5_T6_T7_T9_mT8_P12ihipStream_tbDpT10_ENKUlT_T0_E_clISt17integral_constantIbLb1EES15_IbLb0EEEEDaS11_S12_EUlS11_E_NS1_11comp_targetILNS1_3genE9ELNS1_11target_archE1100ELNS1_3gpuE3ELNS1_3repE0EEENS1_30default_config_static_selectorELNS0_4arch9wavefront6targetE0EEEvT1_.has_dyn_sized_stack, 0
	.set _ZN7rocprim17ROCPRIM_400000_NS6detail17trampoline_kernelINS0_14default_configENS1_25partition_config_selectorILNS1_17partition_subalgoE6EiNS0_10empty_typeEbEEZZNS1_14partition_implILS5_6ELb0ES3_mN6thrust23THRUST_200600_302600_NS6detail15normal_iteratorINSA_10device_ptrIiEEEEPS6_SG_NS0_5tupleIJSF_S6_EEENSH_IJSG_SG_EEES6_PlJ6is_oddIiEEEE10hipError_tPvRmT3_T4_T5_T6_T7_T9_mT8_P12ihipStream_tbDpT10_ENKUlT_T0_E_clISt17integral_constantIbLb1EES15_IbLb0EEEEDaS11_S12_EUlS11_E_NS1_11comp_targetILNS1_3genE9ELNS1_11target_archE1100ELNS1_3gpuE3ELNS1_3repE0EEENS1_30default_config_static_selectorELNS0_4arch9wavefront6targetE0EEEvT1_.has_recursion, 0
	.set _ZN7rocprim17ROCPRIM_400000_NS6detail17trampoline_kernelINS0_14default_configENS1_25partition_config_selectorILNS1_17partition_subalgoE6EiNS0_10empty_typeEbEEZZNS1_14partition_implILS5_6ELb0ES3_mN6thrust23THRUST_200600_302600_NS6detail15normal_iteratorINSA_10device_ptrIiEEEEPS6_SG_NS0_5tupleIJSF_S6_EEENSH_IJSG_SG_EEES6_PlJ6is_oddIiEEEE10hipError_tPvRmT3_T4_T5_T6_T7_T9_mT8_P12ihipStream_tbDpT10_ENKUlT_T0_E_clISt17integral_constantIbLb1EES15_IbLb0EEEEDaS11_S12_EUlS11_E_NS1_11comp_targetILNS1_3genE9ELNS1_11target_archE1100ELNS1_3gpuE3ELNS1_3repE0EEENS1_30default_config_static_selectorELNS0_4arch9wavefront6targetE0EEEvT1_.has_indirect_call, 0
	.section	.AMDGPU.csdata,"",@progbits
; Kernel info:
; codeLenInByte = 0
; TotalNumSgprs: 0
; NumVgprs: 0
; ScratchSize: 0
; MemoryBound: 0
; FloatMode: 240
; IeeeMode: 1
; LDSByteSize: 0 bytes/workgroup (compile time only)
; SGPRBlocks: 0
; VGPRBlocks: 0
; NumSGPRsForWavesPerEU: 1
; NumVGPRsForWavesPerEU: 1
; Occupancy: 16
; WaveLimiterHint : 0
; COMPUTE_PGM_RSRC2:SCRATCH_EN: 0
; COMPUTE_PGM_RSRC2:USER_SGPR: 2
; COMPUTE_PGM_RSRC2:TRAP_HANDLER: 0
; COMPUTE_PGM_RSRC2:TGID_X_EN: 1
; COMPUTE_PGM_RSRC2:TGID_Y_EN: 0
; COMPUTE_PGM_RSRC2:TGID_Z_EN: 0
; COMPUTE_PGM_RSRC2:TIDIG_COMP_CNT: 0
	.section	.text._ZN7rocprim17ROCPRIM_400000_NS6detail17trampoline_kernelINS0_14default_configENS1_25partition_config_selectorILNS1_17partition_subalgoE6EiNS0_10empty_typeEbEEZZNS1_14partition_implILS5_6ELb0ES3_mN6thrust23THRUST_200600_302600_NS6detail15normal_iteratorINSA_10device_ptrIiEEEEPS6_SG_NS0_5tupleIJSF_S6_EEENSH_IJSG_SG_EEES6_PlJ6is_oddIiEEEE10hipError_tPvRmT3_T4_T5_T6_T7_T9_mT8_P12ihipStream_tbDpT10_ENKUlT_T0_E_clISt17integral_constantIbLb1EES15_IbLb0EEEEDaS11_S12_EUlS11_E_NS1_11comp_targetILNS1_3genE8ELNS1_11target_archE1030ELNS1_3gpuE2ELNS1_3repE0EEENS1_30default_config_static_selectorELNS0_4arch9wavefront6targetE0EEEvT1_,"axG",@progbits,_ZN7rocprim17ROCPRIM_400000_NS6detail17trampoline_kernelINS0_14default_configENS1_25partition_config_selectorILNS1_17partition_subalgoE6EiNS0_10empty_typeEbEEZZNS1_14partition_implILS5_6ELb0ES3_mN6thrust23THRUST_200600_302600_NS6detail15normal_iteratorINSA_10device_ptrIiEEEEPS6_SG_NS0_5tupleIJSF_S6_EEENSH_IJSG_SG_EEES6_PlJ6is_oddIiEEEE10hipError_tPvRmT3_T4_T5_T6_T7_T9_mT8_P12ihipStream_tbDpT10_ENKUlT_T0_E_clISt17integral_constantIbLb1EES15_IbLb0EEEEDaS11_S12_EUlS11_E_NS1_11comp_targetILNS1_3genE8ELNS1_11target_archE1030ELNS1_3gpuE2ELNS1_3repE0EEENS1_30default_config_static_selectorELNS0_4arch9wavefront6targetE0EEEvT1_,comdat
	.protected	_ZN7rocprim17ROCPRIM_400000_NS6detail17trampoline_kernelINS0_14default_configENS1_25partition_config_selectorILNS1_17partition_subalgoE6EiNS0_10empty_typeEbEEZZNS1_14partition_implILS5_6ELb0ES3_mN6thrust23THRUST_200600_302600_NS6detail15normal_iteratorINSA_10device_ptrIiEEEEPS6_SG_NS0_5tupleIJSF_S6_EEENSH_IJSG_SG_EEES6_PlJ6is_oddIiEEEE10hipError_tPvRmT3_T4_T5_T6_T7_T9_mT8_P12ihipStream_tbDpT10_ENKUlT_T0_E_clISt17integral_constantIbLb1EES15_IbLb0EEEEDaS11_S12_EUlS11_E_NS1_11comp_targetILNS1_3genE8ELNS1_11target_archE1030ELNS1_3gpuE2ELNS1_3repE0EEENS1_30default_config_static_selectorELNS0_4arch9wavefront6targetE0EEEvT1_ ; -- Begin function _ZN7rocprim17ROCPRIM_400000_NS6detail17trampoline_kernelINS0_14default_configENS1_25partition_config_selectorILNS1_17partition_subalgoE6EiNS0_10empty_typeEbEEZZNS1_14partition_implILS5_6ELb0ES3_mN6thrust23THRUST_200600_302600_NS6detail15normal_iteratorINSA_10device_ptrIiEEEEPS6_SG_NS0_5tupleIJSF_S6_EEENSH_IJSG_SG_EEES6_PlJ6is_oddIiEEEE10hipError_tPvRmT3_T4_T5_T6_T7_T9_mT8_P12ihipStream_tbDpT10_ENKUlT_T0_E_clISt17integral_constantIbLb1EES15_IbLb0EEEEDaS11_S12_EUlS11_E_NS1_11comp_targetILNS1_3genE8ELNS1_11target_archE1030ELNS1_3gpuE2ELNS1_3repE0EEENS1_30default_config_static_selectorELNS0_4arch9wavefront6targetE0EEEvT1_
	.globl	_ZN7rocprim17ROCPRIM_400000_NS6detail17trampoline_kernelINS0_14default_configENS1_25partition_config_selectorILNS1_17partition_subalgoE6EiNS0_10empty_typeEbEEZZNS1_14partition_implILS5_6ELb0ES3_mN6thrust23THRUST_200600_302600_NS6detail15normal_iteratorINSA_10device_ptrIiEEEEPS6_SG_NS0_5tupleIJSF_S6_EEENSH_IJSG_SG_EEES6_PlJ6is_oddIiEEEE10hipError_tPvRmT3_T4_T5_T6_T7_T9_mT8_P12ihipStream_tbDpT10_ENKUlT_T0_E_clISt17integral_constantIbLb1EES15_IbLb0EEEEDaS11_S12_EUlS11_E_NS1_11comp_targetILNS1_3genE8ELNS1_11target_archE1030ELNS1_3gpuE2ELNS1_3repE0EEENS1_30default_config_static_selectorELNS0_4arch9wavefront6targetE0EEEvT1_
	.p2align	8
	.type	_ZN7rocprim17ROCPRIM_400000_NS6detail17trampoline_kernelINS0_14default_configENS1_25partition_config_selectorILNS1_17partition_subalgoE6EiNS0_10empty_typeEbEEZZNS1_14partition_implILS5_6ELb0ES3_mN6thrust23THRUST_200600_302600_NS6detail15normal_iteratorINSA_10device_ptrIiEEEEPS6_SG_NS0_5tupleIJSF_S6_EEENSH_IJSG_SG_EEES6_PlJ6is_oddIiEEEE10hipError_tPvRmT3_T4_T5_T6_T7_T9_mT8_P12ihipStream_tbDpT10_ENKUlT_T0_E_clISt17integral_constantIbLb1EES15_IbLb0EEEEDaS11_S12_EUlS11_E_NS1_11comp_targetILNS1_3genE8ELNS1_11target_archE1030ELNS1_3gpuE2ELNS1_3repE0EEENS1_30default_config_static_selectorELNS0_4arch9wavefront6targetE0EEEvT1_,@function
_ZN7rocprim17ROCPRIM_400000_NS6detail17trampoline_kernelINS0_14default_configENS1_25partition_config_selectorILNS1_17partition_subalgoE6EiNS0_10empty_typeEbEEZZNS1_14partition_implILS5_6ELb0ES3_mN6thrust23THRUST_200600_302600_NS6detail15normal_iteratorINSA_10device_ptrIiEEEEPS6_SG_NS0_5tupleIJSF_S6_EEENSH_IJSG_SG_EEES6_PlJ6is_oddIiEEEE10hipError_tPvRmT3_T4_T5_T6_T7_T9_mT8_P12ihipStream_tbDpT10_ENKUlT_T0_E_clISt17integral_constantIbLb1EES15_IbLb0EEEEDaS11_S12_EUlS11_E_NS1_11comp_targetILNS1_3genE8ELNS1_11target_archE1030ELNS1_3gpuE2ELNS1_3repE0EEENS1_30default_config_static_selectorELNS0_4arch9wavefront6targetE0EEEvT1_: ; @_ZN7rocprim17ROCPRIM_400000_NS6detail17trampoline_kernelINS0_14default_configENS1_25partition_config_selectorILNS1_17partition_subalgoE6EiNS0_10empty_typeEbEEZZNS1_14partition_implILS5_6ELb0ES3_mN6thrust23THRUST_200600_302600_NS6detail15normal_iteratorINSA_10device_ptrIiEEEEPS6_SG_NS0_5tupleIJSF_S6_EEENSH_IJSG_SG_EEES6_PlJ6is_oddIiEEEE10hipError_tPvRmT3_T4_T5_T6_T7_T9_mT8_P12ihipStream_tbDpT10_ENKUlT_T0_E_clISt17integral_constantIbLb1EES15_IbLb0EEEEDaS11_S12_EUlS11_E_NS1_11comp_targetILNS1_3genE8ELNS1_11target_archE1030ELNS1_3gpuE2ELNS1_3repE0EEENS1_30default_config_static_selectorELNS0_4arch9wavefront6targetE0EEEvT1_
; %bb.0:
	.section	.rodata,"a",@progbits
	.p2align	6, 0x0
	.amdhsa_kernel _ZN7rocprim17ROCPRIM_400000_NS6detail17trampoline_kernelINS0_14default_configENS1_25partition_config_selectorILNS1_17partition_subalgoE6EiNS0_10empty_typeEbEEZZNS1_14partition_implILS5_6ELb0ES3_mN6thrust23THRUST_200600_302600_NS6detail15normal_iteratorINSA_10device_ptrIiEEEEPS6_SG_NS0_5tupleIJSF_S6_EEENSH_IJSG_SG_EEES6_PlJ6is_oddIiEEEE10hipError_tPvRmT3_T4_T5_T6_T7_T9_mT8_P12ihipStream_tbDpT10_ENKUlT_T0_E_clISt17integral_constantIbLb1EES15_IbLb0EEEEDaS11_S12_EUlS11_E_NS1_11comp_targetILNS1_3genE8ELNS1_11target_archE1030ELNS1_3gpuE2ELNS1_3repE0EEENS1_30default_config_static_selectorELNS0_4arch9wavefront6targetE0EEEvT1_
		.amdhsa_group_segment_fixed_size 0
		.amdhsa_private_segment_fixed_size 0
		.amdhsa_kernarg_size 112
		.amdhsa_user_sgpr_count 2
		.amdhsa_user_sgpr_dispatch_ptr 0
		.amdhsa_user_sgpr_queue_ptr 0
		.amdhsa_user_sgpr_kernarg_segment_ptr 1
		.amdhsa_user_sgpr_dispatch_id 0
		.amdhsa_user_sgpr_private_segment_size 0
		.amdhsa_wavefront_size32 1
		.amdhsa_uses_dynamic_stack 0
		.amdhsa_enable_private_segment 0
		.amdhsa_system_sgpr_workgroup_id_x 1
		.amdhsa_system_sgpr_workgroup_id_y 0
		.amdhsa_system_sgpr_workgroup_id_z 0
		.amdhsa_system_sgpr_workgroup_info 0
		.amdhsa_system_vgpr_workitem_id 0
		.amdhsa_next_free_vgpr 1
		.amdhsa_next_free_sgpr 1
		.amdhsa_reserve_vcc 0
		.amdhsa_float_round_mode_32 0
		.amdhsa_float_round_mode_16_64 0
		.amdhsa_float_denorm_mode_32 3
		.amdhsa_float_denorm_mode_16_64 3
		.amdhsa_fp16_overflow 0
		.amdhsa_workgroup_processor_mode 1
		.amdhsa_memory_ordered 1
		.amdhsa_forward_progress 1
		.amdhsa_inst_pref_size 0
		.amdhsa_round_robin_scheduling 0
		.amdhsa_exception_fp_ieee_invalid_op 0
		.amdhsa_exception_fp_denorm_src 0
		.amdhsa_exception_fp_ieee_div_zero 0
		.amdhsa_exception_fp_ieee_overflow 0
		.amdhsa_exception_fp_ieee_underflow 0
		.amdhsa_exception_fp_ieee_inexact 0
		.amdhsa_exception_int_div_zero 0
	.end_amdhsa_kernel
	.section	.text._ZN7rocprim17ROCPRIM_400000_NS6detail17trampoline_kernelINS0_14default_configENS1_25partition_config_selectorILNS1_17partition_subalgoE6EiNS0_10empty_typeEbEEZZNS1_14partition_implILS5_6ELb0ES3_mN6thrust23THRUST_200600_302600_NS6detail15normal_iteratorINSA_10device_ptrIiEEEEPS6_SG_NS0_5tupleIJSF_S6_EEENSH_IJSG_SG_EEES6_PlJ6is_oddIiEEEE10hipError_tPvRmT3_T4_T5_T6_T7_T9_mT8_P12ihipStream_tbDpT10_ENKUlT_T0_E_clISt17integral_constantIbLb1EES15_IbLb0EEEEDaS11_S12_EUlS11_E_NS1_11comp_targetILNS1_3genE8ELNS1_11target_archE1030ELNS1_3gpuE2ELNS1_3repE0EEENS1_30default_config_static_selectorELNS0_4arch9wavefront6targetE0EEEvT1_,"axG",@progbits,_ZN7rocprim17ROCPRIM_400000_NS6detail17trampoline_kernelINS0_14default_configENS1_25partition_config_selectorILNS1_17partition_subalgoE6EiNS0_10empty_typeEbEEZZNS1_14partition_implILS5_6ELb0ES3_mN6thrust23THRUST_200600_302600_NS6detail15normal_iteratorINSA_10device_ptrIiEEEEPS6_SG_NS0_5tupleIJSF_S6_EEENSH_IJSG_SG_EEES6_PlJ6is_oddIiEEEE10hipError_tPvRmT3_T4_T5_T6_T7_T9_mT8_P12ihipStream_tbDpT10_ENKUlT_T0_E_clISt17integral_constantIbLb1EES15_IbLb0EEEEDaS11_S12_EUlS11_E_NS1_11comp_targetILNS1_3genE8ELNS1_11target_archE1030ELNS1_3gpuE2ELNS1_3repE0EEENS1_30default_config_static_selectorELNS0_4arch9wavefront6targetE0EEEvT1_,comdat
.Lfunc_end37:
	.size	_ZN7rocprim17ROCPRIM_400000_NS6detail17trampoline_kernelINS0_14default_configENS1_25partition_config_selectorILNS1_17partition_subalgoE6EiNS0_10empty_typeEbEEZZNS1_14partition_implILS5_6ELb0ES3_mN6thrust23THRUST_200600_302600_NS6detail15normal_iteratorINSA_10device_ptrIiEEEEPS6_SG_NS0_5tupleIJSF_S6_EEENSH_IJSG_SG_EEES6_PlJ6is_oddIiEEEE10hipError_tPvRmT3_T4_T5_T6_T7_T9_mT8_P12ihipStream_tbDpT10_ENKUlT_T0_E_clISt17integral_constantIbLb1EES15_IbLb0EEEEDaS11_S12_EUlS11_E_NS1_11comp_targetILNS1_3genE8ELNS1_11target_archE1030ELNS1_3gpuE2ELNS1_3repE0EEENS1_30default_config_static_selectorELNS0_4arch9wavefront6targetE0EEEvT1_, .Lfunc_end37-_ZN7rocprim17ROCPRIM_400000_NS6detail17trampoline_kernelINS0_14default_configENS1_25partition_config_selectorILNS1_17partition_subalgoE6EiNS0_10empty_typeEbEEZZNS1_14partition_implILS5_6ELb0ES3_mN6thrust23THRUST_200600_302600_NS6detail15normal_iteratorINSA_10device_ptrIiEEEEPS6_SG_NS0_5tupleIJSF_S6_EEENSH_IJSG_SG_EEES6_PlJ6is_oddIiEEEE10hipError_tPvRmT3_T4_T5_T6_T7_T9_mT8_P12ihipStream_tbDpT10_ENKUlT_T0_E_clISt17integral_constantIbLb1EES15_IbLb0EEEEDaS11_S12_EUlS11_E_NS1_11comp_targetILNS1_3genE8ELNS1_11target_archE1030ELNS1_3gpuE2ELNS1_3repE0EEENS1_30default_config_static_selectorELNS0_4arch9wavefront6targetE0EEEvT1_
                                        ; -- End function
	.set _ZN7rocprim17ROCPRIM_400000_NS6detail17trampoline_kernelINS0_14default_configENS1_25partition_config_selectorILNS1_17partition_subalgoE6EiNS0_10empty_typeEbEEZZNS1_14partition_implILS5_6ELb0ES3_mN6thrust23THRUST_200600_302600_NS6detail15normal_iteratorINSA_10device_ptrIiEEEEPS6_SG_NS0_5tupleIJSF_S6_EEENSH_IJSG_SG_EEES6_PlJ6is_oddIiEEEE10hipError_tPvRmT3_T4_T5_T6_T7_T9_mT8_P12ihipStream_tbDpT10_ENKUlT_T0_E_clISt17integral_constantIbLb1EES15_IbLb0EEEEDaS11_S12_EUlS11_E_NS1_11comp_targetILNS1_3genE8ELNS1_11target_archE1030ELNS1_3gpuE2ELNS1_3repE0EEENS1_30default_config_static_selectorELNS0_4arch9wavefront6targetE0EEEvT1_.num_vgpr, 0
	.set _ZN7rocprim17ROCPRIM_400000_NS6detail17trampoline_kernelINS0_14default_configENS1_25partition_config_selectorILNS1_17partition_subalgoE6EiNS0_10empty_typeEbEEZZNS1_14partition_implILS5_6ELb0ES3_mN6thrust23THRUST_200600_302600_NS6detail15normal_iteratorINSA_10device_ptrIiEEEEPS6_SG_NS0_5tupleIJSF_S6_EEENSH_IJSG_SG_EEES6_PlJ6is_oddIiEEEE10hipError_tPvRmT3_T4_T5_T6_T7_T9_mT8_P12ihipStream_tbDpT10_ENKUlT_T0_E_clISt17integral_constantIbLb1EES15_IbLb0EEEEDaS11_S12_EUlS11_E_NS1_11comp_targetILNS1_3genE8ELNS1_11target_archE1030ELNS1_3gpuE2ELNS1_3repE0EEENS1_30default_config_static_selectorELNS0_4arch9wavefront6targetE0EEEvT1_.num_agpr, 0
	.set _ZN7rocprim17ROCPRIM_400000_NS6detail17trampoline_kernelINS0_14default_configENS1_25partition_config_selectorILNS1_17partition_subalgoE6EiNS0_10empty_typeEbEEZZNS1_14partition_implILS5_6ELb0ES3_mN6thrust23THRUST_200600_302600_NS6detail15normal_iteratorINSA_10device_ptrIiEEEEPS6_SG_NS0_5tupleIJSF_S6_EEENSH_IJSG_SG_EEES6_PlJ6is_oddIiEEEE10hipError_tPvRmT3_T4_T5_T6_T7_T9_mT8_P12ihipStream_tbDpT10_ENKUlT_T0_E_clISt17integral_constantIbLb1EES15_IbLb0EEEEDaS11_S12_EUlS11_E_NS1_11comp_targetILNS1_3genE8ELNS1_11target_archE1030ELNS1_3gpuE2ELNS1_3repE0EEENS1_30default_config_static_selectorELNS0_4arch9wavefront6targetE0EEEvT1_.numbered_sgpr, 0
	.set _ZN7rocprim17ROCPRIM_400000_NS6detail17trampoline_kernelINS0_14default_configENS1_25partition_config_selectorILNS1_17partition_subalgoE6EiNS0_10empty_typeEbEEZZNS1_14partition_implILS5_6ELb0ES3_mN6thrust23THRUST_200600_302600_NS6detail15normal_iteratorINSA_10device_ptrIiEEEEPS6_SG_NS0_5tupleIJSF_S6_EEENSH_IJSG_SG_EEES6_PlJ6is_oddIiEEEE10hipError_tPvRmT3_T4_T5_T6_T7_T9_mT8_P12ihipStream_tbDpT10_ENKUlT_T0_E_clISt17integral_constantIbLb1EES15_IbLb0EEEEDaS11_S12_EUlS11_E_NS1_11comp_targetILNS1_3genE8ELNS1_11target_archE1030ELNS1_3gpuE2ELNS1_3repE0EEENS1_30default_config_static_selectorELNS0_4arch9wavefront6targetE0EEEvT1_.num_named_barrier, 0
	.set _ZN7rocprim17ROCPRIM_400000_NS6detail17trampoline_kernelINS0_14default_configENS1_25partition_config_selectorILNS1_17partition_subalgoE6EiNS0_10empty_typeEbEEZZNS1_14partition_implILS5_6ELb0ES3_mN6thrust23THRUST_200600_302600_NS6detail15normal_iteratorINSA_10device_ptrIiEEEEPS6_SG_NS0_5tupleIJSF_S6_EEENSH_IJSG_SG_EEES6_PlJ6is_oddIiEEEE10hipError_tPvRmT3_T4_T5_T6_T7_T9_mT8_P12ihipStream_tbDpT10_ENKUlT_T0_E_clISt17integral_constantIbLb1EES15_IbLb0EEEEDaS11_S12_EUlS11_E_NS1_11comp_targetILNS1_3genE8ELNS1_11target_archE1030ELNS1_3gpuE2ELNS1_3repE0EEENS1_30default_config_static_selectorELNS0_4arch9wavefront6targetE0EEEvT1_.private_seg_size, 0
	.set _ZN7rocprim17ROCPRIM_400000_NS6detail17trampoline_kernelINS0_14default_configENS1_25partition_config_selectorILNS1_17partition_subalgoE6EiNS0_10empty_typeEbEEZZNS1_14partition_implILS5_6ELb0ES3_mN6thrust23THRUST_200600_302600_NS6detail15normal_iteratorINSA_10device_ptrIiEEEEPS6_SG_NS0_5tupleIJSF_S6_EEENSH_IJSG_SG_EEES6_PlJ6is_oddIiEEEE10hipError_tPvRmT3_T4_T5_T6_T7_T9_mT8_P12ihipStream_tbDpT10_ENKUlT_T0_E_clISt17integral_constantIbLb1EES15_IbLb0EEEEDaS11_S12_EUlS11_E_NS1_11comp_targetILNS1_3genE8ELNS1_11target_archE1030ELNS1_3gpuE2ELNS1_3repE0EEENS1_30default_config_static_selectorELNS0_4arch9wavefront6targetE0EEEvT1_.uses_vcc, 0
	.set _ZN7rocprim17ROCPRIM_400000_NS6detail17trampoline_kernelINS0_14default_configENS1_25partition_config_selectorILNS1_17partition_subalgoE6EiNS0_10empty_typeEbEEZZNS1_14partition_implILS5_6ELb0ES3_mN6thrust23THRUST_200600_302600_NS6detail15normal_iteratorINSA_10device_ptrIiEEEEPS6_SG_NS0_5tupleIJSF_S6_EEENSH_IJSG_SG_EEES6_PlJ6is_oddIiEEEE10hipError_tPvRmT3_T4_T5_T6_T7_T9_mT8_P12ihipStream_tbDpT10_ENKUlT_T0_E_clISt17integral_constantIbLb1EES15_IbLb0EEEEDaS11_S12_EUlS11_E_NS1_11comp_targetILNS1_3genE8ELNS1_11target_archE1030ELNS1_3gpuE2ELNS1_3repE0EEENS1_30default_config_static_selectorELNS0_4arch9wavefront6targetE0EEEvT1_.uses_flat_scratch, 0
	.set _ZN7rocprim17ROCPRIM_400000_NS6detail17trampoline_kernelINS0_14default_configENS1_25partition_config_selectorILNS1_17partition_subalgoE6EiNS0_10empty_typeEbEEZZNS1_14partition_implILS5_6ELb0ES3_mN6thrust23THRUST_200600_302600_NS6detail15normal_iteratorINSA_10device_ptrIiEEEEPS6_SG_NS0_5tupleIJSF_S6_EEENSH_IJSG_SG_EEES6_PlJ6is_oddIiEEEE10hipError_tPvRmT3_T4_T5_T6_T7_T9_mT8_P12ihipStream_tbDpT10_ENKUlT_T0_E_clISt17integral_constantIbLb1EES15_IbLb0EEEEDaS11_S12_EUlS11_E_NS1_11comp_targetILNS1_3genE8ELNS1_11target_archE1030ELNS1_3gpuE2ELNS1_3repE0EEENS1_30default_config_static_selectorELNS0_4arch9wavefront6targetE0EEEvT1_.has_dyn_sized_stack, 0
	.set _ZN7rocprim17ROCPRIM_400000_NS6detail17trampoline_kernelINS0_14default_configENS1_25partition_config_selectorILNS1_17partition_subalgoE6EiNS0_10empty_typeEbEEZZNS1_14partition_implILS5_6ELb0ES3_mN6thrust23THRUST_200600_302600_NS6detail15normal_iteratorINSA_10device_ptrIiEEEEPS6_SG_NS0_5tupleIJSF_S6_EEENSH_IJSG_SG_EEES6_PlJ6is_oddIiEEEE10hipError_tPvRmT3_T4_T5_T6_T7_T9_mT8_P12ihipStream_tbDpT10_ENKUlT_T0_E_clISt17integral_constantIbLb1EES15_IbLb0EEEEDaS11_S12_EUlS11_E_NS1_11comp_targetILNS1_3genE8ELNS1_11target_archE1030ELNS1_3gpuE2ELNS1_3repE0EEENS1_30default_config_static_selectorELNS0_4arch9wavefront6targetE0EEEvT1_.has_recursion, 0
	.set _ZN7rocprim17ROCPRIM_400000_NS6detail17trampoline_kernelINS0_14default_configENS1_25partition_config_selectorILNS1_17partition_subalgoE6EiNS0_10empty_typeEbEEZZNS1_14partition_implILS5_6ELb0ES3_mN6thrust23THRUST_200600_302600_NS6detail15normal_iteratorINSA_10device_ptrIiEEEEPS6_SG_NS0_5tupleIJSF_S6_EEENSH_IJSG_SG_EEES6_PlJ6is_oddIiEEEE10hipError_tPvRmT3_T4_T5_T6_T7_T9_mT8_P12ihipStream_tbDpT10_ENKUlT_T0_E_clISt17integral_constantIbLb1EES15_IbLb0EEEEDaS11_S12_EUlS11_E_NS1_11comp_targetILNS1_3genE8ELNS1_11target_archE1030ELNS1_3gpuE2ELNS1_3repE0EEENS1_30default_config_static_selectorELNS0_4arch9wavefront6targetE0EEEvT1_.has_indirect_call, 0
	.section	.AMDGPU.csdata,"",@progbits
; Kernel info:
; codeLenInByte = 0
; TotalNumSgprs: 0
; NumVgprs: 0
; ScratchSize: 0
; MemoryBound: 0
; FloatMode: 240
; IeeeMode: 1
; LDSByteSize: 0 bytes/workgroup (compile time only)
; SGPRBlocks: 0
; VGPRBlocks: 0
; NumSGPRsForWavesPerEU: 1
; NumVGPRsForWavesPerEU: 1
; Occupancy: 16
; WaveLimiterHint : 0
; COMPUTE_PGM_RSRC2:SCRATCH_EN: 0
; COMPUTE_PGM_RSRC2:USER_SGPR: 2
; COMPUTE_PGM_RSRC2:TRAP_HANDLER: 0
; COMPUTE_PGM_RSRC2:TGID_X_EN: 1
; COMPUTE_PGM_RSRC2:TGID_Y_EN: 0
; COMPUTE_PGM_RSRC2:TGID_Z_EN: 0
; COMPUTE_PGM_RSRC2:TIDIG_COMP_CNT: 0
	.section	.text._ZN7rocprim17ROCPRIM_400000_NS6detail31init_lookback_scan_state_kernelINS1_19lookback_scan_stateImLb0ELb1EEENS1_16block_id_wrapperIjLb1EEEEEvT_jT0_jPNS7_10value_typeE,"axG",@progbits,_ZN7rocprim17ROCPRIM_400000_NS6detail31init_lookback_scan_state_kernelINS1_19lookback_scan_stateImLb0ELb1EEENS1_16block_id_wrapperIjLb1EEEEEvT_jT0_jPNS7_10value_typeE,comdat
	.protected	_ZN7rocprim17ROCPRIM_400000_NS6detail31init_lookback_scan_state_kernelINS1_19lookback_scan_stateImLb0ELb1EEENS1_16block_id_wrapperIjLb1EEEEEvT_jT0_jPNS7_10value_typeE ; -- Begin function _ZN7rocprim17ROCPRIM_400000_NS6detail31init_lookback_scan_state_kernelINS1_19lookback_scan_stateImLb0ELb1EEENS1_16block_id_wrapperIjLb1EEEEEvT_jT0_jPNS7_10value_typeE
	.globl	_ZN7rocprim17ROCPRIM_400000_NS6detail31init_lookback_scan_state_kernelINS1_19lookback_scan_stateImLb0ELb1EEENS1_16block_id_wrapperIjLb1EEEEEvT_jT0_jPNS7_10value_typeE
	.p2align	8
	.type	_ZN7rocprim17ROCPRIM_400000_NS6detail31init_lookback_scan_state_kernelINS1_19lookback_scan_stateImLb0ELb1EEENS1_16block_id_wrapperIjLb1EEEEEvT_jT0_jPNS7_10value_typeE,@function
_ZN7rocprim17ROCPRIM_400000_NS6detail31init_lookback_scan_state_kernelINS1_19lookback_scan_stateImLb0ELb1EEENS1_16block_id_wrapperIjLb1EEEEEvT_jT0_jPNS7_10value_typeE: ; @_ZN7rocprim17ROCPRIM_400000_NS6detail31init_lookback_scan_state_kernelINS1_19lookback_scan_stateImLb0ELb1EEENS1_16block_id_wrapperIjLb1EEEEEvT_jT0_jPNS7_10value_typeE
; %bb.0:
	s_clause 0x2
	s_load_b32 s7, s[0:1], 0x34
	s_load_b64 s[2:3], s[0:1], 0x20
	s_load_b96 s[4:6], s[0:1], 0x0
	s_wait_kmcnt 0x0
	s_and_b32 s7, s7, 0xffff
	s_cmp_eq_u64 s[2:3], 0
	v_mad_co_u64_u32 v[0:1], null, ttmp9, s7, v[0:1]
	s_cbranch_scc1 .LBB38_8
; %bb.1:
	s_load_b32 s8, s[0:1], 0x18
	s_mov_b32 s9, 0
	s_wait_kmcnt 0x0
	s_cmp_lt_u32 s8, s6
	s_cselect_b32 s7, s8, 0
	s_wait_alu 0xfffe
	v_cmp_eq_u32_e32 vcc_lo, s7, v0
	s_and_saveexec_b32 s7, vcc_lo
	s_cbranch_execz .LBB38_7
; %bb.2:
	s_add_co_i32 s8, s8, 32
	s_mov_b32 s10, exec_lo
	s_lshl_b64 s[8:9], s[8:9], 4
	v_mov_b32_e32 v5, 0
	s_add_nc_u64 s[8:9], s[4:5], s[8:9]
	s_delay_alu instid0(SALU_CYCLE_1) | instskip(SKIP_2) | instid1(VALU_DEP_1)
	v_dual_mov_b32 v1, s8 :: v_dual_mov_b32 v2, s9
	;;#ASMSTART
	global_load_b128 v[1:4], v[1:2] off scope:SCOPE_DEV	
s_wait_loadcnt 0x0
	;;#ASMEND
	v_and_b32_e32 v4, 0xff, v3
	v_cmpx_eq_u64_e32 0, v[4:5]
	s_cbranch_execz .LBB38_6
; %bb.3:
	v_dual_mov_b32 v6, s8 :: v_dual_mov_b32 v7, s9
	s_mov_b32 s8, 0
.LBB38_4:                               ; =>This Inner Loop Header: Depth=1
	;;#ASMSTART
	global_load_b128 v[1:4], v[6:7] off scope:SCOPE_DEV	
s_wait_loadcnt 0x0
	;;#ASMEND
	v_and_b32_e32 v4, 0xff, v3
	s_delay_alu instid0(VALU_DEP_1)
	v_cmp_ne_u64_e32 vcc_lo, 0, v[4:5]
	s_wait_alu 0xfffe
	s_or_b32 s8, vcc_lo, s8
	s_wait_alu 0xfffe
	s_and_not1_b32 exec_lo, exec_lo, s8
	s_cbranch_execnz .LBB38_4
; %bb.5:
	s_or_b32 exec_lo, exec_lo, s8
.LBB38_6:
	s_delay_alu instid0(SALU_CYCLE_1)
	s_or_b32 exec_lo, exec_lo, s10
	v_mov_b32_e32 v3, 0
	global_store_b64 v3, v[1:2], s[2:3]
.LBB38_7:
	s_wait_alu 0xfffe
	s_or_b32 exec_lo, exec_lo, s7
.LBB38_8:
	s_delay_alu instid0(SALU_CYCLE_1)
	s_mov_b32 s2, exec_lo
	v_cmpx_eq_u32_e32 0, v0
	s_cbranch_execz .LBB38_10
; %bb.9:
	s_load_b64 s[0:1], s[0:1], 0x10
	v_mov_b32_e32 v1, 0
	s_wait_kmcnt 0x0
	global_store_b32 v1, v1, s[0:1]
.LBB38_10:
	s_or_b32 exec_lo, exec_lo, s2
	s_delay_alu instid0(SALU_CYCLE_1)
	s_mov_b32 s0, exec_lo
	v_cmpx_gt_u32_e64 s6, v0
	s_cbranch_execz .LBB38_12
; %bb.11:
	v_dual_mov_b32 v2, 0 :: v_dual_add_nc_u32 v1, 32, v0
	s_delay_alu instid0(VALU_DEP_1) | instskip(SKIP_2) | instid1(VALU_DEP_3)
	v_lshlrev_b64_e32 v[4:5], 4, v[1:2]
	v_mov_b32_e32 v1, v2
	v_mov_b32_e32 v3, v2
	v_add_co_u32 v6, vcc_lo, s4, v4
	s_delay_alu instid0(VALU_DEP_1)
	v_add_co_ci_u32_e64 v7, null, s5, v5, vcc_lo
	v_mov_b32_e32 v4, v2
	global_store_b128 v[6:7], v[1:4], off
.LBB38_12:
	s_wait_alu 0xfffe
	s_or_b32 exec_lo, exec_lo, s0
	s_delay_alu instid0(SALU_CYCLE_1)
	s_mov_b32 s0, exec_lo
	v_cmpx_gt_u32_e32 32, v0
	s_cbranch_execz .LBB38_14
; %bb.13:
	v_dual_mov_b32 v1, 0 :: v_dual_mov_b32 v2, 0xff
	s_delay_alu instid0(VALU_DEP_1) | instskip(SKIP_1) | instid1(VALU_DEP_2)
	v_lshlrev_b64_e32 v[3:4], 4, v[0:1]
	v_mov_b32_e32 v0, v1
	v_add_co_u32 v5, vcc_lo, s4, v3
	s_wait_alu 0xfffd
	s_delay_alu instid0(VALU_DEP_3)
	v_add_co_ci_u32_e64 v6, null, s5, v4, vcc_lo
	v_mov_b32_e32 v3, v1
	global_store_b128 v[5:6], v[0:3], off
.LBB38_14:
	s_endpgm
	.section	.rodata,"a",@progbits
	.p2align	6, 0x0
	.amdhsa_kernel _ZN7rocprim17ROCPRIM_400000_NS6detail31init_lookback_scan_state_kernelINS1_19lookback_scan_stateImLb0ELb1EEENS1_16block_id_wrapperIjLb1EEEEEvT_jT0_jPNS7_10value_typeE
		.amdhsa_group_segment_fixed_size 0
		.amdhsa_private_segment_fixed_size 0
		.amdhsa_kernarg_size 296
		.amdhsa_user_sgpr_count 2
		.amdhsa_user_sgpr_dispatch_ptr 0
		.amdhsa_user_sgpr_queue_ptr 0
		.amdhsa_user_sgpr_kernarg_segment_ptr 1
		.amdhsa_user_sgpr_dispatch_id 0
		.amdhsa_user_sgpr_private_segment_size 0
		.amdhsa_wavefront_size32 1
		.amdhsa_uses_dynamic_stack 0
		.amdhsa_enable_private_segment 0
		.amdhsa_system_sgpr_workgroup_id_x 1
		.amdhsa_system_sgpr_workgroup_id_y 0
		.amdhsa_system_sgpr_workgroup_id_z 0
		.amdhsa_system_sgpr_workgroup_info 0
		.amdhsa_system_vgpr_workitem_id 0
		.amdhsa_next_free_vgpr 8
		.amdhsa_next_free_sgpr 11
		.amdhsa_reserve_vcc 1
		.amdhsa_float_round_mode_32 0
		.amdhsa_float_round_mode_16_64 0
		.amdhsa_float_denorm_mode_32 3
		.amdhsa_float_denorm_mode_16_64 3
		.amdhsa_fp16_overflow 0
		.amdhsa_workgroup_processor_mode 1
		.amdhsa_memory_ordered 1
		.amdhsa_forward_progress 1
		.amdhsa_inst_pref_size 4
		.amdhsa_round_robin_scheduling 0
		.amdhsa_exception_fp_ieee_invalid_op 0
		.amdhsa_exception_fp_denorm_src 0
		.amdhsa_exception_fp_ieee_div_zero 0
		.amdhsa_exception_fp_ieee_overflow 0
		.amdhsa_exception_fp_ieee_underflow 0
		.amdhsa_exception_fp_ieee_inexact 0
		.amdhsa_exception_int_div_zero 0
	.end_amdhsa_kernel
	.section	.text._ZN7rocprim17ROCPRIM_400000_NS6detail31init_lookback_scan_state_kernelINS1_19lookback_scan_stateImLb0ELb1EEENS1_16block_id_wrapperIjLb1EEEEEvT_jT0_jPNS7_10value_typeE,"axG",@progbits,_ZN7rocprim17ROCPRIM_400000_NS6detail31init_lookback_scan_state_kernelINS1_19lookback_scan_stateImLb0ELb1EEENS1_16block_id_wrapperIjLb1EEEEEvT_jT0_jPNS7_10value_typeE,comdat
.Lfunc_end38:
	.size	_ZN7rocprim17ROCPRIM_400000_NS6detail31init_lookback_scan_state_kernelINS1_19lookback_scan_stateImLb0ELb1EEENS1_16block_id_wrapperIjLb1EEEEEvT_jT0_jPNS7_10value_typeE, .Lfunc_end38-_ZN7rocprim17ROCPRIM_400000_NS6detail31init_lookback_scan_state_kernelINS1_19lookback_scan_stateImLb0ELb1EEENS1_16block_id_wrapperIjLb1EEEEEvT_jT0_jPNS7_10value_typeE
                                        ; -- End function
	.set _ZN7rocprim17ROCPRIM_400000_NS6detail31init_lookback_scan_state_kernelINS1_19lookback_scan_stateImLb0ELb1EEENS1_16block_id_wrapperIjLb1EEEEEvT_jT0_jPNS7_10value_typeE.num_vgpr, 8
	.set _ZN7rocprim17ROCPRIM_400000_NS6detail31init_lookback_scan_state_kernelINS1_19lookback_scan_stateImLb0ELb1EEENS1_16block_id_wrapperIjLb1EEEEEvT_jT0_jPNS7_10value_typeE.num_agpr, 0
	.set _ZN7rocprim17ROCPRIM_400000_NS6detail31init_lookback_scan_state_kernelINS1_19lookback_scan_stateImLb0ELb1EEENS1_16block_id_wrapperIjLb1EEEEEvT_jT0_jPNS7_10value_typeE.numbered_sgpr, 11
	.set _ZN7rocprim17ROCPRIM_400000_NS6detail31init_lookback_scan_state_kernelINS1_19lookback_scan_stateImLb0ELb1EEENS1_16block_id_wrapperIjLb1EEEEEvT_jT0_jPNS7_10value_typeE.num_named_barrier, 0
	.set _ZN7rocprim17ROCPRIM_400000_NS6detail31init_lookback_scan_state_kernelINS1_19lookback_scan_stateImLb0ELb1EEENS1_16block_id_wrapperIjLb1EEEEEvT_jT0_jPNS7_10value_typeE.private_seg_size, 0
	.set _ZN7rocprim17ROCPRIM_400000_NS6detail31init_lookback_scan_state_kernelINS1_19lookback_scan_stateImLb0ELb1EEENS1_16block_id_wrapperIjLb1EEEEEvT_jT0_jPNS7_10value_typeE.uses_vcc, 1
	.set _ZN7rocprim17ROCPRIM_400000_NS6detail31init_lookback_scan_state_kernelINS1_19lookback_scan_stateImLb0ELb1EEENS1_16block_id_wrapperIjLb1EEEEEvT_jT0_jPNS7_10value_typeE.uses_flat_scratch, 0
	.set _ZN7rocprim17ROCPRIM_400000_NS6detail31init_lookback_scan_state_kernelINS1_19lookback_scan_stateImLb0ELb1EEENS1_16block_id_wrapperIjLb1EEEEEvT_jT0_jPNS7_10value_typeE.has_dyn_sized_stack, 0
	.set _ZN7rocprim17ROCPRIM_400000_NS6detail31init_lookback_scan_state_kernelINS1_19lookback_scan_stateImLb0ELb1EEENS1_16block_id_wrapperIjLb1EEEEEvT_jT0_jPNS7_10value_typeE.has_recursion, 0
	.set _ZN7rocprim17ROCPRIM_400000_NS6detail31init_lookback_scan_state_kernelINS1_19lookback_scan_stateImLb0ELb1EEENS1_16block_id_wrapperIjLb1EEEEEvT_jT0_jPNS7_10value_typeE.has_indirect_call, 0
	.section	.AMDGPU.csdata,"",@progbits
; Kernel info:
; codeLenInByte = 448
; TotalNumSgprs: 13
; NumVgprs: 8
; ScratchSize: 0
; MemoryBound: 0
; FloatMode: 240
; IeeeMode: 1
; LDSByteSize: 0 bytes/workgroup (compile time only)
; SGPRBlocks: 0
; VGPRBlocks: 0
; NumSGPRsForWavesPerEU: 13
; NumVGPRsForWavesPerEU: 8
; Occupancy: 16
; WaveLimiterHint : 0
; COMPUTE_PGM_RSRC2:SCRATCH_EN: 0
; COMPUTE_PGM_RSRC2:USER_SGPR: 2
; COMPUTE_PGM_RSRC2:TRAP_HANDLER: 0
; COMPUTE_PGM_RSRC2:TGID_X_EN: 1
; COMPUTE_PGM_RSRC2:TGID_Y_EN: 0
; COMPUTE_PGM_RSRC2:TGID_Z_EN: 0
; COMPUTE_PGM_RSRC2:TIDIG_COMP_CNT: 0
	.section	.text._ZN7rocprim17ROCPRIM_400000_NS6detail17trampoline_kernelINS0_14default_configENS1_25partition_config_selectorILNS1_17partition_subalgoE6EiNS0_10empty_typeEbEEZZNS1_14partition_implILS5_6ELb0ES3_mN6thrust23THRUST_200600_302600_NS6detail15normal_iteratorINSA_10device_ptrIiEEEEPS6_SG_NS0_5tupleIJSF_S6_EEENSH_IJSG_SG_EEES6_PlJ6is_oddIiEEEE10hipError_tPvRmT3_T4_T5_T6_T7_T9_mT8_P12ihipStream_tbDpT10_ENKUlT_T0_E_clISt17integral_constantIbLb0EES15_IbLb1EEEEDaS11_S12_EUlS11_E_NS1_11comp_targetILNS1_3genE0ELNS1_11target_archE4294967295ELNS1_3gpuE0ELNS1_3repE0EEENS1_30default_config_static_selectorELNS0_4arch9wavefront6targetE0EEEvT1_,"axG",@progbits,_ZN7rocprim17ROCPRIM_400000_NS6detail17trampoline_kernelINS0_14default_configENS1_25partition_config_selectorILNS1_17partition_subalgoE6EiNS0_10empty_typeEbEEZZNS1_14partition_implILS5_6ELb0ES3_mN6thrust23THRUST_200600_302600_NS6detail15normal_iteratorINSA_10device_ptrIiEEEEPS6_SG_NS0_5tupleIJSF_S6_EEENSH_IJSG_SG_EEES6_PlJ6is_oddIiEEEE10hipError_tPvRmT3_T4_T5_T6_T7_T9_mT8_P12ihipStream_tbDpT10_ENKUlT_T0_E_clISt17integral_constantIbLb0EES15_IbLb1EEEEDaS11_S12_EUlS11_E_NS1_11comp_targetILNS1_3genE0ELNS1_11target_archE4294967295ELNS1_3gpuE0ELNS1_3repE0EEENS1_30default_config_static_selectorELNS0_4arch9wavefront6targetE0EEEvT1_,comdat
	.protected	_ZN7rocprim17ROCPRIM_400000_NS6detail17trampoline_kernelINS0_14default_configENS1_25partition_config_selectorILNS1_17partition_subalgoE6EiNS0_10empty_typeEbEEZZNS1_14partition_implILS5_6ELb0ES3_mN6thrust23THRUST_200600_302600_NS6detail15normal_iteratorINSA_10device_ptrIiEEEEPS6_SG_NS0_5tupleIJSF_S6_EEENSH_IJSG_SG_EEES6_PlJ6is_oddIiEEEE10hipError_tPvRmT3_T4_T5_T6_T7_T9_mT8_P12ihipStream_tbDpT10_ENKUlT_T0_E_clISt17integral_constantIbLb0EES15_IbLb1EEEEDaS11_S12_EUlS11_E_NS1_11comp_targetILNS1_3genE0ELNS1_11target_archE4294967295ELNS1_3gpuE0ELNS1_3repE0EEENS1_30default_config_static_selectorELNS0_4arch9wavefront6targetE0EEEvT1_ ; -- Begin function _ZN7rocprim17ROCPRIM_400000_NS6detail17trampoline_kernelINS0_14default_configENS1_25partition_config_selectorILNS1_17partition_subalgoE6EiNS0_10empty_typeEbEEZZNS1_14partition_implILS5_6ELb0ES3_mN6thrust23THRUST_200600_302600_NS6detail15normal_iteratorINSA_10device_ptrIiEEEEPS6_SG_NS0_5tupleIJSF_S6_EEENSH_IJSG_SG_EEES6_PlJ6is_oddIiEEEE10hipError_tPvRmT3_T4_T5_T6_T7_T9_mT8_P12ihipStream_tbDpT10_ENKUlT_T0_E_clISt17integral_constantIbLb0EES15_IbLb1EEEEDaS11_S12_EUlS11_E_NS1_11comp_targetILNS1_3genE0ELNS1_11target_archE4294967295ELNS1_3gpuE0ELNS1_3repE0EEENS1_30default_config_static_selectorELNS0_4arch9wavefront6targetE0EEEvT1_
	.globl	_ZN7rocprim17ROCPRIM_400000_NS6detail17trampoline_kernelINS0_14default_configENS1_25partition_config_selectorILNS1_17partition_subalgoE6EiNS0_10empty_typeEbEEZZNS1_14partition_implILS5_6ELb0ES3_mN6thrust23THRUST_200600_302600_NS6detail15normal_iteratorINSA_10device_ptrIiEEEEPS6_SG_NS0_5tupleIJSF_S6_EEENSH_IJSG_SG_EEES6_PlJ6is_oddIiEEEE10hipError_tPvRmT3_T4_T5_T6_T7_T9_mT8_P12ihipStream_tbDpT10_ENKUlT_T0_E_clISt17integral_constantIbLb0EES15_IbLb1EEEEDaS11_S12_EUlS11_E_NS1_11comp_targetILNS1_3genE0ELNS1_11target_archE4294967295ELNS1_3gpuE0ELNS1_3repE0EEENS1_30default_config_static_selectorELNS0_4arch9wavefront6targetE0EEEvT1_
	.p2align	8
	.type	_ZN7rocprim17ROCPRIM_400000_NS6detail17trampoline_kernelINS0_14default_configENS1_25partition_config_selectorILNS1_17partition_subalgoE6EiNS0_10empty_typeEbEEZZNS1_14partition_implILS5_6ELb0ES3_mN6thrust23THRUST_200600_302600_NS6detail15normal_iteratorINSA_10device_ptrIiEEEEPS6_SG_NS0_5tupleIJSF_S6_EEENSH_IJSG_SG_EEES6_PlJ6is_oddIiEEEE10hipError_tPvRmT3_T4_T5_T6_T7_T9_mT8_P12ihipStream_tbDpT10_ENKUlT_T0_E_clISt17integral_constantIbLb0EES15_IbLb1EEEEDaS11_S12_EUlS11_E_NS1_11comp_targetILNS1_3genE0ELNS1_11target_archE4294967295ELNS1_3gpuE0ELNS1_3repE0EEENS1_30default_config_static_selectorELNS0_4arch9wavefront6targetE0EEEvT1_,@function
_ZN7rocprim17ROCPRIM_400000_NS6detail17trampoline_kernelINS0_14default_configENS1_25partition_config_selectorILNS1_17partition_subalgoE6EiNS0_10empty_typeEbEEZZNS1_14partition_implILS5_6ELb0ES3_mN6thrust23THRUST_200600_302600_NS6detail15normal_iteratorINSA_10device_ptrIiEEEEPS6_SG_NS0_5tupleIJSF_S6_EEENSH_IJSG_SG_EEES6_PlJ6is_oddIiEEEE10hipError_tPvRmT3_T4_T5_T6_T7_T9_mT8_P12ihipStream_tbDpT10_ENKUlT_T0_E_clISt17integral_constantIbLb0EES15_IbLb1EEEEDaS11_S12_EUlS11_E_NS1_11comp_targetILNS1_3genE0ELNS1_11target_archE4294967295ELNS1_3gpuE0ELNS1_3repE0EEENS1_30default_config_static_selectorELNS0_4arch9wavefront6targetE0EEEvT1_: ; @_ZN7rocprim17ROCPRIM_400000_NS6detail17trampoline_kernelINS0_14default_configENS1_25partition_config_selectorILNS1_17partition_subalgoE6EiNS0_10empty_typeEbEEZZNS1_14partition_implILS5_6ELb0ES3_mN6thrust23THRUST_200600_302600_NS6detail15normal_iteratorINSA_10device_ptrIiEEEEPS6_SG_NS0_5tupleIJSF_S6_EEENSH_IJSG_SG_EEES6_PlJ6is_oddIiEEEE10hipError_tPvRmT3_T4_T5_T6_T7_T9_mT8_P12ihipStream_tbDpT10_ENKUlT_T0_E_clISt17integral_constantIbLb0EES15_IbLb1EEEEDaS11_S12_EUlS11_E_NS1_11comp_targetILNS1_3genE0ELNS1_11target_archE4294967295ELNS1_3gpuE0ELNS1_3repE0EEENS1_30default_config_static_selectorELNS0_4arch9wavefront6targetE0EEEvT1_
; %bb.0:
	.section	.rodata,"a",@progbits
	.p2align	6, 0x0
	.amdhsa_kernel _ZN7rocprim17ROCPRIM_400000_NS6detail17trampoline_kernelINS0_14default_configENS1_25partition_config_selectorILNS1_17partition_subalgoE6EiNS0_10empty_typeEbEEZZNS1_14partition_implILS5_6ELb0ES3_mN6thrust23THRUST_200600_302600_NS6detail15normal_iteratorINSA_10device_ptrIiEEEEPS6_SG_NS0_5tupleIJSF_S6_EEENSH_IJSG_SG_EEES6_PlJ6is_oddIiEEEE10hipError_tPvRmT3_T4_T5_T6_T7_T9_mT8_P12ihipStream_tbDpT10_ENKUlT_T0_E_clISt17integral_constantIbLb0EES15_IbLb1EEEEDaS11_S12_EUlS11_E_NS1_11comp_targetILNS1_3genE0ELNS1_11target_archE4294967295ELNS1_3gpuE0ELNS1_3repE0EEENS1_30default_config_static_selectorELNS0_4arch9wavefront6targetE0EEEvT1_
		.amdhsa_group_segment_fixed_size 0
		.amdhsa_private_segment_fixed_size 0
		.amdhsa_kernarg_size 128
		.amdhsa_user_sgpr_count 2
		.amdhsa_user_sgpr_dispatch_ptr 0
		.amdhsa_user_sgpr_queue_ptr 0
		.amdhsa_user_sgpr_kernarg_segment_ptr 1
		.amdhsa_user_sgpr_dispatch_id 0
		.amdhsa_user_sgpr_private_segment_size 0
		.amdhsa_wavefront_size32 1
		.amdhsa_uses_dynamic_stack 0
		.amdhsa_enable_private_segment 0
		.amdhsa_system_sgpr_workgroup_id_x 1
		.amdhsa_system_sgpr_workgroup_id_y 0
		.amdhsa_system_sgpr_workgroup_id_z 0
		.amdhsa_system_sgpr_workgroup_info 0
		.amdhsa_system_vgpr_workitem_id 0
		.amdhsa_next_free_vgpr 1
		.amdhsa_next_free_sgpr 1
		.amdhsa_reserve_vcc 0
		.amdhsa_float_round_mode_32 0
		.amdhsa_float_round_mode_16_64 0
		.amdhsa_float_denorm_mode_32 3
		.amdhsa_float_denorm_mode_16_64 3
		.amdhsa_fp16_overflow 0
		.amdhsa_workgroup_processor_mode 1
		.amdhsa_memory_ordered 1
		.amdhsa_forward_progress 1
		.amdhsa_inst_pref_size 0
		.amdhsa_round_robin_scheduling 0
		.amdhsa_exception_fp_ieee_invalid_op 0
		.amdhsa_exception_fp_denorm_src 0
		.amdhsa_exception_fp_ieee_div_zero 0
		.amdhsa_exception_fp_ieee_overflow 0
		.amdhsa_exception_fp_ieee_underflow 0
		.amdhsa_exception_fp_ieee_inexact 0
		.amdhsa_exception_int_div_zero 0
	.end_amdhsa_kernel
	.section	.text._ZN7rocprim17ROCPRIM_400000_NS6detail17trampoline_kernelINS0_14default_configENS1_25partition_config_selectorILNS1_17partition_subalgoE6EiNS0_10empty_typeEbEEZZNS1_14partition_implILS5_6ELb0ES3_mN6thrust23THRUST_200600_302600_NS6detail15normal_iteratorINSA_10device_ptrIiEEEEPS6_SG_NS0_5tupleIJSF_S6_EEENSH_IJSG_SG_EEES6_PlJ6is_oddIiEEEE10hipError_tPvRmT3_T4_T5_T6_T7_T9_mT8_P12ihipStream_tbDpT10_ENKUlT_T0_E_clISt17integral_constantIbLb0EES15_IbLb1EEEEDaS11_S12_EUlS11_E_NS1_11comp_targetILNS1_3genE0ELNS1_11target_archE4294967295ELNS1_3gpuE0ELNS1_3repE0EEENS1_30default_config_static_selectorELNS0_4arch9wavefront6targetE0EEEvT1_,"axG",@progbits,_ZN7rocprim17ROCPRIM_400000_NS6detail17trampoline_kernelINS0_14default_configENS1_25partition_config_selectorILNS1_17partition_subalgoE6EiNS0_10empty_typeEbEEZZNS1_14partition_implILS5_6ELb0ES3_mN6thrust23THRUST_200600_302600_NS6detail15normal_iteratorINSA_10device_ptrIiEEEEPS6_SG_NS0_5tupleIJSF_S6_EEENSH_IJSG_SG_EEES6_PlJ6is_oddIiEEEE10hipError_tPvRmT3_T4_T5_T6_T7_T9_mT8_P12ihipStream_tbDpT10_ENKUlT_T0_E_clISt17integral_constantIbLb0EES15_IbLb1EEEEDaS11_S12_EUlS11_E_NS1_11comp_targetILNS1_3genE0ELNS1_11target_archE4294967295ELNS1_3gpuE0ELNS1_3repE0EEENS1_30default_config_static_selectorELNS0_4arch9wavefront6targetE0EEEvT1_,comdat
.Lfunc_end39:
	.size	_ZN7rocprim17ROCPRIM_400000_NS6detail17trampoline_kernelINS0_14default_configENS1_25partition_config_selectorILNS1_17partition_subalgoE6EiNS0_10empty_typeEbEEZZNS1_14partition_implILS5_6ELb0ES3_mN6thrust23THRUST_200600_302600_NS6detail15normal_iteratorINSA_10device_ptrIiEEEEPS6_SG_NS0_5tupleIJSF_S6_EEENSH_IJSG_SG_EEES6_PlJ6is_oddIiEEEE10hipError_tPvRmT3_T4_T5_T6_T7_T9_mT8_P12ihipStream_tbDpT10_ENKUlT_T0_E_clISt17integral_constantIbLb0EES15_IbLb1EEEEDaS11_S12_EUlS11_E_NS1_11comp_targetILNS1_3genE0ELNS1_11target_archE4294967295ELNS1_3gpuE0ELNS1_3repE0EEENS1_30default_config_static_selectorELNS0_4arch9wavefront6targetE0EEEvT1_, .Lfunc_end39-_ZN7rocprim17ROCPRIM_400000_NS6detail17trampoline_kernelINS0_14default_configENS1_25partition_config_selectorILNS1_17partition_subalgoE6EiNS0_10empty_typeEbEEZZNS1_14partition_implILS5_6ELb0ES3_mN6thrust23THRUST_200600_302600_NS6detail15normal_iteratorINSA_10device_ptrIiEEEEPS6_SG_NS0_5tupleIJSF_S6_EEENSH_IJSG_SG_EEES6_PlJ6is_oddIiEEEE10hipError_tPvRmT3_T4_T5_T6_T7_T9_mT8_P12ihipStream_tbDpT10_ENKUlT_T0_E_clISt17integral_constantIbLb0EES15_IbLb1EEEEDaS11_S12_EUlS11_E_NS1_11comp_targetILNS1_3genE0ELNS1_11target_archE4294967295ELNS1_3gpuE0ELNS1_3repE0EEENS1_30default_config_static_selectorELNS0_4arch9wavefront6targetE0EEEvT1_
                                        ; -- End function
	.set _ZN7rocprim17ROCPRIM_400000_NS6detail17trampoline_kernelINS0_14default_configENS1_25partition_config_selectorILNS1_17partition_subalgoE6EiNS0_10empty_typeEbEEZZNS1_14partition_implILS5_6ELb0ES3_mN6thrust23THRUST_200600_302600_NS6detail15normal_iteratorINSA_10device_ptrIiEEEEPS6_SG_NS0_5tupleIJSF_S6_EEENSH_IJSG_SG_EEES6_PlJ6is_oddIiEEEE10hipError_tPvRmT3_T4_T5_T6_T7_T9_mT8_P12ihipStream_tbDpT10_ENKUlT_T0_E_clISt17integral_constantIbLb0EES15_IbLb1EEEEDaS11_S12_EUlS11_E_NS1_11comp_targetILNS1_3genE0ELNS1_11target_archE4294967295ELNS1_3gpuE0ELNS1_3repE0EEENS1_30default_config_static_selectorELNS0_4arch9wavefront6targetE0EEEvT1_.num_vgpr, 0
	.set _ZN7rocprim17ROCPRIM_400000_NS6detail17trampoline_kernelINS0_14default_configENS1_25partition_config_selectorILNS1_17partition_subalgoE6EiNS0_10empty_typeEbEEZZNS1_14partition_implILS5_6ELb0ES3_mN6thrust23THRUST_200600_302600_NS6detail15normal_iteratorINSA_10device_ptrIiEEEEPS6_SG_NS0_5tupleIJSF_S6_EEENSH_IJSG_SG_EEES6_PlJ6is_oddIiEEEE10hipError_tPvRmT3_T4_T5_T6_T7_T9_mT8_P12ihipStream_tbDpT10_ENKUlT_T0_E_clISt17integral_constantIbLb0EES15_IbLb1EEEEDaS11_S12_EUlS11_E_NS1_11comp_targetILNS1_3genE0ELNS1_11target_archE4294967295ELNS1_3gpuE0ELNS1_3repE0EEENS1_30default_config_static_selectorELNS0_4arch9wavefront6targetE0EEEvT1_.num_agpr, 0
	.set _ZN7rocprim17ROCPRIM_400000_NS6detail17trampoline_kernelINS0_14default_configENS1_25partition_config_selectorILNS1_17partition_subalgoE6EiNS0_10empty_typeEbEEZZNS1_14partition_implILS5_6ELb0ES3_mN6thrust23THRUST_200600_302600_NS6detail15normal_iteratorINSA_10device_ptrIiEEEEPS6_SG_NS0_5tupleIJSF_S6_EEENSH_IJSG_SG_EEES6_PlJ6is_oddIiEEEE10hipError_tPvRmT3_T4_T5_T6_T7_T9_mT8_P12ihipStream_tbDpT10_ENKUlT_T0_E_clISt17integral_constantIbLb0EES15_IbLb1EEEEDaS11_S12_EUlS11_E_NS1_11comp_targetILNS1_3genE0ELNS1_11target_archE4294967295ELNS1_3gpuE0ELNS1_3repE0EEENS1_30default_config_static_selectorELNS0_4arch9wavefront6targetE0EEEvT1_.numbered_sgpr, 0
	.set _ZN7rocprim17ROCPRIM_400000_NS6detail17trampoline_kernelINS0_14default_configENS1_25partition_config_selectorILNS1_17partition_subalgoE6EiNS0_10empty_typeEbEEZZNS1_14partition_implILS5_6ELb0ES3_mN6thrust23THRUST_200600_302600_NS6detail15normal_iteratorINSA_10device_ptrIiEEEEPS6_SG_NS0_5tupleIJSF_S6_EEENSH_IJSG_SG_EEES6_PlJ6is_oddIiEEEE10hipError_tPvRmT3_T4_T5_T6_T7_T9_mT8_P12ihipStream_tbDpT10_ENKUlT_T0_E_clISt17integral_constantIbLb0EES15_IbLb1EEEEDaS11_S12_EUlS11_E_NS1_11comp_targetILNS1_3genE0ELNS1_11target_archE4294967295ELNS1_3gpuE0ELNS1_3repE0EEENS1_30default_config_static_selectorELNS0_4arch9wavefront6targetE0EEEvT1_.num_named_barrier, 0
	.set _ZN7rocprim17ROCPRIM_400000_NS6detail17trampoline_kernelINS0_14default_configENS1_25partition_config_selectorILNS1_17partition_subalgoE6EiNS0_10empty_typeEbEEZZNS1_14partition_implILS5_6ELb0ES3_mN6thrust23THRUST_200600_302600_NS6detail15normal_iteratorINSA_10device_ptrIiEEEEPS6_SG_NS0_5tupleIJSF_S6_EEENSH_IJSG_SG_EEES6_PlJ6is_oddIiEEEE10hipError_tPvRmT3_T4_T5_T6_T7_T9_mT8_P12ihipStream_tbDpT10_ENKUlT_T0_E_clISt17integral_constantIbLb0EES15_IbLb1EEEEDaS11_S12_EUlS11_E_NS1_11comp_targetILNS1_3genE0ELNS1_11target_archE4294967295ELNS1_3gpuE0ELNS1_3repE0EEENS1_30default_config_static_selectorELNS0_4arch9wavefront6targetE0EEEvT1_.private_seg_size, 0
	.set _ZN7rocprim17ROCPRIM_400000_NS6detail17trampoline_kernelINS0_14default_configENS1_25partition_config_selectorILNS1_17partition_subalgoE6EiNS0_10empty_typeEbEEZZNS1_14partition_implILS5_6ELb0ES3_mN6thrust23THRUST_200600_302600_NS6detail15normal_iteratorINSA_10device_ptrIiEEEEPS6_SG_NS0_5tupleIJSF_S6_EEENSH_IJSG_SG_EEES6_PlJ6is_oddIiEEEE10hipError_tPvRmT3_T4_T5_T6_T7_T9_mT8_P12ihipStream_tbDpT10_ENKUlT_T0_E_clISt17integral_constantIbLb0EES15_IbLb1EEEEDaS11_S12_EUlS11_E_NS1_11comp_targetILNS1_3genE0ELNS1_11target_archE4294967295ELNS1_3gpuE0ELNS1_3repE0EEENS1_30default_config_static_selectorELNS0_4arch9wavefront6targetE0EEEvT1_.uses_vcc, 0
	.set _ZN7rocprim17ROCPRIM_400000_NS6detail17trampoline_kernelINS0_14default_configENS1_25partition_config_selectorILNS1_17partition_subalgoE6EiNS0_10empty_typeEbEEZZNS1_14partition_implILS5_6ELb0ES3_mN6thrust23THRUST_200600_302600_NS6detail15normal_iteratorINSA_10device_ptrIiEEEEPS6_SG_NS0_5tupleIJSF_S6_EEENSH_IJSG_SG_EEES6_PlJ6is_oddIiEEEE10hipError_tPvRmT3_T4_T5_T6_T7_T9_mT8_P12ihipStream_tbDpT10_ENKUlT_T0_E_clISt17integral_constantIbLb0EES15_IbLb1EEEEDaS11_S12_EUlS11_E_NS1_11comp_targetILNS1_3genE0ELNS1_11target_archE4294967295ELNS1_3gpuE0ELNS1_3repE0EEENS1_30default_config_static_selectorELNS0_4arch9wavefront6targetE0EEEvT1_.uses_flat_scratch, 0
	.set _ZN7rocprim17ROCPRIM_400000_NS6detail17trampoline_kernelINS0_14default_configENS1_25partition_config_selectorILNS1_17partition_subalgoE6EiNS0_10empty_typeEbEEZZNS1_14partition_implILS5_6ELb0ES3_mN6thrust23THRUST_200600_302600_NS6detail15normal_iteratorINSA_10device_ptrIiEEEEPS6_SG_NS0_5tupleIJSF_S6_EEENSH_IJSG_SG_EEES6_PlJ6is_oddIiEEEE10hipError_tPvRmT3_T4_T5_T6_T7_T9_mT8_P12ihipStream_tbDpT10_ENKUlT_T0_E_clISt17integral_constantIbLb0EES15_IbLb1EEEEDaS11_S12_EUlS11_E_NS1_11comp_targetILNS1_3genE0ELNS1_11target_archE4294967295ELNS1_3gpuE0ELNS1_3repE0EEENS1_30default_config_static_selectorELNS0_4arch9wavefront6targetE0EEEvT1_.has_dyn_sized_stack, 0
	.set _ZN7rocprim17ROCPRIM_400000_NS6detail17trampoline_kernelINS0_14default_configENS1_25partition_config_selectorILNS1_17partition_subalgoE6EiNS0_10empty_typeEbEEZZNS1_14partition_implILS5_6ELb0ES3_mN6thrust23THRUST_200600_302600_NS6detail15normal_iteratorINSA_10device_ptrIiEEEEPS6_SG_NS0_5tupleIJSF_S6_EEENSH_IJSG_SG_EEES6_PlJ6is_oddIiEEEE10hipError_tPvRmT3_T4_T5_T6_T7_T9_mT8_P12ihipStream_tbDpT10_ENKUlT_T0_E_clISt17integral_constantIbLb0EES15_IbLb1EEEEDaS11_S12_EUlS11_E_NS1_11comp_targetILNS1_3genE0ELNS1_11target_archE4294967295ELNS1_3gpuE0ELNS1_3repE0EEENS1_30default_config_static_selectorELNS0_4arch9wavefront6targetE0EEEvT1_.has_recursion, 0
	.set _ZN7rocprim17ROCPRIM_400000_NS6detail17trampoline_kernelINS0_14default_configENS1_25partition_config_selectorILNS1_17partition_subalgoE6EiNS0_10empty_typeEbEEZZNS1_14partition_implILS5_6ELb0ES3_mN6thrust23THRUST_200600_302600_NS6detail15normal_iteratorINSA_10device_ptrIiEEEEPS6_SG_NS0_5tupleIJSF_S6_EEENSH_IJSG_SG_EEES6_PlJ6is_oddIiEEEE10hipError_tPvRmT3_T4_T5_T6_T7_T9_mT8_P12ihipStream_tbDpT10_ENKUlT_T0_E_clISt17integral_constantIbLb0EES15_IbLb1EEEEDaS11_S12_EUlS11_E_NS1_11comp_targetILNS1_3genE0ELNS1_11target_archE4294967295ELNS1_3gpuE0ELNS1_3repE0EEENS1_30default_config_static_selectorELNS0_4arch9wavefront6targetE0EEEvT1_.has_indirect_call, 0
	.section	.AMDGPU.csdata,"",@progbits
; Kernel info:
; codeLenInByte = 0
; TotalNumSgprs: 0
; NumVgprs: 0
; ScratchSize: 0
; MemoryBound: 0
; FloatMode: 240
; IeeeMode: 1
; LDSByteSize: 0 bytes/workgroup (compile time only)
; SGPRBlocks: 0
; VGPRBlocks: 0
; NumSGPRsForWavesPerEU: 1
; NumVGPRsForWavesPerEU: 1
; Occupancy: 16
; WaveLimiterHint : 0
; COMPUTE_PGM_RSRC2:SCRATCH_EN: 0
; COMPUTE_PGM_RSRC2:USER_SGPR: 2
; COMPUTE_PGM_RSRC2:TRAP_HANDLER: 0
; COMPUTE_PGM_RSRC2:TGID_X_EN: 1
; COMPUTE_PGM_RSRC2:TGID_Y_EN: 0
; COMPUTE_PGM_RSRC2:TGID_Z_EN: 0
; COMPUTE_PGM_RSRC2:TIDIG_COMP_CNT: 0
	.section	.text._ZN7rocprim17ROCPRIM_400000_NS6detail17trampoline_kernelINS0_14default_configENS1_25partition_config_selectorILNS1_17partition_subalgoE6EiNS0_10empty_typeEbEEZZNS1_14partition_implILS5_6ELb0ES3_mN6thrust23THRUST_200600_302600_NS6detail15normal_iteratorINSA_10device_ptrIiEEEEPS6_SG_NS0_5tupleIJSF_S6_EEENSH_IJSG_SG_EEES6_PlJ6is_oddIiEEEE10hipError_tPvRmT3_T4_T5_T6_T7_T9_mT8_P12ihipStream_tbDpT10_ENKUlT_T0_E_clISt17integral_constantIbLb0EES15_IbLb1EEEEDaS11_S12_EUlS11_E_NS1_11comp_targetILNS1_3genE5ELNS1_11target_archE942ELNS1_3gpuE9ELNS1_3repE0EEENS1_30default_config_static_selectorELNS0_4arch9wavefront6targetE0EEEvT1_,"axG",@progbits,_ZN7rocprim17ROCPRIM_400000_NS6detail17trampoline_kernelINS0_14default_configENS1_25partition_config_selectorILNS1_17partition_subalgoE6EiNS0_10empty_typeEbEEZZNS1_14partition_implILS5_6ELb0ES3_mN6thrust23THRUST_200600_302600_NS6detail15normal_iteratorINSA_10device_ptrIiEEEEPS6_SG_NS0_5tupleIJSF_S6_EEENSH_IJSG_SG_EEES6_PlJ6is_oddIiEEEE10hipError_tPvRmT3_T4_T5_T6_T7_T9_mT8_P12ihipStream_tbDpT10_ENKUlT_T0_E_clISt17integral_constantIbLb0EES15_IbLb1EEEEDaS11_S12_EUlS11_E_NS1_11comp_targetILNS1_3genE5ELNS1_11target_archE942ELNS1_3gpuE9ELNS1_3repE0EEENS1_30default_config_static_selectorELNS0_4arch9wavefront6targetE0EEEvT1_,comdat
	.protected	_ZN7rocprim17ROCPRIM_400000_NS6detail17trampoline_kernelINS0_14default_configENS1_25partition_config_selectorILNS1_17partition_subalgoE6EiNS0_10empty_typeEbEEZZNS1_14partition_implILS5_6ELb0ES3_mN6thrust23THRUST_200600_302600_NS6detail15normal_iteratorINSA_10device_ptrIiEEEEPS6_SG_NS0_5tupleIJSF_S6_EEENSH_IJSG_SG_EEES6_PlJ6is_oddIiEEEE10hipError_tPvRmT3_T4_T5_T6_T7_T9_mT8_P12ihipStream_tbDpT10_ENKUlT_T0_E_clISt17integral_constantIbLb0EES15_IbLb1EEEEDaS11_S12_EUlS11_E_NS1_11comp_targetILNS1_3genE5ELNS1_11target_archE942ELNS1_3gpuE9ELNS1_3repE0EEENS1_30default_config_static_selectorELNS0_4arch9wavefront6targetE0EEEvT1_ ; -- Begin function _ZN7rocprim17ROCPRIM_400000_NS6detail17trampoline_kernelINS0_14default_configENS1_25partition_config_selectorILNS1_17partition_subalgoE6EiNS0_10empty_typeEbEEZZNS1_14partition_implILS5_6ELb0ES3_mN6thrust23THRUST_200600_302600_NS6detail15normal_iteratorINSA_10device_ptrIiEEEEPS6_SG_NS0_5tupleIJSF_S6_EEENSH_IJSG_SG_EEES6_PlJ6is_oddIiEEEE10hipError_tPvRmT3_T4_T5_T6_T7_T9_mT8_P12ihipStream_tbDpT10_ENKUlT_T0_E_clISt17integral_constantIbLb0EES15_IbLb1EEEEDaS11_S12_EUlS11_E_NS1_11comp_targetILNS1_3genE5ELNS1_11target_archE942ELNS1_3gpuE9ELNS1_3repE0EEENS1_30default_config_static_selectorELNS0_4arch9wavefront6targetE0EEEvT1_
	.globl	_ZN7rocprim17ROCPRIM_400000_NS6detail17trampoline_kernelINS0_14default_configENS1_25partition_config_selectorILNS1_17partition_subalgoE6EiNS0_10empty_typeEbEEZZNS1_14partition_implILS5_6ELb0ES3_mN6thrust23THRUST_200600_302600_NS6detail15normal_iteratorINSA_10device_ptrIiEEEEPS6_SG_NS0_5tupleIJSF_S6_EEENSH_IJSG_SG_EEES6_PlJ6is_oddIiEEEE10hipError_tPvRmT3_T4_T5_T6_T7_T9_mT8_P12ihipStream_tbDpT10_ENKUlT_T0_E_clISt17integral_constantIbLb0EES15_IbLb1EEEEDaS11_S12_EUlS11_E_NS1_11comp_targetILNS1_3genE5ELNS1_11target_archE942ELNS1_3gpuE9ELNS1_3repE0EEENS1_30default_config_static_selectorELNS0_4arch9wavefront6targetE0EEEvT1_
	.p2align	8
	.type	_ZN7rocprim17ROCPRIM_400000_NS6detail17trampoline_kernelINS0_14default_configENS1_25partition_config_selectorILNS1_17partition_subalgoE6EiNS0_10empty_typeEbEEZZNS1_14partition_implILS5_6ELb0ES3_mN6thrust23THRUST_200600_302600_NS6detail15normal_iteratorINSA_10device_ptrIiEEEEPS6_SG_NS0_5tupleIJSF_S6_EEENSH_IJSG_SG_EEES6_PlJ6is_oddIiEEEE10hipError_tPvRmT3_T4_T5_T6_T7_T9_mT8_P12ihipStream_tbDpT10_ENKUlT_T0_E_clISt17integral_constantIbLb0EES15_IbLb1EEEEDaS11_S12_EUlS11_E_NS1_11comp_targetILNS1_3genE5ELNS1_11target_archE942ELNS1_3gpuE9ELNS1_3repE0EEENS1_30default_config_static_selectorELNS0_4arch9wavefront6targetE0EEEvT1_,@function
_ZN7rocprim17ROCPRIM_400000_NS6detail17trampoline_kernelINS0_14default_configENS1_25partition_config_selectorILNS1_17partition_subalgoE6EiNS0_10empty_typeEbEEZZNS1_14partition_implILS5_6ELb0ES3_mN6thrust23THRUST_200600_302600_NS6detail15normal_iteratorINSA_10device_ptrIiEEEEPS6_SG_NS0_5tupleIJSF_S6_EEENSH_IJSG_SG_EEES6_PlJ6is_oddIiEEEE10hipError_tPvRmT3_T4_T5_T6_T7_T9_mT8_P12ihipStream_tbDpT10_ENKUlT_T0_E_clISt17integral_constantIbLb0EES15_IbLb1EEEEDaS11_S12_EUlS11_E_NS1_11comp_targetILNS1_3genE5ELNS1_11target_archE942ELNS1_3gpuE9ELNS1_3repE0EEENS1_30default_config_static_selectorELNS0_4arch9wavefront6targetE0EEEvT1_: ; @_ZN7rocprim17ROCPRIM_400000_NS6detail17trampoline_kernelINS0_14default_configENS1_25partition_config_selectorILNS1_17partition_subalgoE6EiNS0_10empty_typeEbEEZZNS1_14partition_implILS5_6ELb0ES3_mN6thrust23THRUST_200600_302600_NS6detail15normal_iteratorINSA_10device_ptrIiEEEEPS6_SG_NS0_5tupleIJSF_S6_EEENSH_IJSG_SG_EEES6_PlJ6is_oddIiEEEE10hipError_tPvRmT3_T4_T5_T6_T7_T9_mT8_P12ihipStream_tbDpT10_ENKUlT_T0_E_clISt17integral_constantIbLb0EES15_IbLb1EEEEDaS11_S12_EUlS11_E_NS1_11comp_targetILNS1_3genE5ELNS1_11target_archE942ELNS1_3gpuE9ELNS1_3repE0EEENS1_30default_config_static_selectorELNS0_4arch9wavefront6targetE0EEEvT1_
; %bb.0:
	.section	.rodata,"a",@progbits
	.p2align	6, 0x0
	.amdhsa_kernel _ZN7rocprim17ROCPRIM_400000_NS6detail17trampoline_kernelINS0_14default_configENS1_25partition_config_selectorILNS1_17partition_subalgoE6EiNS0_10empty_typeEbEEZZNS1_14partition_implILS5_6ELb0ES3_mN6thrust23THRUST_200600_302600_NS6detail15normal_iteratorINSA_10device_ptrIiEEEEPS6_SG_NS0_5tupleIJSF_S6_EEENSH_IJSG_SG_EEES6_PlJ6is_oddIiEEEE10hipError_tPvRmT3_T4_T5_T6_T7_T9_mT8_P12ihipStream_tbDpT10_ENKUlT_T0_E_clISt17integral_constantIbLb0EES15_IbLb1EEEEDaS11_S12_EUlS11_E_NS1_11comp_targetILNS1_3genE5ELNS1_11target_archE942ELNS1_3gpuE9ELNS1_3repE0EEENS1_30default_config_static_selectorELNS0_4arch9wavefront6targetE0EEEvT1_
		.amdhsa_group_segment_fixed_size 0
		.amdhsa_private_segment_fixed_size 0
		.amdhsa_kernarg_size 128
		.amdhsa_user_sgpr_count 2
		.amdhsa_user_sgpr_dispatch_ptr 0
		.amdhsa_user_sgpr_queue_ptr 0
		.amdhsa_user_sgpr_kernarg_segment_ptr 1
		.amdhsa_user_sgpr_dispatch_id 0
		.amdhsa_user_sgpr_private_segment_size 0
		.amdhsa_wavefront_size32 1
		.amdhsa_uses_dynamic_stack 0
		.amdhsa_enable_private_segment 0
		.amdhsa_system_sgpr_workgroup_id_x 1
		.amdhsa_system_sgpr_workgroup_id_y 0
		.amdhsa_system_sgpr_workgroup_id_z 0
		.amdhsa_system_sgpr_workgroup_info 0
		.amdhsa_system_vgpr_workitem_id 0
		.amdhsa_next_free_vgpr 1
		.amdhsa_next_free_sgpr 1
		.amdhsa_reserve_vcc 0
		.amdhsa_float_round_mode_32 0
		.amdhsa_float_round_mode_16_64 0
		.amdhsa_float_denorm_mode_32 3
		.amdhsa_float_denorm_mode_16_64 3
		.amdhsa_fp16_overflow 0
		.amdhsa_workgroup_processor_mode 1
		.amdhsa_memory_ordered 1
		.amdhsa_forward_progress 1
		.amdhsa_inst_pref_size 0
		.amdhsa_round_robin_scheduling 0
		.amdhsa_exception_fp_ieee_invalid_op 0
		.amdhsa_exception_fp_denorm_src 0
		.amdhsa_exception_fp_ieee_div_zero 0
		.amdhsa_exception_fp_ieee_overflow 0
		.amdhsa_exception_fp_ieee_underflow 0
		.amdhsa_exception_fp_ieee_inexact 0
		.amdhsa_exception_int_div_zero 0
	.end_amdhsa_kernel
	.section	.text._ZN7rocprim17ROCPRIM_400000_NS6detail17trampoline_kernelINS0_14default_configENS1_25partition_config_selectorILNS1_17partition_subalgoE6EiNS0_10empty_typeEbEEZZNS1_14partition_implILS5_6ELb0ES3_mN6thrust23THRUST_200600_302600_NS6detail15normal_iteratorINSA_10device_ptrIiEEEEPS6_SG_NS0_5tupleIJSF_S6_EEENSH_IJSG_SG_EEES6_PlJ6is_oddIiEEEE10hipError_tPvRmT3_T4_T5_T6_T7_T9_mT8_P12ihipStream_tbDpT10_ENKUlT_T0_E_clISt17integral_constantIbLb0EES15_IbLb1EEEEDaS11_S12_EUlS11_E_NS1_11comp_targetILNS1_3genE5ELNS1_11target_archE942ELNS1_3gpuE9ELNS1_3repE0EEENS1_30default_config_static_selectorELNS0_4arch9wavefront6targetE0EEEvT1_,"axG",@progbits,_ZN7rocprim17ROCPRIM_400000_NS6detail17trampoline_kernelINS0_14default_configENS1_25partition_config_selectorILNS1_17partition_subalgoE6EiNS0_10empty_typeEbEEZZNS1_14partition_implILS5_6ELb0ES3_mN6thrust23THRUST_200600_302600_NS6detail15normal_iteratorINSA_10device_ptrIiEEEEPS6_SG_NS0_5tupleIJSF_S6_EEENSH_IJSG_SG_EEES6_PlJ6is_oddIiEEEE10hipError_tPvRmT3_T4_T5_T6_T7_T9_mT8_P12ihipStream_tbDpT10_ENKUlT_T0_E_clISt17integral_constantIbLb0EES15_IbLb1EEEEDaS11_S12_EUlS11_E_NS1_11comp_targetILNS1_3genE5ELNS1_11target_archE942ELNS1_3gpuE9ELNS1_3repE0EEENS1_30default_config_static_selectorELNS0_4arch9wavefront6targetE0EEEvT1_,comdat
.Lfunc_end40:
	.size	_ZN7rocprim17ROCPRIM_400000_NS6detail17trampoline_kernelINS0_14default_configENS1_25partition_config_selectorILNS1_17partition_subalgoE6EiNS0_10empty_typeEbEEZZNS1_14partition_implILS5_6ELb0ES3_mN6thrust23THRUST_200600_302600_NS6detail15normal_iteratorINSA_10device_ptrIiEEEEPS6_SG_NS0_5tupleIJSF_S6_EEENSH_IJSG_SG_EEES6_PlJ6is_oddIiEEEE10hipError_tPvRmT3_T4_T5_T6_T7_T9_mT8_P12ihipStream_tbDpT10_ENKUlT_T0_E_clISt17integral_constantIbLb0EES15_IbLb1EEEEDaS11_S12_EUlS11_E_NS1_11comp_targetILNS1_3genE5ELNS1_11target_archE942ELNS1_3gpuE9ELNS1_3repE0EEENS1_30default_config_static_selectorELNS0_4arch9wavefront6targetE0EEEvT1_, .Lfunc_end40-_ZN7rocprim17ROCPRIM_400000_NS6detail17trampoline_kernelINS0_14default_configENS1_25partition_config_selectorILNS1_17partition_subalgoE6EiNS0_10empty_typeEbEEZZNS1_14partition_implILS5_6ELb0ES3_mN6thrust23THRUST_200600_302600_NS6detail15normal_iteratorINSA_10device_ptrIiEEEEPS6_SG_NS0_5tupleIJSF_S6_EEENSH_IJSG_SG_EEES6_PlJ6is_oddIiEEEE10hipError_tPvRmT3_T4_T5_T6_T7_T9_mT8_P12ihipStream_tbDpT10_ENKUlT_T0_E_clISt17integral_constantIbLb0EES15_IbLb1EEEEDaS11_S12_EUlS11_E_NS1_11comp_targetILNS1_3genE5ELNS1_11target_archE942ELNS1_3gpuE9ELNS1_3repE0EEENS1_30default_config_static_selectorELNS0_4arch9wavefront6targetE0EEEvT1_
                                        ; -- End function
	.set _ZN7rocprim17ROCPRIM_400000_NS6detail17trampoline_kernelINS0_14default_configENS1_25partition_config_selectorILNS1_17partition_subalgoE6EiNS0_10empty_typeEbEEZZNS1_14partition_implILS5_6ELb0ES3_mN6thrust23THRUST_200600_302600_NS6detail15normal_iteratorINSA_10device_ptrIiEEEEPS6_SG_NS0_5tupleIJSF_S6_EEENSH_IJSG_SG_EEES6_PlJ6is_oddIiEEEE10hipError_tPvRmT3_T4_T5_T6_T7_T9_mT8_P12ihipStream_tbDpT10_ENKUlT_T0_E_clISt17integral_constantIbLb0EES15_IbLb1EEEEDaS11_S12_EUlS11_E_NS1_11comp_targetILNS1_3genE5ELNS1_11target_archE942ELNS1_3gpuE9ELNS1_3repE0EEENS1_30default_config_static_selectorELNS0_4arch9wavefront6targetE0EEEvT1_.num_vgpr, 0
	.set _ZN7rocprim17ROCPRIM_400000_NS6detail17trampoline_kernelINS0_14default_configENS1_25partition_config_selectorILNS1_17partition_subalgoE6EiNS0_10empty_typeEbEEZZNS1_14partition_implILS5_6ELb0ES3_mN6thrust23THRUST_200600_302600_NS6detail15normal_iteratorINSA_10device_ptrIiEEEEPS6_SG_NS0_5tupleIJSF_S6_EEENSH_IJSG_SG_EEES6_PlJ6is_oddIiEEEE10hipError_tPvRmT3_T4_T5_T6_T7_T9_mT8_P12ihipStream_tbDpT10_ENKUlT_T0_E_clISt17integral_constantIbLb0EES15_IbLb1EEEEDaS11_S12_EUlS11_E_NS1_11comp_targetILNS1_3genE5ELNS1_11target_archE942ELNS1_3gpuE9ELNS1_3repE0EEENS1_30default_config_static_selectorELNS0_4arch9wavefront6targetE0EEEvT1_.num_agpr, 0
	.set _ZN7rocprim17ROCPRIM_400000_NS6detail17trampoline_kernelINS0_14default_configENS1_25partition_config_selectorILNS1_17partition_subalgoE6EiNS0_10empty_typeEbEEZZNS1_14partition_implILS5_6ELb0ES3_mN6thrust23THRUST_200600_302600_NS6detail15normal_iteratorINSA_10device_ptrIiEEEEPS6_SG_NS0_5tupleIJSF_S6_EEENSH_IJSG_SG_EEES6_PlJ6is_oddIiEEEE10hipError_tPvRmT3_T4_T5_T6_T7_T9_mT8_P12ihipStream_tbDpT10_ENKUlT_T0_E_clISt17integral_constantIbLb0EES15_IbLb1EEEEDaS11_S12_EUlS11_E_NS1_11comp_targetILNS1_3genE5ELNS1_11target_archE942ELNS1_3gpuE9ELNS1_3repE0EEENS1_30default_config_static_selectorELNS0_4arch9wavefront6targetE0EEEvT1_.numbered_sgpr, 0
	.set _ZN7rocprim17ROCPRIM_400000_NS6detail17trampoline_kernelINS0_14default_configENS1_25partition_config_selectorILNS1_17partition_subalgoE6EiNS0_10empty_typeEbEEZZNS1_14partition_implILS5_6ELb0ES3_mN6thrust23THRUST_200600_302600_NS6detail15normal_iteratorINSA_10device_ptrIiEEEEPS6_SG_NS0_5tupleIJSF_S6_EEENSH_IJSG_SG_EEES6_PlJ6is_oddIiEEEE10hipError_tPvRmT3_T4_T5_T6_T7_T9_mT8_P12ihipStream_tbDpT10_ENKUlT_T0_E_clISt17integral_constantIbLb0EES15_IbLb1EEEEDaS11_S12_EUlS11_E_NS1_11comp_targetILNS1_3genE5ELNS1_11target_archE942ELNS1_3gpuE9ELNS1_3repE0EEENS1_30default_config_static_selectorELNS0_4arch9wavefront6targetE0EEEvT1_.num_named_barrier, 0
	.set _ZN7rocprim17ROCPRIM_400000_NS6detail17trampoline_kernelINS0_14default_configENS1_25partition_config_selectorILNS1_17partition_subalgoE6EiNS0_10empty_typeEbEEZZNS1_14partition_implILS5_6ELb0ES3_mN6thrust23THRUST_200600_302600_NS6detail15normal_iteratorINSA_10device_ptrIiEEEEPS6_SG_NS0_5tupleIJSF_S6_EEENSH_IJSG_SG_EEES6_PlJ6is_oddIiEEEE10hipError_tPvRmT3_T4_T5_T6_T7_T9_mT8_P12ihipStream_tbDpT10_ENKUlT_T0_E_clISt17integral_constantIbLb0EES15_IbLb1EEEEDaS11_S12_EUlS11_E_NS1_11comp_targetILNS1_3genE5ELNS1_11target_archE942ELNS1_3gpuE9ELNS1_3repE0EEENS1_30default_config_static_selectorELNS0_4arch9wavefront6targetE0EEEvT1_.private_seg_size, 0
	.set _ZN7rocprim17ROCPRIM_400000_NS6detail17trampoline_kernelINS0_14default_configENS1_25partition_config_selectorILNS1_17partition_subalgoE6EiNS0_10empty_typeEbEEZZNS1_14partition_implILS5_6ELb0ES3_mN6thrust23THRUST_200600_302600_NS6detail15normal_iteratorINSA_10device_ptrIiEEEEPS6_SG_NS0_5tupleIJSF_S6_EEENSH_IJSG_SG_EEES6_PlJ6is_oddIiEEEE10hipError_tPvRmT3_T4_T5_T6_T7_T9_mT8_P12ihipStream_tbDpT10_ENKUlT_T0_E_clISt17integral_constantIbLb0EES15_IbLb1EEEEDaS11_S12_EUlS11_E_NS1_11comp_targetILNS1_3genE5ELNS1_11target_archE942ELNS1_3gpuE9ELNS1_3repE0EEENS1_30default_config_static_selectorELNS0_4arch9wavefront6targetE0EEEvT1_.uses_vcc, 0
	.set _ZN7rocprim17ROCPRIM_400000_NS6detail17trampoline_kernelINS0_14default_configENS1_25partition_config_selectorILNS1_17partition_subalgoE6EiNS0_10empty_typeEbEEZZNS1_14partition_implILS5_6ELb0ES3_mN6thrust23THRUST_200600_302600_NS6detail15normal_iteratorINSA_10device_ptrIiEEEEPS6_SG_NS0_5tupleIJSF_S6_EEENSH_IJSG_SG_EEES6_PlJ6is_oddIiEEEE10hipError_tPvRmT3_T4_T5_T6_T7_T9_mT8_P12ihipStream_tbDpT10_ENKUlT_T0_E_clISt17integral_constantIbLb0EES15_IbLb1EEEEDaS11_S12_EUlS11_E_NS1_11comp_targetILNS1_3genE5ELNS1_11target_archE942ELNS1_3gpuE9ELNS1_3repE0EEENS1_30default_config_static_selectorELNS0_4arch9wavefront6targetE0EEEvT1_.uses_flat_scratch, 0
	.set _ZN7rocprim17ROCPRIM_400000_NS6detail17trampoline_kernelINS0_14default_configENS1_25partition_config_selectorILNS1_17partition_subalgoE6EiNS0_10empty_typeEbEEZZNS1_14partition_implILS5_6ELb0ES3_mN6thrust23THRUST_200600_302600_NS6detail15normal_iteratorINSA_10device_ptrIiEEEEPS6_SG_NS0_5tupleIJSF_S6_EEENSH_IJSG_SG_EEES6_PlJ6is_oddIiEEEE10hipError_tPvRmT3_T4_T5_T6_T7_T9_mT8_P12ihipStream_tbDpT10_ENKUlT_T0_E_clISt17integral_constantIbLb0EES15_IbLb1EEEEDaS11_S12_EUlS11_E_NS1_11comp_targetILNS1_3genE5ELNS1_11target_archE942ELNS1_3gpuE9ELNS1_3repE0EEENS1_30default_config_static_selectorELNS0_4arch9wavefront6targetE0EEEvT1_.has_dyn_sized_stack, 0
	.set _ZN7rocprim17ROCPRIM_400000_NS6detail17trampoline_kernelINS0_14default_configENS1_25partition_config_selectorILNS1_17partition_subalgoE6EiNS0_10empty_typeEbEEZZNS1_14partition_implILS5_6ELb0ES3_mN6thrust23THRUST_200600_302600_NS6detail15normal_iteratorINSA_10device_ptrIiEEEEPS6_SG_NS0_5tupleIJSF_S6_EEENSH_IJSG_SG_EEES6_PlJ6is_oddIiEEEE10hipError_tPvRmT3_T4_T5_T6_T7_T9_mT8_P12ihipStream_tbDpT10_ENKUlT_T0_E_clISt17integral_constantIbLb0EES15_IbLb1EEEEDaS11_S12_EUlS11_E_NS1_11comp_targetILNS1_3genE5ELNS1_11target_archE942ELNS1_3gpuE9ELNS1_3repE0EEENS1_30default_config_static_selectorELNS0_4arch9wavefront6targetE0EEEvT1_.has_recursion, 0
	.set _ZN7rocprim17ROCPRIM_400000_NS6detail17trampoline_kernelINS0_14default_configENS1_25partition_config_selectorILNS1_17partition_subalgoE6EiNS0_10empty_typeEbEEZZNS1_14partition_implILS5_6ELb0ES3_mN6thrust23THRUST_200600_302600_NS6detail15normal_iteratorINSA_10device_ptrIiEEEEPS6_SG_NS0_5tupleIJSF_S6_EEENSH_IJSG_SG_EEES6_PlJ6is_oddIiEEEE10hipError_tPvRmT3_T4_T5_T6_T7_T9_mT8_P12ihipStream_tbDpT10_ENKUlT_T0_E_clISt17integral_constantIbLb0EES15_IbLb1EEEEDaS11_S12_EUlS11_E_NS1_11comp_targetILNS1_3genE5ELNS1_11target_archE942ELNS1_3gpuE9ELNS1_3repE0EEENS1_30default_config_static_selectorELNS0_4arch9wavefront6targetE0EEEvT1_.has_indirect_call, 0
	.section	.AMDGPU.csdata,"",@progbits
; Kernel info:
; codeLenInByte = 0
; TotalNumSgprs: 0
; NumVgprs: 0
; ScratchSize: 0
; MemoryBound: 0
; FloatMode: 240
; IeeeMode: 1
; LDSByteSize: 0 bytes/workgroup (compile time only)
; SGPRBlocks: 0
; VGPRBlocks: 0
; NumSGPRsForWavesPerEU: 1
; NumVGPRsForWavesPerEU: 1
; Occupancy: 16
; WaveLimiterHint : 0
; COMPUTE_PGM_RSRC2:SCRATCH_EN: 0
; COMPUTE_PGM_RSRC2:USER_SGPR: 2
; COMPUTE_PGM_RSRC2:TRAP_HANDLER: 0
; COMPUTE_PGM_RSRC2:TGID_X_EN: 1
; COMPUTE_PGM_RSRC2:TGID_Y_EN: 0
; COMPUTE_PGM_RSRC2:TGID_Z_EN: 0
; COMPUTE_PGM_RSRC2:TIDIG_COMP_CNT: 0
	.section	.text._ZN7rocprim17ROCPRIM_400000_NS6detail17trampoline_kernelINS0_14default_configENS1_25partition_config_selectorILNS1_17partition_subalgoE6EiNS0_10empty_typeEbEEZZNS1_14partition_implILS5_6ELb0ES3_mN6thrust23THRUST_200600_302600_NS6detail15normal_iteratorINSA_10device_ptrIiEEEEPS6_SG_NS0_5tupleIJSF_S6_EEENSH_IJSG_SG_EEES6_PlJ6is_oddIiEEEE10hipError_tPvRmT3_T4_T5_T6_T7_T9_mT8_P12ihipStream_tbDpT10_ENKUlT_T0_E_clISt17integral_constantIbLb0EES15_IbLb1EEEEDaS11_S12_EUlS11_E_NS1_11comp_targetILNS1_3genE4ELNS1_11target_archE910ELNS1_3gpuE8ELNS1_3repE0EEENS1_30default_config_static_selectorELNS0_4arch9wavefront6targetE0EEEvT1_,"axG",@progbits,_ZN7rocprim17ROCPRIM_400000_NS6detail17trampoline_kernelINS0_14default_configENS1_25partition_config_selectorILNS1_17partition_subalgoE6EiNS0_10empty_typeEbEEZZNS1_14partition_implILS5_6ELb0ES3_mN6thrust23THRUST_200600_302600_NS6detail15normal_iteratorINSA_10device_ptrIiEEEEPS6_SG_NS0_5tupleIJSF_S6_EEENSH_IJSG_SG_EEES6_PlJ6is_oddIiEEEE10hipError_tPvRmT3_T4_T5_T6_T7_T9_mT8_P12ihipStream_tbDpT10_ENKUlT_T0_E_clISt17integral_constantIbLb0EES15_IbLb1EEEEDaS11_S12_EUlS11_E_NS1_11comp_targetILNS1_3genE4ELNS1_11target_archE910ELNS1_3gpuE8ELNS1_3repE0EEENS1_30default_config_static_selectorELNS0_4arch9wavefront6targetE0EEEvT1_,comdat
	.protected	_ZN7rocprim17ROCPRIM_400000_NS6detail17trampoline_kernelINS0_14default_configENS1_25partition_config_selectorILNS1_17partition_subalgoE6EiNS0_10empty_typeEbEEZZNS1_14partition_implILS5_6ELb0ES3_mN6thrust23THRUST_200600_302600_NS6detail15normal_iteratorINSA_10device_ptrIiEEEEPS6_SG_NS0_5tupleIJSF_S6_EEENSH_IJSG_SG_EEES6_PlJ6is_oddIiEEEE10hipError_tPvRmT3_T4_T5_T6_T7_T9_mT8_P12ihipStream_tbDpT10_ENKUlT_T0_E_clISt17integral_constantIbLb0EES15_IbLb1EEEEDaS11_S12_EUlS11_E_NS1_11comp_targetILNS1_3genE4ELNS1_11target_archE910ELNS1_3gpuE8ELNS1_3repE0EEENS1_30default_config_static_selectorELNS0_4arch9wavefront6targetE0EEEvT1_ ; -- Begin function _ZN7rocprim17ROCPRIM_400000_NS6detail17trampoline_kernelINS0_14default_configENS1_25partition_config_selectorILNS1_17partition_subalgoE6EiNS0_10empty_typeEbEEZZNS1_14partition_implILS5_6ELb0ES3_mN6thrust23THRUST_200600_302600_NS6detail15normal_iteratorINSA_10device_ptrIiEEEEPS6_SG_NS0_5tupleIJSF_S6_EEENSH_IJSG_SG_EEES6_PlJ6is_oddIiEEEE10hipError_tPvRmT3_T4_T5_T6_T7_T9_mT8_P12ihipStream_tbDpT10_ENKUlT_T0_E_clISt17integral_constantIbLb0EES15_IbLb1EEEEDaS11_S12_EUlS11_E_NS1_11comp_targetILNS1_3genE4ELNS1_11target_archE910ELNS1_3gpuE8ELNS1_3repE0EEENS1_30default_config_static_selectorELNS0_4arch9wavefront6targetE0EEEvT1_
	.globl	_ZN7rocprim17ROCPRIM_400000_NS6detail17trampoline_kernelINS0_14default_configENS1_25partition_config_selectorILNS1_17partition_subalgoE6EiNS0_10empty_typeEbEEZZNS1_14partition_implILS5_6ELb0ES3_mN6thrust23THRUST_200600_302600_NS6detail15normal_iteratorINSA_10device_ptrIiEEEEPS6_SG_NS0_5tupleIJSF_S6_EEENSH_IJSG_SG_EEES6_PlJ6is_oddIiEEEE10hipError_tPvRmT3_T4_T5_T6_T7_T9_mT8_P12ihipStream_tbDpT10_ENKUlT_T0_E_clISt17integral_constantIbLb0EES15_IbLb1EEEEDaS11_S12_EUlS11_E_NS1_11comp_targetILNS1_3genE4ELNS1_11target_archE910ELNS1_3gpuE8ELNS1_3repE0EEENS1_30default_config_static_selectorELNS0_4arch9wavefront6targetE0EEEvT1_
	.p2align	8
	.type	_ZN7rocprim17ROCPRIM_400000_NS6detail17trampoline_kernelINS0_14default_configENS1_25partition_config_selectorILNS1_17partition_subalgoE6EiNS0_10empty_typeEbEEZZNS1_14partition_implILS5_6ELb0ES3_mN6thrust23THRUST_200600_302600_NS6detail15normal_iteratorINSA_10device_ptrIiEEEEPS6_SG_NS0_5tupleIJSF_S6_EEENSH_IJSG_SG_EEES6_PlJ6is_oddIiEEEE10hipError_tPvRmT3_T4_T5_T6_T7_T9_mT8_P12ihipStream_tbDpT10_ENKUlT_T0_E_clISt17integral_constantIbLb0EES15_IbLb1EEEEDaS11_S12_EUlS11_E_NS1_11comp_targetILNS1_3genE4ELNS1_11target_archE910ELNS1_3gpuE8ELNS1_3repE0EEENS1_30default_config_static_selectorELNS0_4arch9wavefront6targetE0EEEvT1_,@function
_ZN7rocprim17ROCPRIM_400000_NS6detail17trampoline_kernelINS0_14default_configENS1_25partition_config_selectorILNS1_17partition_subalgoE6EiNS0_10empty_typeEbEEZZNS1_14partition_implILS5_6ELb0ES3_mN6thrust23THRUST_200600_302600_NS6detail15normal_iteratorINSA_10device_ptrIiEEEEPS6_SG_NS0_5tupleIJSF_S6_EEENSH_IJSG_SG_EEES6_PlJ6is_oddIiEEEE10hipError_tPvRmT3_T4_T5_T6_T7_T9_mT8_P12ihipStream_tbDpT10_ENKUlT_T0_E_clISt17integral_constantIbLb0EES15_IbLb1EEEEDaS11_S12_EUlS11_E_NS1_11comp_targetILNS1_3genE4ELNS1_11target_archE910ELNS1_3gpuE8ELNS1_3repE0EEENS1_30default_config_static_selectorELNS0_4arch9wavefront6targetE0EEEvT1_: ; @_ZN7rocprim17ROCPRIM_400000_NS6detail17trampoline_kernelINS0_14default_configENS1_25partition_config_selectorILNS1_17partition_subalgoE6EiNS0_10empty_typeEbEEZZNS1_14partition_implILS5_6ELb0ES3_mN6thrust23THRUST_200600_302600_NS6detail15normal_iteratorINSA_10device_ptrIiEEEEPS6_SG_NS0_5tupleIJSF_S6_EEENSH_IJSG_SG_EEES6_PlJ6is_oddIiEEEE10hipError_tPvRmT3_T4_T5_T6_T7_T9_mT8_P12ihipStream_tbDpT10_ENKUlT_T0_E_clISt17integral_constantIbLb0EES15_IbLb1EEEEDaS11_S12_EUlS11_E_NS1_11comp_targetILNS1_3genE4ELNS1_11target_archE910ELNS1_3gpuE8ELNS1_3repE0EEENS1_30default_config_static_selectorELNS0_4arch9wavefront6targetE0EEEvT1_
; %bb.0:
	.section	.rodata,"a",@progbits
	.p2align	6, 0x0
	.amdhsa_kernel _ZN7rocprim17ROCPRIM_400000_NS6detail17trampoline_kernelINS0_14default_configENS1_25partition_config_selectorILNS1_17partition_subalgoE6EiNS0_10empty_typeEbEEZZNS1_14partition_implILS5_6ELb0ES3_mN6thrust23THRUST_200600_302600_NS6detail15normal_iteratorINSA_10device_ptrIiEEEEPS6_SG_NS0_5tupleIJSF_S6_EEENSH_IJSG_SG_EEES6_PlJ6is_oddIiEEEE10hipError_tPvRmT3_T4_T5_T6_T7_T9_mT8_P12ihipStream_tbDpT10_ENKUlT_T0_E_clISt17integral_constantIbLb0EES15_IbLb1EEEEDaS11_S12_EUlS11_E_NS1_11comp_targetILNS1_3genE4ELNS1_11target_archE910ELNS1_3gpuE8ELNS1_3repE0EEENS1_30default_config_static_selectorELNS0_4arch9wavefront6targetE0EEEvT1_
		.amdhsa_group_segment_fixed_size 0
		.amdhsa_private_segment_fixed_size 0
		.amdhsa_kernarg_size 128
		.amdhsa_user_sgpr_count 2
		.amdhsa_user_sgpr_dispatch_ptr 0
		.amdhsa_user_sgpr_queue_ptr 0
		.amdhsa_user_sgpr_kernarg_segment_ptr 1
		.amdhsa_user_sgpr_dispatch_id 0
		.amdhsa_user_sgpr_private_segment_size 0
		.amdhsa_wavefront_size32 1
		.amdhsa_uses_dynamic_stack 0
		.amdhsa_enable_private_segment 0
		.amdhsa_system_sgpr_workgroup_id_x 1
		.amdhsa_system_sgpr_workgroup_id_y 0
		.amdhsa_system_sgpr_workgroup_id_z 0
		.amdhsa_system_sgpr_workgroup_info 0
		.amdhsa_system_vgpr_workitem_id 0
		.amdhsa_next_free_vgpr 1
		.amdhsa_next_free_sgpr 1
		.amdhsa_reserve_vcc 0
		.amdhsa_float_round_mode_32 0
		.amdhsa_float_round_mode_16_64 0
		.amdhsa_float_denorm_mode_32 3
		.amdhsa_float_denorm_mode_16_64 3
		.amdhsa_fp16_overflow 0
		.amdhsa_workgroup_processor_mode 1
		.amdhsa_memory_ordered 1
		.amdhsa_forward_progress 1
		.amdhsa_inst_pref_size 0
		.amdhsa_round_robin_scheduling 0
		.amdhsa_exception_fp_ieee_invalid_op 0
		.amdhsa_exception_fp_denorm_src 0
		.amdhsa_exception_fp_ieee_div_zero 0
		.amdhsa_exception_fp_ieee_overflow 0
		.amdhsa_exception_fp_ieee_underflow 0
		.amdhsa_exception_fp_ieee_inexact 0
		.amdhsa_exception_int_div_zero 0
	.end_amdhsa_kernel
	.section	.text._ZN7rocprim17ROCPRIM_400000_NS6detail17trampoline_kernelINS0_14default_configENS1_25partition_config_selectorILNS1_17partition_subalgoE6EiNS0_10empty_typeEbEEZZNS1_14partition_implILS5_6ELb0ES3_mN6thrust23THRUST_200600_302600_NS6detail15normal_iteratorINSA_10device_ptrIiEEEEPS6_SG_NS0_5tupleIJSF_S6_EEENSH_IJSG_SG_EEES6_PlJ6is_oddIiEEEE10hipError_tPvRmT3_T4_T5_T6_T7_T9_mT8_P12ihipStream_tbDpT10_ENKUlT_T0_E_clISt17integral_constantIbLb0EES15_IbLb1EEEEDaS11_S12_EUlS11_E_NS1_11comp_targetILNS1_3genE4ELNS1_11target_archE910ELNS1_3gpuE8ELNS1_3repE0EEENS1_30default_config_static_selectorELNS0_4arch9wavefront6targetE0EEEvT1_,"axG",@progbits,_ZN7rocprim17ROCPRIM_400000_NS6detail17trampoline_kernelINS0_14default_configENS1_25partition_config_selectorILNS1_17partition_subalgoE6EiNS0_10empty_typeEbEEZZNS1_14partition_implILS5_6ELb0ES3_mN6thrust23THRUST_200600_302600_NS6detail15normal_iteratorINSA_10device_ptrIiEEEEPS6_SG_NS0_5tupleIJSF_S6_EEENSH_IJSG_SG_EEES6_PlJ6is_oddIiEEEE10hipError_tPvRmT3_T4_T5_T6_T7_T9_mT8_P12ihipStream_tbDpT10_ENKUlT_T0_E_clISt17integral_constantIbLb0EES15_IbLb1EEEEDaS11_S12_EUlS11_E_NS1_11comp_targetILNS1_3genE4ELNS1_11target_archE910ELNS1_3gpuE8ELNS1_3repE0EEENS1_30default_config_static_selectorELNS0_4arch9wavefront6targetE0EEEvT1_,comdat
.Lfunc_end41:
	.size	_ZN7rocprim17ROCPRIM_400000_NS6detail17trampoline_kernelINS0_14default_configENS1_25partition_config_selectorILNS1_17partition_subalgoE6EiNS0_10empty_typeEbEEZZNS1_14partition_implILS5_6ELb0ES3_mN6thrust23THRUST_200600_302600_NS6detail15normal_iteratorINSA_10device_ptrIiEEEEPS6_SG_NS0_5tupleIJSF_S6_EEENSH_IJSG_SG_EEES6_PlJ6is_oddIiEEEE10hipError_tPvRmT3_T4_T5_T6_T7_T9_mT8_P12ihipStream_tbDpT10_ENKUlT_T0_E_clISt17integral_constantIbLb0EES15_IbLb1EEEEDaS11_S12_EUlS11_E_NS1_11comp_targetILNS1_3genE4ELNS1_11target_archE910ELNS1_3gpuE8ELNS1_3repE0EEENS1_30default_config_static_selectorELNS0_4arch9wavefront6targetE0EEEvT1_, .Lfunc_end41-_ZN7rocprim17ROCPRIM_400000_NS6detail17trampoline_kernelINS0_14default_configENS1_25partition_config_selectorILNS1_17partition_subalgoE6EiNS0_10empty_typeEbEEZZNS1_14partition_implILS5_6ELb0ES3_mN6thrust23THRUST_200600_302600_NS6detail15normal_iteratorINSA_10device_ptrIiEEEEPS6_SG_NS0_5tupleIJSF_S6_EEENSH_IJSG_SG_EEES6_PlJ6is_oddIiEEEE10hipError_tPvRmT3_T4_T5_T6_T7_T9_mT8_P12ihipStream_tbDpT10_ENKUlT_T0_E_clISt17integral_constantIbLb0EES15_IbLb1EEEEDaS11_S12_EUlS11_E_NS1_11comp_targetILNS1_3genE4ELNS1_11target_archE910ELNS1_3gpuE8ELNS1_3repE0EEENS1_30default_config_static_selectorELNS0_4arch9wavefront6targetE0EEEvT1_
                                        ; -- End function
	.set _ZN7rocprim17ROCPRIM_400000_NS6detail17trampoline_kernelINS0_14default_configENS1_25partition_config_selectorILNS1_17partition_subalgoE6EiNS0_10empty_typeEbEEZZNS1_14partition_implILS5_6ELb0ES3_mN6thrust23THRUST_200600_302600_NS6detail15normal_iteratorINSA_10device_ptrIiEEEEPS6_SG_NS0_5tupleIJSF_S6_EEENSH_IJSG_SG_EEES6_PlJ6is_oddIiEEEE10hipError_tPvRmT3_T4_T5_T6_T7_T9_mT8_P12ihipStream_tbDpT10_ENKUlT_T0_E_clISt17integral_constantIbLb0EES15_IbLb1EEEEDaS11_S12_EUlS11_E_NS1_11comp_targetILNS1_3genE4ELNS1_11target_archE910ELNS1_3gpuE8ELNS1_3repE0EEENS1_30default_config_static_selectorELNS0_4arch9wavefront6targetE0EEEvT1_.num_vgpr, 0
	.set _ZN7rocprim17ROCPRIM_400000_NS6detail17trampoline_kernelINS0_14default_configENS1_25partition_config_selectorILNS1_17partition_subalgoE6EiNS0_10empty_typeEbEEZZNS1_14partition_implILS5_6ELb0ES3_mN6thrust23THRUST_200600_302600_NS6detail15normal_iteratorINSA_10device_ptrIiEEEEPS6_SG_NS0_5tupleIJSF_S6_EEENSH_IJSG_SG_EEES6_PlJ6is_oddIiEEEE10hipError_tPvRmT3_T4_T5_T6_T7_T9_mT8_P12ihipStream_tbDpT10_ENKUlT_T0_E_clISt17integral_constantIbLb0EES15_IbLb1EEEEDaS11_S12_EUlS11_E_NS1_11comp_targetILNS1_3genE4ELNS1_11target_archE910ELNS1_3gpuE8ELNS1_3repE0EEENS1_30default_config_static_selectorELNS0_4arch9wavefront6targetE0EEEvT1_.num_agpr, 0
	.set _ZN7rocprim17ROCPRIM_400000_NS6detail17trampoline_kernelINS0_14default_configENS1_25partition_config_selectorILNS1_17partition_subalgoE6EiNS0_10empty_typeEbEEZZNS1_14partition_implILS5_6ELb0ES3_mN6thrust23THRUST_200600_302600_NS6detail15normal_iteratorINSA_10device_ptrIiEEEEPS6_SG_NS0_5tupleIJSF_S6_EEENSH_IJSG_SG_EEES6_PlJ6is_oddIiEEEE10hipError_tPvRmT3_T4_T5_T6_T7_T9_mT8_P12ihipStream_tbDpT10_ENKUlT_T0_E_clISt17integral_constantIbLb0EES15_IbLb1EEEEDaS11_S12_EUlS11_E_NS1_11comp_targetILNS1_3genE4ELNS1_11target_archE910ELNS1_3gpuE8ELNS1_3repE0EEENS1_30default_config_static_selectorELNS0_4arch9wavefront6targetE0EEEvT1_.numbered_sgpr, 0
	.set _ZN7rocprim17ROCPRIM_400000_NS6detail17trampoline_kernelINS0_14default_configENS1_25partition_config_selectorILNS1_17partition_subalgoE6EiNS0_10empty_typeEbEEZZNS1_14partition_implILS5_6ELb0ES3_mN6thrust23THRUST_200600_302600_NS6detail15normal_iteratorINSA_10device_ptrIiEEEEPS6_SG_NS0_5tupleIJSF_S6_EEENSH_IJSG_SG_EEES6_PlJ6is_oddIiEEEE10hipError_tPvRmT3_T4_T5_T6_T7_T9_mT8_P12ihipStream_tbDpT10_ENKUlT_T0_E_clISt17integral_constantIbLb0EES15_IbLb1EEEEDaS11_S12_EUlS11_E_NS1_11comp_targetILNS1_3genE4ELNS1_11target_archE910ELNS1_3gpuE8ELNS1_3repE0EEENS1_30default_config_static_selectorELNS0_4arch9wavefront6targetE0EEEvT1_.num_named_barrier, 0
	.set _ZN7rocprim17ROCPRIM_400000_NS6detail17trampoline_kernelINS0_14default_configENS1_25partition_config_selectorILNS1_17partition_subalgoE6EiNS0_10empty_typeEbEEZZNS1_14partition_implILS5_6ELb0ES3_mN6thrust23THRUST_200600_302600_NS6detail15normal_iteratorINSA_10device_ptrIiEEEEPS6_SG_NS0_5tupleIJSF_S6_EEENSH_IJSG_SG_EEES6_PlJ6is_oddIiEEEE10hipError_tPvRmT3_T4_T5_T6_T7_T9_mT8_P12ihipStream_tbDpT10_ENKUlT_T0_E_clISt17integral_constantIbLb0EES15_IbLb1EEEEDaS11_S12_EUlS11_E_NS1_11comp_targetILNS1_3genE4ELNS1_11target_archE910ELNS1_3gpuE8ELNS1_3repE0EEENS1_30default_config_static_selectorELNS0_4arch9wavefront6targetE0EEEvT1_.private_seg_size, 0
	.set _ZN7rocprim17ROCPRIM_400000_NS6detail17trampoline_kernelINS0_14default_configENS1_25partition_config_selectorILNS1_17partition_subalgoE6EiNS0_10empty_typeEbEEZZNS1_14partition_implILS5_6ELb0ES3_mN6thrust23THRUST_200600_302600_NS6detail15normal_iteratorINSA_10device_ptrIiEEEEPS6_SG_NS0_5tupleIJSF_S6_EEENSH_IJSG_SG_EEES6_PlJ6is_oddIiEEEE10hipError_tPvRmT3_T4_T5_T6_T7_T9_mT8_P12ihipStream_tbDpT10_ENKUlT_T0_E_clISt17integral_constantIbLb0EES15_IbLb1EEEEDaS11_S12_EUlS11_E_NS1_11comp_targetILNS1_3genE4ELNS1_11target_archE910ELNS1_3gpuE8ELNS1_3repE0EEENS1_30default_config_static_selectorELNS0_4arch9wavefront6targetE0EEEvT1_.uses_vcc, 0
	.set _ZN7rocprim17ROCPRIM_400000_NS6detail17trampoline_kernelINS0_14default_configENS1_25partition_config_selectorILNS1_17partition_subalgoE6EiNS0_10empty_typeEbEEZZNS1_14partition_implILS5_6ELb0ES3_mN6thrust23THRUST_200600_302600_NS6detail15normal_iteratorINSA_10device_ptrIiEEEEPS6_SG_NS0_5tupleIJSF_S6_EEENSH_IJSG_SG_EEES6_PlJ6is_oddIiEEEE10hipError_tPvRmT3_T4_T5_T6_T7_T9_mT8_P12ihipStream_tbDpT10_ENKUlT_T0_E_clISt17integral_constantIbLb0EES15_IbLb1EEEEDaS11_S12_EUlS11_E_NS1_11comp_targetILNS1_3genE4ELNS1_11target_archE910ELNS1_3gpuE8ELNS1_3repE0EEENS1_30default_config_static_selectorELNS0_4arch9wavefront6targetE0EEEvT1_.uses_flat_scratch, 0
	.set _ZN7rocprim17ROCPRIM_400000_NS6detail17trampoline_kernelINS0_14default_configENS1_25partition_config_selectorILNS1_17partition_subalgoE6EiNS0_10empty_typeEbEEZZNS1_14partition_implILS5_6ELb0ES3_mN6thrust23THRUST_200600_302600_NS6detail15normal_iteratorINSA_10device_ptrIiEEEEPS6_SG_NS0_5tupleIJSF_S6_EEENSH_IJSG_SG_EEES6_PlJ6is_oddIiEEEE10hipError_tPvRmT3_T4_T5_T6_T7_T9_mT8_P12ihipStream_tbDpT10_ENKUlT_T0_E_clISt17integral_constantIbLb0EES15_IbLb1EEEEDaS11_S12_EUlS11_E_NS1_11comp_targetILNS1_3genE4ELNS1_11target_archE910ELNS1_3gpuE8ELNS1_3repE0EEENS1_30default_config_static_selectorELNS0_4arch9wavefront6targetE0EEEvT1_.has_dyn_sized_stack, 0
	.set _ZN7rocprim17ROCPRIM_400000_NS6detail17trampoline_kernelINS0_14default_configENS1_25partition_config_selectorILNS1_17partition_subalgoE6EiNS0_10empty_typeEbEEZZNS1_14partition_implILS5_6ELb0ES3_mN6thrust23THRUST_200600_302600_NS6detail15normal_iteratorINSA_10device_ptrIiEEEEPS6_SG_NS0_5tupleIJSF_S6_EEENSH_IJSG_SG_EEES6_PlJ6is_oddIiEEEE10hipError_tPvRmT3_T4_T5_T6_T7_T9_mT8_P12ihipStream_tbDpT10_ENKUlT_T0_E_clISt17integral_constantIbLb0EES15_IbLb1EEEEDaS11_S12_EUlS11_E_NS1_11comp_targetILNS1_3genE4ELNS1_11target_archE910ELNS1_3gpuE8ELNS1_3repE0EEENS1_30default_config_static_selectorELNS0_4arch9wavefront6targetE0EEEvT1_.has_recursion, 0
	.set _ZN7rocprim17ROCPRIM_400000_NS6detail17trampoline_kernelINS0_14default_configENS1_25partition_config_selectorILNS1_17partition_subalgoE6EiNS0_10empty_typeEbEEZZNS1_14partition_implILS5_6ELb0ES3_mN6thrust23THRUST_200600_302600_NS6detail15normal_iteratorINSA_10device_ptrIiEEEEPS6_SG_NS0_5tupleIJSF_S6_EEENSH_IJSG_SG_EEES6_PlJ6is_oddIiEEEE10hipError_tPvRmT3_T4_T5_T6_T7_T9_mT8_P12ihipStream_tbDpT10_ENKUlT_T0_E_clISt17integral_constantIbLb0EES15_IbLb1EEEEDaS11_S12_EUlS11_E_NS1_11comp_targetILNS1_3genE4ELNS1_11target_archE910ELNS1_3gpuE8ELNS1_3repE0EEENS1_30default_config_static_selectorELNS0_4arch9wavefront6targetE0EEEvT1_.has_indirect_call, 0
	.section	.AMDGPU.csdata,"",@progbits
; Kernel info:
; codeLenInByte = 0
; TotalNumSgprs: 0
; NumVgprs: 0
; ScratchSize: 0
; MemoryBound: 0
; FloatMode: 240
; IeeeMode: 1
; LDSByteSize: 0 bytes/workgroup (compile time only)
; SGPRBlocks: 0
; VGPRBlocks: 0
; NumSGPRsForWavesPerEU: 1
; NumVGPRsForWavesPerEU: 1
; Occupancy: 16
; WaveLimiterHint : 0
; COMPUTE_PGM_RSRC2:SCRATCH_EN: 0
; COMPUTE_PGM_RSRC2:USER_SGPR: 2
; COMPUTE_PGM_RSRC2:TRAP_HANDLER: 0
; COMPUTE_PGM_RSRC2:TGID_X_EN: 1
; COMPUTE_PGM_RSRC2:TGID_Y_EN: 0
; COMPUTE_PGM_RSRC2:TGID_Z_EN: 0
; COMPUTE_PGM_RSRC2:TIDIG_COMP_CNT: 0
	.section	.text._ZN7rocprim17ROCPRIM_400000_NS6detail17trampoline_kernelINS0_14default_configENS1_25partition_config_selectorILNS1_17partition_subalgoE6EiNS0_10empty_typeEbEEZZNS1_14partition_implILS5_6ELb0ES3_mN6thrust23THRUST_200600_302600_NS6detail15normal_iteratorINSA_10device_ptrIiEEEEPS6_SG_NS0_5tupleIJSF_S6_EEENSH_IJSG_SG_EEES6_PlJ6is_oddIiEEEE10hipError_tPvRmT3_T4_T5_T6_T7_T9_mT8_P12ihipStream_tbDpT10_ENKUlT_T0_E_clISt17integral_constantIbLb0EES15_IbLb1EEEEDaS11_S12_EUlS11_E_NS1_11comp_targetILNS1_3genE3ELNS1_11target_archE908ELNS1_3gpuE7ELNS1_3repE0EEENS1_30default_config_static_selectorELNS0_4arch9wavefront6targetE0EEEvT1_,"axG",@progbits,_ZN7rocprim17ROCPRIM_400000_NS6detail17trampoline_kernelINS0_14default_configENS1_25partition_config_selectorILNS1_17partition_subalgoE6EiNS0_10empty_typeEbEEZZNS1_14partition_implILS5_6ELb0ES3_mN6thrust23THRUST_200600_302600_NS6detail15normal_iteratorINSA_10device_ptrIiEEEEPS6_SG_NS0_5tupleIJSF_S6_EEENSH_IJSG_SG_EEES6_PlJ6is_oddIiEEEE10hipError_tPvRmT3_T4_T5_T6_T7_T9_mT8_P12ihipStream_tbDpT10_ENKUlT_T0_E_clISt17integral_constantIbLb0EES15_IbLb1EEEEDaS11_S12_EUlS11_E_NS1_11comp_targetILNS1_3genE3ELNS1_11target_archE908ELNS1_3gpuE7ELNS1_3repE0EEENS1_30default_config_static_selectorELNS0_4arch9wavefront6targetE0EEEvT1_,comdat
	.protected	_ZN7rocprim17ROCPRIM_400000_NS6detail17trampoline_kernelINS0_14default_configENS1_25partition_config_selectorILNS1_17partition_subalgoE6EiNS0_10empty_typeEbEEZZNS1_14partition_implILS5_6ELb0ES3_mN6thrust23THRUST_200600_302600_NS6detail15normal_iteratorINSA_10device_ptrIiEEEEPS6_SG_NS0_5tupleIJSF_S6_EEENSH_IJSG_SG_EEES6_PlJ6is_oddIiEEEE10hipError_tPvRmT3_T4_T5_T6_T7_T9_mT8_P12ihipStream_tbDpT10_ENKUlT_T0_E_clISt17integral_constantIbLb0EES15_IbLb1EEEEDaS11_S12_EUlS11_E_NS1_11comp_targetILNS1_3genE3ELNS1_11target_archE908ELNS1_3gpuE7ELNS1_3repE0EEENS1_30default_config_static_selectorELNS0_4arch9wavefront6targetE0EEEvT1_ ; -- Begin function _ZN7rocprim17ROCPRIM_400000_NS6detail17trampoline_kernelINS0_14default_configENS1_25partition_config_selectorILNS1_17partition_subalgoE6EiNS0_10empty_typeEbEEZZNS1_14partition_implILS5_6ELb0ES3_mN6thrust23THRUST_200600_302600_NS6detail15normal_iteratorINSA_10device_ptrIiEEEEPS6_SG_NS0_5tupleIJSF_S6_EEENSH_IJSG_SG_EEES6_PlJ6is_oddIiEEEE10hipError_tPvRmT3_T4_T5_T6_T7_T9_mT8_P12ihipStream_tbDpT10_ENKUlT_T0_E_clISt17integral_constantIbLb0EES15_IbLb1EEEEDaS11_S12_EUlS11_E_NS1_11comp_targetILNS1_3genE3ELNS1_11target_archE908ELNS1_3gpuE7ELNS1_3repE0EEENS1_30default_config_static_selectorELNS0_4arch9wavefront6targetE0EEEvT1_
	.globl	_ZN7rocprim17ROCPRIM_400000_NS6detail17trampoline_kernelINS0_14default_configENS1_25partition_config_selectorILNS1_17partition_subalgoE6EiNS0_10empty_typeEbEEZZNS1_14partition_implILS5_6ELb0ES3_mN6thrust23THRUST_200600_302600_NS6detail15normal_iteratorINSA_10device_ptrIiEEEEPS6_SG_NS0_5tupleIJSF_S6_EEENSH_IJSG_SG_EEES6_PlJ6is_oddIiEEEE10hipError_tPvRmT3_T4_T5_T6_T7_T9_mT8_P12ihipStream_tbDpT10_ENKUlT_T0_E_clISt17integral_constantIbLb0EES15_IbLb1EEEEDaS11_S12_EUlS11_E_NS1_11comp_targetILNS1_3genE3ELNS1_11target_archE908ELNS1_3gpuE7ELNS1_3repE0EEENS1_30default_config_static_selectorELNS0_4arch9wavefront6targetE0EEEvT1_
	.p2align	8
	.type	_ZN7rocprim17ROCPRIM_400000_NS6detail17trampoline_kernelINS0_14default_configENS1_25partition_config_selectorILNS1_17partition_subalgoE6EiNS0_10empty_typeEbEEZZNS1_14partition_implILS5_6ELb0ES3_mN6thrust23THRUST_200600_302600_NS6detail15normal_iteratorINSA_10device_ptrIiEEEEPS6_SG_NS0_5tupleIJSF_S6_EEENSH_IJSG_SG_EEES6_PlJ6is_oddIiEEEE10hipError_tPvRmT3_T4_T5_T6_T7_T9_mT8_P12ihipStream_tbDpT10_ENKUlT_T0_E_clISt17integral_constantIbLb0EES15_IbLb1EEEEDaS11_S12_EUlS11_E_NS1_11comp_targetILNS1_3genE3ELNS1_11target_archE908ELNS1_3gpuE7ELNS1_3repE0EEENS1_30default_config_static_selectorELNS0_4arch9wavefront6targetE0EEEvT1_,@function
_ZN7rocprim17ROCPRIM_400000_NS6detail17trampoline_kernelINS0_14default_configENS1_25partition_config_selectorILNS1_17partition_subalgoE6EiNS0_10empty_typeEbEEZZNS1_14partition_implILS5_6ELb0ES3_mN6thrust23THRUST_200600_302600_NS6detail15normal_iteratorINSA_10device_ptrIiEEEEPS6_SG_NS0_5tupleIJSF_S6_EEENSH_IJSG_SG_EEES6_PlJ6is_oddIiEEEE10hipError_tPvRmT3_T4_T5_T6_T7_T9_mT8_P12ihipStream_tbDpT10_ENKUlT_T0_E_clISt17integral_constantIbLb0EES15_IbLb1EEEEDaS11_S12_EUlS11_E_NS1_11comp_targetILNS1_3genE3ELNS1_11target_archE908ELNS1_3gpuE7ELNS1_3repE0EEENS1_30default_config_static_selectorELNS0_4arch9wavefront6targetE0EEEvT1_: ; @_ZN7rocprim17ROCPRIM_400000_NS6detail17trampoline_kernelINS0_14default_configENS1_25partition_config_selectorILNS1_17partition_subalgoE6EiNS0_10empty_typeEbEEZZNS1_14partition_implILS5_6ELb0ES3_mN6thrust23THRUST_200600_302600_NS6detail15normal_iteratorINSA_10device_ptrIiEEEEPS6_SG_NS0_5tupleIJSF_S6_EEENSH_IJSG_SG_EEES6_PlJ6is_oddIiEEEE10hipError_tPvRmT3_T4_T5_T6_T7_T9_mT8_P12ihipStream_tbDpT10_ENKUlT_T0_E_clISt17integral_constantIbLb0EES15_IbLb1EEEEDaS11_S12_EUlS11_E_NS1_11comp_targetILNS1_3genE3ELNS1_11target_archE908ELNS1_3gpuE7ELNS1_3repE0EEENS1_30default_config_static_selectorELNS0_4arch9wavefront6targetE0EEEvT1_
; %bb.0:
	.section	.rodata,"a",@progbits
	.p2align	6, 0x0
	.amdhsa_kernel _ZN7rocprim17ROCPRIM_400000_NS6detail17trampoline_kernelINS0_14default_configENS1_25partition_config_selectorILNS1_17partition_subalgoE6EiNS0_10empty_typeEbEEZZNS1_14partition_implILS5_6ELb0ES3_mN6thrust23THRUST_200600_302600_NS6detail15normal_iteratorINSA_10device_ptrIiEEEEPS6_SG_NS0_5tupleIJSF_S6_EEENSH_IJSG_SG_EEES6_PlJ6is_oddIiEEEE10hipError_tPvRmT3_T4_T5_T6_T7_T9_mT8_P12ihipStream_tbDpT10_ENKUlT_T0_E_clISt17integral_constantIbLb0EES15_IbLb1EEEEDaS11_S12_EUlS11_E_NS1_11comp_targetILNS1_3genE3ELNS1_11target_archE908ELNS1_3gpuE7ELNS1_3repE0EEENS1_30default_config_static_selectorELNS0_4arch9wavefront6targetE0EEEvT1_
		.amdhsa_group_segment_fixed_size 0
		.amdhsa_private_segment_fixed_size 0
		.amdhsa_kernarg_size 128
		.amdhsa_user_sgpr_count 2
		.amdhsa_user_sgpr_dispatch_ptr 0
		.amdhsa_user_sgpr_queue_ptr 0
		.amdhsa_user_sgpr_kernarg_segment_ptr 1
		.amdhsa_user_sgpr_dispatch_id 0
		.amdhsa_user_sgpr_private_segment_size 0
		.amdhsa_wavefront_size32 1
		.amdhsa_uses_dynamic_stack 0
		.amdhsa_enable_private_segment 0
		.amdhsa_system_sgpr_workgroup_id_x 1
		.amdhsa_system_sgpr_workgroup_id_y 0
		.amdhsa_system_sgpr_workgroup_id_z 0
		.amdhsa_system_sgpr_workgroup_info 0
		.amdhsa_system_vgpr_workitem_id 0
		.amdhsa_next_free_vgpr 1
		.amdhsa_next_free_sgpr 1
		.amdhsa_reserve_vcc 0
		.amdhsa_float_round_mode_32 0
		.amdhsa_float_round_mode_16_64 0
		.amdhsa_float_denorm_mode_32 3
		.amdhsa_float_denorm_mode_16_64 3
		.amdhsa_fp16_overflow 0
		.amdhsa_workgroup_processor_mode 1
		.amdhsa_memory_ordered 1
		.amdhsa_forward_progress 1
		.amdhsa_inst_pref_size 0
		.amdhsa_round_robin_scheduling 0
		.amdhsa_exception_fp_ieee_invalid_op 0
		.amdhsa_exception_fp_denorm_src 0
		.amdhsa_exception_fp_ieee_div_zero 0
		.amdhsa_exception_fp_ieee_overflow 0
		.amdhsa_exception_fp_ieee_underflow 0
		.amdhsa_exception_fp_ieee_inexact 0
		.amdhsa_exception_int_div_zero 0
	.end_amdhsa_kernel
	.section	.text._ZN7rocprim17ROCPRIM_400000_NS6detail17trampoline_kernelINS0_14default_configENS1_25partition_config_selectorILNS1_17partition_subalgoE6EiNS0_10empty_typeEbEEZZNS1_14partition_implILS5_6ELb0ES3_mN6thrust23THRUST_200600_302600_NS6detail15normal_iteratorINSA_10device_ptrIiEEEEPS6_SG_NS0_5tupleIJSF_S6_EEENSH_IJSG_SG_EEES6_PlJ6is_oddIiEEEE10hipError_tPvRmT3_T4_T5_T6_T7_T9_mT8_P12ihipStream_tbDpT10_ENKUlT_T0_E_clISt17integral_constantIbLb0EES15_IbLb1EEEEDaS11_S12_EUlS11_E_NS1_11comp_targetILNS1_3genE3ELNS1_11target_archE908ELNS1_3gpuE7ELNS1_3repE0EEENS1_30default_config_static_selectorELNS0_4arch9wavefront6targetE0EEEvT1_,"axG",@progbits,_ZN7rocprim17ROCPRIM_400000_NS6detail17trampoline_kernelINS0_14default_configENS1_25partition_config_selectorILNS1_17partition_subalgoE6EiNS0_10empty_typeEbEEZZNS1_14partition_implILS5_6ELb0ES3_mN6thrust23THRUST_200600_302600_NS6detail15normal_iteratorINSA_10device_ptrIiEEEEPS6_SG_NS0_5tupleIJSF_S6_EEENSH_IJSG_SG_EEES6_PlJ6is_oddIiEEEE10hipError_tPvRmT3_T4_T5_T6_T7_T9_mT8_P12ihipStream_tbDpT10_ENKUlT_T0_E_clISt17integral_constantIbLb0EES15_IbLb1EEEEDaS11_S12_EUlS11_E_NS1_11comp_targetILNS1_3genE3ELNS1_11target_archE908ELNS1_3gpuE7ELNS1_3repE0EEENS1_30default_config_static_selectorELNS0_4arch9wavefront6targetE0EEEvT1_,comdat
.Lfunc_end42:
	.size	_ZN7rocprim17ROCPRIM_400000_NS6detail17trampoline_kernelINS0_14default_configENS1_25partition_config_selectorILNS1_17partition_subalgoE6EiNS0_10empty_typeEbEEZZNS1_14partition_implILS5_6ELb0ES3_mN6thrust23THRUST_200600_302600_NS6detail15normal_iteratorINSA_10device_ptrIiEEEEPS6_SG_NS0_5tupleIJSF_S6_EEENSH_IJSG_SG_EEES6_PlJ6is_oddIiEEEE10hipError_tPvRmT3_T4_T5_T6_T7_T9_mT8_P12ihipStream_tbDpT10_ENKUlT_T0_E_clISt17integral_constantIbLb0EES15_IbLb1EEEEDaS11_S12_EUlS11_E_NS1_11comp_targetILNS1_3genE3ELNS1_11target_archE908ELNS1_3gpuE7ELNS1_3repE0EEENS1_30default_config_static_selectorELNS0_4arch9wavefront6targetE0EEEvT1_, .Lfunc_end42-_ZN7rocprim17ROCPRIM_400000_NS6detail17trampoline_kernelINS0_14default_configENS1_25partition_config_selectorILNS1_17partition_subalgoE6EiNS0_10empty_typeEbEEZZNS1_14partition_implILS5_6ELb0ES3_mN6thrust23THRUST_200600_302600_NS6detail15normal_iteratorINSA_10device_ptrIiEEEEPS6_SG_NS0_5tupleIJSF_S6_EEENSH_IJSG_SG_EEES6_PlJ6is_oddIiEEEE10hipError_tPvRmT3_T4_T5_T6_T7_T9_mT8_P12ihipStream_tbDpT10_ENKUlT_T0_E_clISt17integral_constantIbLb0EES15_IbLb1EEEEDaS11_S12_EUlS11_E_NS1_11comp_targetILNS1_3genE3ELNS1_11target_archE908ELNS1_3gpuE7ELNS1_3repE0EEENS1_30default_config_static_selectorELNS0_4arch9wavefront6targetE0EEEvT1_
                                        ; -- End function
	.set _ZN7rocprim17ROCPRIM_400000_NS6detail17trampoline_kernelINS0_14default_configENS1_25partition_config_selectorILNS1_17partition_subalgoE6EiNS0_10empty_typeEbEEZZNS1_14partition_implILS5_6ELb0ES3_mN6thrust23THRUST_200600_302600_NS6detail15normal_iteratorINSA_10device_ptrIiEEEEPS6_SG_NS0_5tupleIJSF_S6_EEENSH_IJSG_SG_EEES6_PlJ6is_oddIiEEEE10hipError_tPvRmT3_T4_T5_T6_T7_T9_mT8_P12ihipStream_tbDpT10_ENKUlT_T0_E_clISt17integral_constantIbLb0EES15_IbLb1EEEEDaS11_S12_EUlS11_E_NS1_11comp_targetILNS1_3genE3ELNS1_11target_archE908ELNS1_3gpuE7ELNS1_3repE0EEENS1_30default_config_static_selectorELNS0_4arch9wavefront6targetE0EEEvT1_.num_vgpr, 0
	.set _ZN7rocprim17ROCPRIM_400000_NS6detail17trampoline_kernelINS0_14default_configENS1_25partition_config_selectorILNS1_17partition_subalgoE6EiNS0_10empty_typeEbEEZZNS1_14partition_implILS5_6ELb0ES3_mN6thrust23THRUST_200600_302600_NS6detail15normal_iteratorINSA_10device_ptrIiEEEEPS6_SG_NS0_5tupleIJSF_S6_EEENSH_IJSG_SG_EEES6_PlJ6is_oddIiEEEE10hipError_tPvRmT3_T4_T5_T6_T7_T9_mT8_P12ihipStream_tbDpT10_ENKUlT_T0_E_clISt17integral_constantIbLb0EES15_IbLb1EEEEDaS11_S12_EUlS11_E_NS1_11comp_targetILNS1_3genE3ELNS1_11target_archE908ELNS1_3gpuE7ELNS1_3repE0EEENS1_30default_config_static_selectorELNS0_4arch9wavefront6targetE0EEEvT1_.num_agpr, 0
	.set _ZN7rocprim17ROCPRIM_400000_NS6detail17trampoline_kernelINS0_14default_configENS1_25partition_config_selectorILNS1_17partition_subalgoE6EiNS0_10empty_typeEbEEZZNS1_14partition_implILS5_6ELb0ES3_mN6thrust23THRUST_200600_302600_NS6detail15normal_iteratorINSA_10device_ptrIiEEEEPS6_SG_NS0_5tupleIJSF_S6_EEENSH_IJSG_SG_EEES6_PlJ6is_oddIiEEEE10hipError_tPvRmT3_T4_T5_T6_T7_T9_mT8_P12ihipStream_tbDpT10_ENKUlT_T0_E_clISt17integral_constantIbLb0EES15_IbLb1EEEEDaS11_S12_EUlS11_E_NS1_11comp_targetILNS1_3genE3ELNS1_11target_archE908ELNS1_3gpuE7ELNS1_3repE0EEENS1_30default_config_static_selectorELNS0_4arch9wavefront6targetE0EEEvT1_.numbered_sgpr, 0
	.set _ZN7rocprim17ROCPRIM_400000_NS6detail17trampoline_kernelINS0_14default_configENS1_25partition_config_selectorILNS1_17partition_subalgoE6EiNS0_10empty_typeEbEEZZNS1_14partition_implILS5_6ELb0ES3_mN6thrust23THRUST_200600_302600_NS6detail15normal_iteratorINSA_10device_ptrIiEEEEPS6_SG_NS0_5tupleIJSF_S6_EEENSH_IJSG_SG_EEES6_PlJ6is_oddIiEEEE10hipError_tPvRmT3_T4_T5_T6_T7_T9_mT8_P12ihipStream_tbDpT10_ENKUlT_T0_E_clISt17integral_constantIbLb0EES15_IbLb1EEEEDaS11_S12_EUlS11_E_NS1_11comp_targetILNS1_3genE3ELNS1_11target_archE908ELNS1_3gpuE7ELNS1_3repE0EEENS1_30default_config_static_selectorELNS0_4arch9wavefront6targetE0EEEvT1_.num_named_barrier, 0
	.set _ZN7rocprim17ROCPRIM_400000_NS6detail17trampoline_kernelINS0_14default_configENS1_25partition_config_selectorILNS1_17partition_subalgoE6EiNS0_10empty_typeEbEEZZNS1_14partition_implILS5_6ELb0ES3_mN6thrust23THRUST_200600_302600_NS6detail15normal_iteratorINSA_10device_ptrIiEEEEPS6_SG_NS0_5tupleIJSF_S6_EEENSH_IJSG_SG_EEES6_PlJ6is_oddIiEEEE10hipError_tPvRmT3_T4_T5_T6_T7_T9_mT8_P12ihipStream_tbDpT10_ENKUlT_T0_E_clISt17integral_constantIbLb0EES15_IbLb1EEEEDaS11_S12_EUlS11_E_NS1_11comp_targetILNS1_3genE3ELNS1_11target_archE908ELNS1_3gpuE7ELNS1_3repE0EEENS1_30default_config_static_selectorELNS0_4arch9wavefront6targetE0EEEvT1_.private_seg_size, 0
	.set _ZN7rocprim17ROCPRIM_400000_NS6detail17trampoline_kernelINS0_14default_configENS1_25partition_config_selectorILNS1_17partition_subalgoE6EiNS0_10empty_typeEbEEZZNS1_14partition_implILS5_6ELb0ES3_mN6thrust23THRUST_200600_302600_NS6detail15normal_iteratorINSA_10device_ptrIiEEEEPS6_SG_NS0_5tupleIJSF_S6_EEENSH_IJSG_SG_EEES6_PlJ6is_oddIiEEEE10hipError_tPvRmT3_T4_T5_T6_T7_T9_mT8_P12ihipStream_tbDpT10_ENKUlT_T0_E_clISt17integral_constantIbLb0EES15_IbLb1EEEEDaS11_S12_EUlS11_E_NS1_11comp_targetILNS1_3genE3ELNS1_11target_archE908ELNS1_3gpuE7ELNS1_3repE0EEENS1_30default_config_static_selectorELNS0_4arch9wavefront6targetE0EEEvT1_.uses_vcc, 0
	.set _ZN7rocprim17ROCPRIM_400000_NS6detail17trampoline_kernelINS0_14default_configENS1_25partition_config_selectorILNS1_17partition_subalgoE6EiNS0_10empty_typeEbEEZZNS1_14partition_implILS5_6ELb0ES3_mN6thrust23THRUST_200600_302600_NS6detail15normal_iteratorINSA_10device_ptrIiEEEEPS6_SG_NS0_5tupleIJSF_S6_EEENSH_IJSG_SG_EEES6_PlJ6is_oddIiEEEE10hipError_tPvRmT3_T4_T5_T6_T7_T9_mT8_P12ihipStream_tbDpT10_ENKUlT_T0_E_clISt17integral_constantIbLb0EES15_IbLb1EEEEDaS11_S12_EUlS11_E_NS1_11comp_targetILNS1_3genE3ELNS1_11target_archE908ELNS1_3gpuE7ELNS1_3repE0EEENS1_30default_config_static_selectorELNS0_4arch9wavefront6targetE0EEEvT1_.uses_flat_scratch, 0
	.set _ZN7rocprim17ROCPRIM_400000_NS6detail17trampoline_kernelINS0_14default_configENS1_25partition_config_selectorILNS1_17partition_subalgoE6EiNS0_10empty_typeEbEEZZNS1_14partition_implILS5_6ELb0ES3_mN6thrust23THRUST_200600_302600_NS6detail15normal_iteratorINSA_10device_ptrIiEEEEPS6_SG_NS0_5tupleIJSF_S6_EEENSH_IJSG_SG_EEES6_PlJ6is_oddIiEEEE10hipError_tPvRmT3_T4_T5_T6_T7_T9_mT8_P12ihipStream_tbDpT10_ENKUlT_T0_E_clISt17integral_constantIbLb0EES15_IbLb1EEEEDaS11_S12_EUlS11_E_NS1_11comp_targetILNS1_3genE3ELNS1_11target_archE908ELNS1_3gpuE7ELNS1_3repE0EEENS1_30default_config_static_selectorELNS0_4arch9wavefront6targetE0EEEvT1_.has_dyn_sized_stack, 0
	.set _ZN7rocprim17ROCPRIM_400000_NS6detail17trampoline_kernelINS0_14default_configENS1_25partition_config_selectorILNS1_17partition_subalgoE6EiNS0_10empty_typeEbEEZZNS1_14partition_implILS5_6ELb0ES3_mN6thrust23THRUST_200600_302600_NS6detail15normal_iteratorINSA_10device_ptrIiEEEEPS6_SG_NS0_5tupleIJSF_S6_EEENSH_IJSG_SG_EEES6_PlJ6is_oddIiEEEE10hipError_tPvRmT3_T4_T5_T6_T7_T9_mT8_P12ihipStream_tbDpT10_ENKUlT_T0_E_clISt17integral_constantIbLb0EES15_IbLb1EEEEDaS11_S12_EUlS11_E_NS1_11comp_targetILNS1_3genE3ELNS1_11target_archE908ELNS1_3gpuE7ELNS1_3repE0EEENS1_30default_config_static_selectorELNS0_4arch9wavefront6targetE0EEEvT1_.has_recursion, 0
	.set _ZN7rocprim17ROCPRIM_400000_NS6detail17trampoline_kernelINS0_14default_configENS1_25partition_config_selectorILNS1_17partition_subalgoE6EiNS0_10empty_typeEbEEZZNS1_14partition_implILS5_6ELb0ES3_mN6thrust23THRUST_200600_302600_NS6detail15normal_iteratorINSA_10device_ptrIiEEEEPS6_SG_NS0_5tupleIJSF_S6_EEENSH_IJSG_SG_EEES6_PlJ6is_oddIiEEEE10hipError_tPvRmT3_T4_T5_T6_T7_T9_mT8_P12ihipStream_tbDpT10_ENKUlT_T0_E_clISt17integral_constantIbLb0EES15_IbLb1EEEEDaS11_S12_EUlS11_E_NS1_11comp_targetILNS1_3genE3ELNS1_11target_archE908ELNS1_3gpuE7ELNS1_3repE0EEENS1_30default_config_static_selectorELNS0_4arch9wavefront6targetE0EEEvT1_.has_indirect_call, 0
	.section	.AMDGPU.csdata,"",@progbits
; Kernel info:
; codeLenInByte = 0
; TotalNumSgprs: 0
; NumVgprs: 0
; ScratchSize: 0
; MemoryBound: 0
; FloatMode: 240
; IeeeMode: 1
; LDSByteSize: 0 bytes/workgroup (compile time only)
; SGPRBlocks: 0
; VGPRBlocks: 0
; NumSGPRsForWavesPerEU: 1
; NumVGPRsForWavesPerEU: 1
; Occupancy: 16
; WaveLimiterHint : 0
; COMPUTE_PGM_RSRC2:SCRATCH_EN: 0
; COMPUTE_PGM_RSRC2:USER_SGPR: 2
; COMPUTE_PGM_RSRC2:TRAP_HANDLER: 0
; COMPUTE_PGM_RSRC2:TGID_X_EN: 1
; COMPUTE_PGM_RSRC2:TGID_Y_EN: 0
; COMPUTE_PGM_RSRC2:TGID_Z_EN: 0
; COMPUTE_PGM_RSRC2:TIDIG_COMP_CNT: 0
	.section	.text._ZN7rocprim17ROCPRIM_400000_NS6detail17trampoline_kernelINS0_14default_configENS1_25partition_config_selectorILNS1_17partition_subalgoE6EiNS0_10empty_typeEbEEZZNS1_14partition_implILS5_6ELb0ES3_mN6thrust23THRUST_200600_302600_NS6detail15normal_iteratorINSA_10device_ptrIiEEEEPS6_SG_NS0_5tupleIJSF_S6_EEENSH_IJSG_SG_EEES6_PlJ6is_oddIiEEEE10hipError_tPvRmT3_T4_T5_T6_T7_T9_mT8_P12ihipStream_tbDpT10_ENKUlT_T0_E_clISt17integral_constantIbLb0EES15_IbLb1EEEEDaS11_S12_EUlS11_E_NS1_11comp_targetILNS1_3genE2ELNS1_11target_archE906ELNS1_3gpuE6ELNS1_3repE0EEENS1_30default_config_static_selectorELNS0_4arch9wavefront6targetE0EEEvT1_,"axG",@progbits,_ZN7rocprim17ROCPRIM_400000_NS6detail17trampoline_kernelINS0_14default_configENS1_25partition_config_selectorILNS1_17partition_subalgoE6EiNS0_10empty_typeEbEEZZNS1_14partition_implILS5_6ELb0ES3_mN6thrust23THRUST_200600_302600_NS6detail15normal_iteratorINSA_10device_ptrIiEEEEPS6_SG_NS0_5tupleIJSF_S6_EEENSH_IJSG_SG_EEES6_PlJ6is_oddIiEEEE10hipError_tPvRmT3_T4_T5_T6_T7_T9_mT8_P12ihipStream_tbDpT10_ENKUlT_T0_E_clISt17integral_constantIbLb0EES15_IbLb1EEEEDaS11_S12_EUlS11_E_NS1_11comp_targetILNS1_3genE2ELNS1_11target_archE906ELNS1_3gpuE6ELNS1_3repE0EEENS1_30default_config_static_selectorELNS0_4arch9wavefront6targetE0EEEvT1_,comdat
	.protected	_ZN7rocprim17ROCPRIM_400000_NS6detail17trampoline_kernelINS0_14default_configENS1_25partition_config_selectorILNS1_17partition_subalgoE6EiNS0_10empty_typeEbEEZZNS1_14partition_implILS5_6ELb0ES3_mN6thrust23THRUST_200600_302600_NS6detail15normal_iteratorINSA_10device_ptrIiEEEEPS6_SG_NS0_5tupleIJSF_S6_EEENSH_IJSG_SG_EEES6_PlJ6is_oddIiEEEE10hipError_tPvRmT3_T4_T5_T6_T7_T9_mT8_P12ihipStream_tbDpT10_ENKUlT_T0_E_clISt17integral_constantIbLb0EES15_IbLb1EEEEDaS11_S12_EUlS11_E_NS1_11comp_targetILNS1_3genE2ELNS1_11target_archE906ELNS1_3gpuE6ELNS1_3repE0EEENS1_30default_config_static_selectorELNS0_4arch9wavefront6targetE0EEEvT1_ ; -- Begin function _ZN7rocprim17ROCPRIM_400000_NS6detail17trampoline_kernelINS0_14default_configENS1_25partition_config_selectorILNS1_17partition_subalgoE6EiNS0_10empty_typeEbEEZZNS1_14partition_implILS5_6ELb0ES3_mN6thrust23THRUST_200600_302600_NS6detail15normal_iteratorINSA_10device_ptrIiEEEEPS6_SG_NS0_5tupleIJSF_S6_EEENSH_IJSG_SG_EEES6_PlJ6is_oddIiEEEE10hipError_tPvRmT3_T4_T5_T6_T7_T9_mT8_P12ihipStream_tbDpT10_ENKUlT_T0_E_clISt17integral_constantIbLb0EES15_IbLb1EEEEDaS11_S12_EUlS11_E_NS1_11comp_targetILNS1_3genE2ELNS1_11target_archE906ELNS1_3gpuE6ELNS1_3repE0EEENS1_30default_config_static_selectorELNS0_4arch9wavefront6targetE0EEEvT1_
	.globl	_ZN7rocprim17ROCPRIM_400000_NS6detail17trampoline_kernelINS0_14default_configENS1_25partition_config_selectorILNS1_17partition_subalgoE6EiNS0_10empty_typeEbEEZZNS1_14partition_implILS5_6ELb0ES3_mN6thrust23THRUST_200600_302600_NS6detail15normal_iteratorINSA_10device_ptrIiEEEEPS6_SG_NS0_5tupleIJSF_S6_EEENSH_IJSG_SG_EEES6_PlJ6is_oddIiEEEE10hipError_tPvRmT3_T4_T5_T6_T7_T9_mT8_P12ihipStream_tbDpT10_ENKUlT_T0_E_clISt17integral_constantIbLb0EES15_IbLb1EEEEDaS11_S12_EUlS11_E_NS1_11comp_targetILNS1_3genE2ELNS1_11target_archE906ELNS1_3gpuE6ELNS1_3repE0EEENS1_30default_config_static_selectorELNS0_4arch9wavefront6targetE0EEEvT1_
	.p2align	8
	.type	_ZN7rocprim17ROCPRIM_400000_NS6detail17trampoline_kernelINS0_14default_configENS1_25partition_config_selectorILNS1_17partition_subalgoE6EiNS0_10empty_typeEbEEZZNS1_14partition_implILS5_6ELb0ES3_mN6thrust23THRUST_200600_302600_NS6detail15normal_iteratorINSA_10device_ptrIiEEEEPS6_SG_NS0_5tupleIJSF_S6_EEENSH_IJSG_SG_EEES6_PlJ6is_oddIiEEEE10hipError_tPvRmT3_T4_T5_T6_T7_T9_mT8_P12ihipStream_tbDpT10_ENKUlT_T0_E_clISt17integral_constantIbLb0EES15_IbLb1EEEEDaS11_S12_EUlS11_E_NS1_11comp_targetILNS1_3genE2ELNS1_11target_archE906ELNS1_3gpuE6ELNS1_3repE0EEENS1_30default_config_static_selectorELNS0_4arch9wavefront6targetE0EEEvT1_,@function
_ZN7rocprim17ROCPRIM_400000_NS6detail17trampoline_kernelINS0_14default_configENS1_25partition_config_selectorILNS1_17partition_subalgoE6EiNS0_10empty_typeEbEEZZNS1_14partition_implILS5_6ELb0ES3_mN6thrust23THRUST_200600_302600_NS6detail15normal_iteratorINSA_10device_ptrIiEEEEPS6_SG_NS0_5tupleIJSF_S6_EEENSH_IJSG_SG_EEES6_PlJ6is_oddIiEEEE10hipError_tPvRmT3_T4_T5_T6_T7_T9_mT8_P12ihipStream_tbDpT10_ENKUlT_T0_E_clISt17integral_constantIbLb0EES15_IbLb1EEEEDaS11_S12_EUlS11_E_NS1_11comp_targetILNS1_3genE2ELNS1_11target_archE906ELNS1_3gpuE6ELNS1_3repE0EEENS1_30default_config_static_selectorELNS0_4arch9wavefront6targetE0EEEvT1_: ; @_ZN7rocprim17ROCPRIM_400000_NS6detail17trampoline_kernelINS0_14default_configENS1_25partition_config_selectorILNS1_17partition_subalgoE6EiNS0_10empty_typeEbEEZZNS1_14partition_implILS5_6ELb0ES3_mN6thrust23THRUST_200600_302600_NS6detail15normal_iteratorINSA_10device_ptrIiEEEEPS6_SG_NS0_5tupleIJSF_S6_EEENSH_IJSG_SG_EEES6_PlJ6is_oddIiEEEE10hipError_tPvRmT3_T4_T5_T6_T7_T9_mT8_P12ihipStream_tbDpT10_ENKUlT_T0_E_clISt17integral_constantIbLb0EES15_IbLb1EEEEDaS11_S12_EUlS11_E_NS1_11comp_targetILNS1_3genE2ELNS1_11target_archE906ELNS1_3gpuE6ELNS1_3repE0EEENS1_30default_config_static_selectorELNS0_4arch9wavefront6targetE0EEEvT1_
; %bb.0:
	.section	.rodata,"a",@progbits
	.p2align	6, 0x0
	.amdhsa_kernel _ZN7rocprim17ROCPRIM_400000_NS6detail17trampoline_kernelINS0_14default_configENS1_25partition_config_selectorILNS1_17partition_subalgoE6EiNS0_10empty_typeEbEEZZNS1_14partition_implILS5_6ELb0ES3_mN6thrust23THRUST_200600_302600_NS6detail15normal_iteratorINSA_10device_ptrIiEEEEPS6_SG_NS0_5tupleIJSF_S6_EEENSH_IJSG_SG_EEES6_PlJ6is_oddIiEEEE10hipError_tPvRmT3_T4_T5_T6_T7_T9_mT8_P12ihipStream_tbDpT10_ENKUlT_T0_E_clISt17integral_constantIbLb0EES15_IbLb1EEEEDaS11_S12_EUlS11_E_NS1_11comp_targetILNS1_3genE2ELNS1_11target_archE906ELNS1_3gpuE6ELNS1_3repE0EEENS1_30default_config_static_selectorELNS0_4arch9wavefront6targetE0EEEvT1_
		.amdhsa_group_segment_fixed_size 0
		.amdhsa_private_segment_fixed_size 0
		.amdhsa_kernarg_size 128
		.amdhsa_user_sgpr_count 2
		.amdhsa_user_sgpr_dispatch_ptr 0
		.amdhsa_user_sgpr_queue_ptr 0
		.amdhsa_user_sgpr_kernarg_segment_ptr 1
		.amdhsa_user_sgpr_dispatch_id 0
		.amdhsa_user_sgpr_private_segment_size 0
		.amdhsa_wavefront_size32 1
		.amdhsa_uses_dynamic_stack 0
		.amdhsa_enable_private_segment 0
		.amdhsa_system_sgpr_workgroup_id_x 1
		.amdhsa_system_sgpr_workgroup_id_y 0
		.amdhsa_system_sgpr_workgroup_id_z 0
		.amdhsa_system_sgpr_workgroup_info 0
		.amdhsa_system_vgpr_workitem_id 0
		.amdhsa_next_free_vgpr 1
		.amdhsa_next_free_sgpr 1
		.amdhsa_reserve_vcc 0
		.amdhsa_float_round_mode_32 0
		.amdhsa_float_round_mode_16_64 0
		.amdhsa_float_denorm_mode_32 3
		.amdhsa_float_denorm_mode_16_64 3
		.amdhsa_fp16_overflow 0
		.amdhsa_workgroup_processor_mode 1
		.amdhsa_memory_ordered 1
		.amdhsa_forward_progress 1
		.amdhsa_inst_pref_size 0
		.amdhsa_round_robin_scheduling 0
		.amdhsa_exception_fp_ieee_invalid_op 0
		.amdhsa_exception_fp_denorm_src 0
		.amdhsa_exception_fp_ieee_div_zero 0
		.amdhsa_exception_fp_ieee_overflow 0
		.amdhsa_exception_fp_ieee_underflow 0
		.amdhsa_exception_fp_ieee_inexact 0
		.amdhsa_exception_int_div_zero 0
	.end_amdhsa_kernel
	.section	.text._ZN7rocprim17ROCPRIM_400000_NS6detail17trampoline_kernelINS0_14default_configENS1_25partition_config_selectorILNS1_17partition_subalgoE6EiNS0_10empty_typeEbEEZZNS1_14partition_implILS5_6ELb0ES3_mN6thrust23THRUST_200600_302600_NS6detail15normal_iteratorINSA_10device_ptrIiEEEEPS6_SG_NS0_5tupleIJSF_S6_EEENSH_IJSG_SG_EEES6_PlJ6is_oddIiEEEE10hipError_tPvRmT3_T4_T5_T6_T7_T9_mT8_P12ihipStream_tbDpT10_ENKUlT_T0_E_clISt17integral_constantIbLb0EES15_IbLb1EEEEDaS11_S12_EUlS11_E_NS1_11comp_targetILNS1_3genE2ELNS1_11target_archE906ELNS1_3gpuE6ELNS1_3repE0EEENS1_30default_config_static_selectorELNS0_4arch9wavefront6targetE0EEEvT1_,"axG",@progbits,_ZN7rocprim17ROCPRIM_400000_NS6detail17trampoline_kernelINS0_14default_configENS1_25partition_config_selectorILNS1_17partition_subalgoE6EiNS0_10empty_typeEbEEZZNS1_14partition_implILS5_6ELb0ES3_mN6thrust23THRUST_200600_302600_NS6detail15normal_iteratorINSA_10device_ptrIiEEEEPS6_SG_NS0_5tupleIJSF_S6_EEENSH_IJSG_SG_EEES6_PlJ6is_oddIiEEEE10hipError_tPvRmT3_T4_T5_T6_T7_T9_mT8_P12ihipStream_tbDpT10_ENKUlT_T0_E_clISt17integral_constantIbLb0EES15_IbLb1EEEEDaS11_S12_EUlS11_E_NS1_11comp_targetILNS1_3genE2ELNS1_11target_archE906ELNS1_3gpuE6ELNS1_3repE0EEENS1_30default_config_static_selectorELNS0_4arch9wavefront6targetE0EEEvT1_,comdat
.Lfunc_end43:
	.size	_ZN7rocprim17ROCPRIM_400000_NS6detail17trampoline_kernelINS0_14default_configENS1_25partition_config_selectorILNS1_17partition_subalgoE6EiNS0_10empty_typeEbEEZZNS1_14partition_implILS5_6ELb0ES3_mN6thrust23THRUST_200600_302600_NS6detail15normal_iteratorINSA_10device_ptrIiEEEEPS6_SG_NS0_5tupleIJSF_S6_EEENSH_IJSG_SG_EEES6_PlJ6is_oddIiEEEE10hipError_tPvRmT3_T4_T5_T6_T7_T9_mT8_P12ihipStream_tbDpT10_ENKUlT_T0_E_clISt17integral_constantIbLb0EES15_IbLb1EEEEDaS11_S12_EUlS11_E_NS1_11comp_targetILNS1_3genE2ELNS1_11target_archE906ELNS1_3gpuE6ELNS1_3repE0EEENS1_30default_config_static_selectorELNS0_4arch9wavefront6targetE0EEEvT1_, .Lfunc_end43-_ZN7rocprim17ROCPRIM_400000_NS6detail17trampoline_kernelINS0_14default_configENS1_25partition_config_selectorILNS1_17partition_subalgoE6EiNS0_10empty_typeEbEEZZNS1_14partition_implILS5_6ELb0ES3_mN6thrust23THRUST_200600_302600_NS6detail15normal_iteratorINSA_10device_ptrIiEEEEPS6_SG_NS0_5tupleIJSF_S6_EEENSH_IJSG_SG_EEES6_PlJ6is_oddIiEEEE10hipError_tPvRmT3_T4_T5_T6_T7_T9_mT8_P12ihipStream_tbDpT10_ENKUlT_T0_E_clISt17integral_constantIbLb0EES15_IbLb1EEEEDaS11_S12_EUlS11_E_NS1_11comp_targetILNS1_3genE2ELNS1_11target_archE906ELNS1_3gpuE6ELNS1_3repE0EEENS1_30default_config_static_selectorELNS0_4arch9wavefront6targetE0EEEvT1_
                                        ; -- End function
	.set _ZN7rocprim17ROCPRIM_400000_NS6detail17trampoline_kernelINS0_14default_configENS1_25partition_config_selectorILNS1_17partition_subalgoE6EiNS0_10empty_typeEbEEZZNS1_14partition_implILS5_6ELb0ES3_mN6thrust23THRUST_200600_302600_NS6detail15normal_iteratorINSA_10device_ptrIiEEEEPS6_SG_NS0_5tupleIJSF_S6_EEENSH_IJSG_SG_EEES6_PlJ6is_oddIiEEEE10hipError_tPvRmT3_T4_T5_T6_T7_T9_mT8_P12ihipStream_tbDpT10_ENKUlT_T0_E_clISt17integral_constantIbLb0EES15_IbLb1EEEEDaS11_S12_EUlS11_E_NS1_11comp_targetILNS1_3genE2ELNS1_11target_archE906ELNS1_3gpuE6ELNS1_3repE0EEENS1_30default_config_static_selectorELNS0_4arch9wavefront6targetE0EEEvT1_.num_vgpr, 0
	.set _ZN7rocprim17ROCPRIM_400000_NS6detail17trampoline_kernelINS0_14default_configENS1_25partition_config_selectorILNS1_17partition_subalgoE6EiNS0_10empty_typeEbEEZZNS1_14partition_implILS5_6ELb0ES3_mN6thrust23THRUST_200600_302600_NS6detail15normal_iteratorINSA_10device_ptrIiEEEEPS6_SG_NS0_5tupleIJSF_S6_EEENSH_IJSG_SG_EEES6_PlJ6is_oddIiEEEE10hipError_tPvRmT3_T4_T5_T6_T7_T9_mT8_P12ihipStream_tbDpT10_ENKUlT_T0_E_clISt17integral_constantIbLb0EES15_IbLb1EEEEDaS11_S12_EUlS11_E_NS1_11comp_targetILNS1_3genE2ELNS1_11target_archE906ELNS1_3gpuE6ELNS1_3repE0EEENS1_30default_config_static_selectorELNS0_4arch9wavefront6targetE0EEEvT1_.num_agpr, 0
	.set _ZN7rocprim17ROCPRIM_400000_NS6detail17trampoline_kernelINS0_14default_configENS1_25partition_config_selectorILNS1_17partition_subalgoE6EiNS0_10empty_typeEbEEZZNS1_14partition_implILS5_6ELb0ES3_mN6thrust23THRUST_200600_302600_NS6detail15normal_iteratorINSA_10device_ptrIiEEEEPS6_SG_NS0_5tupleIJSF_S6_EEENSH_IJSG_SG_EEES6_PlJ6is_oddIiEEEE10hipError_tPvRmT3_T4_T5_T6_T7_T9_mT8_P12ihipStream_tbDpT10_ENKUlT_T0_E_clISt17integral_constantIbLb0EES15_IbLb1EEEEDaS11_S12_EUlS11_E_NS1_11comp_targetILNS1_3genE2ELNS1_11target_archE906ELNS1_3gpuE6ELNS1_3repE0EEENS1_30default_config_static_selectorELNS0_4arch9wavefront6targetE0EEEvT1_.numbered_sgpr, 0
	.set _ZN7rocprim17ROCPRIM_400000_NS6detail17trampoline_kernelINS0_14default_configENS1_25partition_config_selectorILNS1_17partition_subalgoE6EiNS0_10empty_typeEbEEZZNS1_14partition_implILS5_6ELb0ES3_mN6thrust23THRUST_200600_302600_NS6detail15normal_iteratorINSA_10device_ptrIiEEEEPS6_SG_NS0_5tupleIJSF_S6_EEENSH_IJSG_SG_EEES6_PlJ6is_oddIiEEEE10hipError_tPvRmT3_T4_T5_T6_T7_T9_mT8_P12ihipStream_tbDpT10_ENKUlT_T0_E_clISt17integral_constantIbLb0EES15_IbLb1EEEEDaS11_S12_EUlS11_E_NS1_11comp_targetILNS1_3genE2ELNS1_11target_archE906ELNS1_3gpuE6ELNS1_3repE0EEENS1_30default_config_static_selectorELNS0_4arch9wavefront6targetE0EEEvT1_.num_named_barrier, 0
	.set _ZN7rocprim17ROCPRIM_400000_NS6detail17trampoline_kernelINS0_14default_configENS1_25partition_config_selectorILNS1_17partition_subalgoE6EiNS0_10empty_typeEbEEZZNS1_14partition_implILS5_6ELb0ES3_mN6thrust23THRUST_200600_302600_NS6detail15normal_iteratorINSA_10device_ptrIiEEEEPS6_SG_NS0_5tupleIJSF_S6_EEENSH_IJSG_SG_EEES6_PlJ6is_oddIiEEEE10hipError_tPvRmT3_T4_T5_T6_T7_T9_mT8_P12ihipStream_tbDpT10_ENKUlT_T0_E_clISt17integral_constantIbLb0EES15_IbLb1EEEEDaS11_S12_EUlS11_E_NS1_11comp_targetILNS1_3genE2ELNS1_11target_archE906ELNS1_3gpuE6ELNS1_3repE0EEENS1_30default_config_static_selectorELNS0_4arch9wavefront6targetE0EEEvT1_.private_seg_size, 0
	.set _ZN7rocprim17ROCPRIM_400000_NS6detail17trampoline_kernelINS0_14default_configENS1_25partition_config_selectorILNS1_17partition_subalgoE6EiNS0_10empty_typeEbEEZZNS1_14partition_implILS5_6ELb0ES3_mN6thrust23THRUST_200600_302600_NS6detail15normal_iteratorINSA_10device_ptrIiEEEEPS6_SG_NS0_5tupleIJSF_S6_EEENSH_IJSG_SG_EEES6_PlJ6is_oddIiEEEE10hipError_tPvRmT3_T4_T5_T6_T7_T9_mT8_P12ihipStream_tbDpT10_ENKUlT_T0_E_clISt17integral_constantIbLb0EES15_IbLb1EEEEDaS11_S12_EUlS11_E_NS1_11comp_targetILNS1_3genE2ELNS1_11target_archE906ELNS1_3gpuE6ELNS1_3repE0EEENS1_30default_config_static_selectorELNS0_4arch9wavefront6targetE0EEEvT1_.uses_vcc, 0
	.set _ZN7rocprim17ROCPRIM_400000_NS6detail17trampoline_kernelINS0_14default_configENS1_25partition_config_selectorILNS1_17partition_subalgoE6EiNS0_10empty_typeEbEEZZNS1_14partition_implILS5_6ELb0ES3_mN6thrust23THRUST_200600_302600_NS6detail15normal_iteratorINSA_10device_ptrIiEEEEPS6_SG_NS0_5tupleIJSF_S6_EEENSH_IJSG_SG_EEES6_PlJ6is_oddIiEEEE10hipError_tPvRmT3_T4_T5_T6_T7_T9_mT8_P12ihipStream_tbDpT10_ENKUlT_T0_E_clISt17integral_constantIbLb0EES15_IbLb1EEEEDaS11_S12_EUlS11_E_NS1_11comp_targetILNS1_3genE2ELNS1_11target_archE906ELNS1_3gpuE6ELNS1_3repE0EEENS1_30default_config_static_selectorELNS0_4arch9wavefront6targetE0EEEvT1_.uses_flat_scratch, 0
	.set _ZN7rocprim17ROCPRIM_400000_NS6detail17trampoline_kernelINS0_14default_configENS1_25partition_config_selectorILNS1_17partition_subalgoE6EiNS0_10empty_typeEbEEZZNS1_14partition_implILS5_6ELb0ES3_mN6thrust23THRUST_200600_302600_NS6detail15normal_iteratorINSA_10device_ptrIiEEEEPS6_SG_NS0_5tupleIJSF_S6_EEENSH_IJSG_SG_EEES6_PlJ6is_oddIiEEEE10hipError_tPvRmT3_T4_T5_T6_T7_T9_mT8_P12ihipStream_tbDpT10_ENKUlT_T0_E_clISt17integral_constantIbLb0EES15_IbLb1EEEEDaS11_S12_EUlS11_E_NS1_11comp_targetILNS1_3genE2ELNS1_11target_archE906ELNS1_3gpuE6ELNS1_3repE0EEENS1_30default_config_static_selectorELNS0_4arch9wavefront6targetE0EEEvT1_.has_dyn_sized_stack, 0
	.set _ZN7rocprim17ROCPRIM_400000_NS6detail17trampoline_kernelINS0_14default_configENS1_25partition_config_selectorILNS1_17partition_subalgoE6EiNS0_10empty_typeEbEEZZNS1_14partition_implILS5_6ELb0ES3_mN6thrust23THRUST_200600_302600_NS6detail15normal_iteratorINSA_10device_ptrIiEEEEPS6_SG_NS0_5tupleIJSF_S6_EEENSH_IJSG_SG_EEES6_PlJ6is_oddIiEEEE10hipError_tPvRmT3_T4_T5_T6_T7_T9_mT8_P12ihipStream_tbDpT10_ENKUlT_T0_E_clISt17integral_constantIbLb0EES15_IbLb1EEEEDaS11_S12_EUlS11_E_NS1_11comp_targetILNS1_3genE2ELNS1_11target_archE906ELNS1_3gpuE6ELNS1_3repE0EEENS1_30default_config_static_selectorELNS0_4arch9wavefront6targetE0EEEvT1_.has_recursion, 0
	.set _ZN7rocprim17ROCPRIM_400000_NS6detail17trampoline_kernelINS0_14default_configENS1_25partition_config_selectorILNS1_17partition_subalgoE6EiNS0_10empty_typeEbEEZZNS1_14partition_implILS5_6ELb0ES3_mN6thrust23THRUST_200600_302600_NS6detail15normal_iteratorINSA_10device_ptrIiEEEEPS6_SG_NS0_5tupleIJSF_S6_EEENSH_IJSG_SG_EEES6_PlJ6is_oddIiEEEE10hipError_tPvRmT3_T4_T5_T6_T7_T9_mT8_P12ihipStream_tbDpT10_ENKUlT_T0_E_clISt17integral_constantIbLb0EES15_IbLb1EEEEDaS11_S12_EUlS11_E_NS1_11comp_targetILNS1_3genE2ELNS1_11target_archE906ELNS1_3gpuE6ELNS1_3repE0EEENS1_30default_config_static_selectorELNS0_4arch9wavefront6targetE0EEEvT1_.has_indirect_call, 0
	.section	.AMDGPU.csdata,"",@progbits
; Kernel info:
; codeLenInByte = 0
; TotalNumSgprs: 0
; NumVgprs: 0
; ScratchSize: 0
; MemoryBound: 0
; FloatMode: 240
; IeeeMode: 1
; LDSByteSize: 0 bytes/workgroup (compile time only)
; SGPRBlocks: 0
; VGPRBlocks: 0
; NumSGPRsForWavesPerEU: 1
; NumVGPRsForWavesPerEU: 1
; Occupancy: 16
; WaveLimiterHint : 0
; COMPUTE_PGM_RSRC2:SCRATCH_EN: 0
; COMPUTE_PGM_RSRC2:USER_SGPR: 2
; COMPUTE_PGM_RSRC2:TRAP_HANDLER: 0
; COMPUTE_PGM_RSRC2:TGID_X_EN: 1
; COMPUTE_PGM_RSRC2:TGID_Y_EN: 0
; COMPUTE_PGM_RSRC2:TGID_Z_EN: 0
; COMPUTE_PGM_RSRC2:TIDIG_COMP_CNT: 0
	.section	.text._ZN7rocprim17ROCPRIM_400000_NS6detail17trampoline_kernelINS0_14default_configENS1_25partition_config_selectorILNS1_17partition_subalgoE6EiNS0_10empty_typeEbEEZZNS1_14partition_implILS5_6ELb0ES3_mN6thrust23THRUST_200600_302600_NS6detail15normal_iteratorINSA_10device_ptrIiEEEEPS6_SG_NS0_5tupleIJSF_S6_EEENSH_IJSG_SG_EEES6_PlJ6is_oddIiEEEE10hipError_tPvRmT3_T4_T5_T6_T7_T9_mT8_P12ihipStream_tbDpT10_ENKUlT_T0_E_clISt17integral_constantIbLb0EES15_IbLb1EEEEDaS11_S12_EUlS11_E_NS1_11comp_targetILNS1_3genE10ELNS1_11target_archE1200ELNS1_3gpuE4ELNS1_3repE0EEENS1_30default_config_static_selectorELNS0_4arch9wavefront6targetE0EEEvT1_,"axG",@progbits,_ZN7rocprim17ROCPRIM_400000_NS6detail17trampoline_kernelINS0_14default_configENS1_25partition_config_selectorILNS1_17partition_subalgoE6EiNS0_10empty_typeEbEEZZNS1_14partition_implILS5_6ELb0ES3_mN6thrust23THRUST_200600_302600_NS6detail15normal_iteratorINSA_10device_ptrIiEEEEPS6_SG_NS0_5tupleIJSF_S6_EEENSH_IJSG_SG_EEES6_PlJ6is_oddIiEEEE10hipError_tPvRmT3_T4_T5_T6_T7_T9_mT8_P12ihipStream_tbDpT10_ENKUlT_T0_E_clISt17integral_constantIbLb0EES15_IbLb1EEEEDaS11_S12_EUlS11_E_NS1_11comp_targetILNS1_3genE10ELNS1_11target_archE1200ELNS1_3gpuE4ELNS1_3repE0EEENS1_30default_config_static_selectorELNS0_4arch9wavefront6targetE0EEEvT1_,comdat
	.protected	_ZN7rocprim17ROCPRIM_400000_NS6detail17trampoline_kernelINS0_14default_configENS1_25partition_config_selectorILNS1_17partition_subalgoE6EiNS0_10empty_typeEbEEZZNS1_14partition_implILS5_6ELb0ES3_mN6thrust23THRUST_200600_302600_NS6detail15normal_iteratorINSA_10device_ptrIiEEEEPS6_SG_NS0_5tupleIJSF_S6_EEENSH_IJSG_SG_EEES6_PlJ6is_oddIiEEEE10hipError_tPvRmT3_T4_T5_T6_T7_T9_mT8_P12ihipStream_tbDpT10_ENKUlT_T0_E_clISt17integral_constantIbLb0EES15_IbLb1EEEEDaS11_S12_EUlS11_E_NS1_11comp_targetILNS1_3genE10ELNS1_11target_archE1200ELNS1_3gpuE4ELNS1_3repE0EEENS1_30default_config_static_selectorELNS0_4arch9wavefront6targetE0EEEvT1_ ; -- Begin function _ZN7rocprim17ROCPRIM_400000_NS6detail17trampoline_kernelINS0_14default_configENS1_25partition_config_selectorILNS1_17partition_subalgoE6EiNS0_10empty_typeEbEEZZNS1_14partition_implILS5_6ELb0ES3_mN6thrust23THRUST_200600_302600_NS6detail15normal_iteratorINSA_10device_ptrIiEEEEPS6_SG_NS0_5tupleIJSF_S6_EEENSH_IJSG_SG_EEES6_PlJ6is_oddIiEEEE10hipError_tPvRmT3_T4_T5_T6_T7_T9_mT8_P12ihipStream_tbDpT10_ENKUlT_T0_E_clISt17integral_constantIbLb0EES15_IbLb1EEEEDaS11_S12_EUlS11_E_NS1_11comp_targetILNS1_3genE10ELNS1_11target_archE1200ELNS1_3gpuE4ELNS1_3repE0EEENS1_30default_config_static_selectorELNS0_4arch9wavefront6targetE0EEEvT1_
	.globl	_ZN7rocprim17ROCPRIM_400000_NS6detail17trampoline_kernelINS0_14default_configENS1_25partition_config_selectorILNS1_17partition_subalgoE6EiNS0_10empty_typeEbEEZZNS1_14partition_implILS5_6ELb0ES3_mN6thrust23THRUST_200600_302600_NS6detail15normal_iteratorINSA_10device_ptrIiEEEEPS6_SG_NS0_5tupleIJSF_S6_EEENSH_IJSG_SG_EEES6_PlJ6is_oddIiEEEE10hipError_tPvRmT3_T4_T5_T6_T7_T9_mT8_P12ihipStream_tbDpT10_ENKUlT_T0_E_clISt17integral_constantIbLb0EES15_IbLb1EEEEDaS11_S12_EUlS11_E_NS1_11comp_targetILNS1_3genE10ELNS1_11target_archE1200ELNS1_3gpuE4ELNS1_3repE0EEENS1_30default_config_static_selectorELNS0_4arch9wavefront6targetE0EEEvT1_
	.p2align	8
	.type	_ZN7rocprim17ROCPRIM_400000_NS6detail17trampoline_kernelINS0_14default_configENS1_25partition_config_selectorILNS1_17partition_subalgoE6EiNS0_10empty_typeEbEEZZNS1_14partition_implILS5_6ELb0ES3_mN6thrust23THRUST_200600_302600_NS6detail15normal_iteratorINSA_10device_ptrIiEEEEPS6_SG_NS0_5tupleIJSF_S6_EEENSH_IJSG_SG_EEES6_PlJ6is_oddIiEEEE10hipError_tPvRmT3_T4_T5_T6_T7_T9_mT8_P12ihipStream_tbDpT10_ENKUlT_T0_E_clISt17integral_constantIbLb0EES15_IbLb1EEEEDaS11_S12_EUlS11_E_NS1_11comp_targetILNS1_3genE10ELNS1_11target_archE1200ELNS1_3gpuE4ELNS1_3repE0EEENS1_30default_config_static_selectorELNS0_4arch9wavefront6targetE0EEEvT1_,@function
_ZN7rocprim17ROCPRIM_400000_NS6detail17trampoline_kernelINS0_14default_configENS1_25partition_config_selectorILNS1_17partition_subalgoE6EiNS0_10empty_typeEbEEZZNS1_14partition_implILS5_6ELb0ES3_mN6thrust23THRUST_200600_302600_NS6detail15normal_iteratorINSA_10device_ptrIiEEEEPS6_SG_NS0_5tupleIJSF_S6_EEENSH_IJSG_SG_EEES6_PlJ6is_oddIiEEEE10hipError_tPvRmT3_T4_T5_T6_T7_T9_mT8_P12ihipStream_tbDpT10_ENKUlT_T0_E_clISt17integral_constantIbLb0EES15_IbLb1EEEEDaS11_S12_EUlS11_E_NS1_11comp_targetILNS1_3genE10ELNS1_11target_archE1200ELNS1_3gpuE4ELNS1_3repE0EEENS1_30default_config_static_selectorELNS0_4arch9wavefront6targetE0EEEvT1_: ; @_ZN7rocprim17ROCPRIM_400000_NS6detail17trampoline_kernelINS0_14default_configENS1_25partition_config_selectorILNS1_17partition_subalgoE6EiNS0_10empty_typeEbEEZZNS1_14partition_implILS5_6ELb0ES3_mN6thrust23THRUST_200600_302600_NS6detail15normal_iteratorINSA_10device_ptrIiEEEEPS6_SG_NS0_5tupleIJSF_S6_EEENSH_IJSG_SG_EEES6_PlJ6is_oddIiEEEE10hipError_tPvRmT3_T4_T5_T6_T7_T9_mT8_P12ihipStream_tbDpT10_ENKUlT_T0_E_clISt17integral_constantIbLb0EES15_IbLb1EEEEDaS11_S12_EUlS11_E_NS1_11comp_targetILNS1_3genE10ELNS1_11target_archE1200ELNS1_3gpuE4ELNS1_3repE0EEENS1_30default_config_static_selectorELNS0_4arch9wavefront6targetE0EEEvT1_
; %bb.0:
	s_clause 0x3
	s_load_b64 s[12:13], s[0:1], 0x28
	s_load_b128 s[8:11], s[0:1], 0x40
	s_load_b64 s[16:17], s[0:1], 0x50
	s_load_b64 s[14:15], s[0:1], 0x60
	v_cmp_eq_u32_e64 s2, 0, v0
	s_and_saveexec_b32 s3, s2
	s_cbranch_execz .LBB44_4
; %bb.1:
	s_mov_b32 s5, exec_lo
	s_mov_b32 s4, exec_lo
	v_mbcnt_lo_u32_b32 v1, s5, 0
                                        ; implicit-def: $vgpr2
	s_delay_alu instid0(VALU_DEP_1)
	v_cmpx_eq_u32_e32 0, v1
	s_cbranch_execz .LBB44_3
; %bb.2:
	s_load_b64 s[6:7], s[0:1], 0x70
	s_bcnt1_i32_b32 s5, s5
	s_wait_alu 0xfffe
	v_dual_mov_b32 v2, 0 :: v_dual_mov_b32 v3, s5
	s_wait_kmcnt 0x0
	global_atomic_add_u32 v2, v2, v3, s[6:7] th:TH_ATOMIC_RETURN scope:SCOPE_DEV
.LBB44_3:
	s_or_b32 exec_lo, exec_lo, s4
	s_wait_loadcnt 0x0
	v_readfirstlane_b32 s4, v2
	s_wait_alu 0xf1ff
	s_delay_alu instid0(VALU_DEP_1)
	v_dual_mov_b32 v2, 0 :: v_dual_add_nc_u32 v1, s4, v1
	ds_store_b32 v2, v1
.LBB44_4:
	s_or_b32 exec_lo, exec_lo, s3
	v_mov_b32_e32 v2, 0
	s_clause 0x1
	s_load_b128 s[4:7], s[0:1], 0x8
	s_load_b32 s0, s[0:1], 0x68
	s_wait_dscnt 0x0
	s_barrier_signal -1
	s_barrier_wait -1
	global_inv scope:SCOPE_SE
	ds_load_b32 v1, v2
	s_wait_loadcnt_dscnt 0x0
	s_barrier_signal -1
	s_barrier_wait -1
	global_inv scope:SCOPE_SE
	s_wait_kmcnt 0x0
	global_load_b64 v[9:10], v2, s[10:11]
	s_mov_b32 s1, 0
	v_lshlrev_b32_e32 v8, 2, v0
	s_lshl_b64 s[18:19], s[6:7], 2
	s_add_co_i32 s3, s0, -1
	s_mulk_i32 s0, 0xa80
	s_delay_alu instid0(SALU_CYCLE_1)
	s_add_co_i32 s11, s0, s6
	s_add_nc_u64 s[6:7], s[6:7], s[0:1]
	v_readfirstlane_b32 s10, v1
	v_mul_lo_u32 v1, 0xa80, v1
	v_cmp_le_u64_e64 s1, s[16:17], s[6:7]
	s_sub_co_i32 s0, s16, s11
	s_add_nc_u64 s[16:17], s[4:5], s[18:19]
	s_cmp_eq_u32 s10, s3
	s_cselect_b32 s6, -1, 0
	v_lshlrev_b64_e32 v[1:2], 2, v[1:2]
	s_wait_alu 0xfffe
	s_and_b32 s1, s1, s6
	s_delay_alu instid0(SALU_CYCLE_1) | instskip(SKIP_1) | instid1(VALU_DEP_1)
	s_xor_b32 s5, s1, -1
	s_mov_b32 s1, -1
	v_add_co_u32 v11, vcc_lo, s16, v1
	s_delay_alu instid0(VALU_DEP_1)
	v_add_co_ci_u32_e64 v12, null, s17, v2, vcc_lo
	s_wait_alu 0xfffe
	s_and_b32 vcc_lo, exec_lo, s5
	s_wait_alu 0xfffe
	s_cbranch_vccz .LBB44_6
; %bb.5:
	v_add_co_u32 v1, vcc_lo, v11, v8
	s_wait_alu 0xfffd
	v_add_co_ci_u32_e64 v2, null, 0, v12, vcc_lo
	s_mov_b32 s1, 0
	s_clause 0x6
	flat_load_b32 v3, v[1:2]
	flat_load_b32 v4, v[1:2] offset:1536
	flat_load_b32 v5, v[1:2] offset:3072
	;; [unrolled: 1-line block ×6, first 2 shown]
	s_wait_loadcnt_dscnt 0x505
	ds_store_2addr_stride64_b32 v8, v3, v4 offset1:6
	s_wait_loadcnt_dscnt 0x304
	ds_store_2addr_stride64_b32 v8, v5, v6 offset0:12 offset1:18
	s_wait_loadcnt_dscnt 0x103
	ds_store_2addr_stride64_b32 v8, v7, v13 offset0:24 offset1:30
	s_wait_loadcnt_dscnt 0x3
	ds_store_b32 v8, v1 offset:9216
	s_wait_dscnt 0x0
	s_barrier_signal -1
	s_barrier_wait -1
.LBB44_6:
	s_and_not1_b32 vcc_lo, exec_lo, s1
	s_addk_co_i32 s0, 0xa80
	s_wait_alu 0xfffe
	s_cbranch_vccnz .LBB44_22
; %bb.7:
	v_mov_b32_e32 v1, 0
	s_mov_b32 s1, exec_lo
	s_delay_alu instid0(VALU_DEP_1)
	v_dual_mov_b32 v2, v1 :: v_dual_mov_b32 v3, v1
	v_dual_mov_b32 v4, v1 :: v_dual_mov_b32 v5, v1
	;; [unrolled: 1-line block ×3, first 2 shown]
	v_cmpx_gt_u32_e64 s0, v0
	s_cbranch_execz .LBB44_9
; %bb.8:
	v_add_co_u32 v2, vcc_lo, v11, v8
	s_wait_alu 0xfffd
	v_add_co_ci_u32_e64 v3, null, 0, v12, vcc_lo
	v_dual_mov_b32 v14, v1 :: v_dual_mov_b32 v15, v1
	v_dual_mov_b32 v16, v1 :: v_dual_mov_b32 v17, v1
	flat_load_b32 v13, v[2:3]
	v_dual_mov_b32 v18, v1 :: v_dual_mov_b32 v19, v1
	s_wait_loadcnt_dscnt 0x0
	v_dual_mov_b32 v1, v13 :: v_dual_mov_b32 v2, v14
	v_dual_mov_b32 v3, v15 :: v_dual_mov_b32 v4, v16
	s_delay_alu instid0(VALU_DEP_3)
	v_dual_mov_b32 v5, v17 :: v_dual_mov_b32 v6, v18
	v_mov_b32_e32 v7, v19
.LBB44_9:
	s_or_b32 exec_lo, exec_lo, s1
	v_add_nc_u32_e32 v13, 0x180, v0
	s_mov_b32 s1, exec_lo
	s_delay_alu instid0(VALU_DEP_1)
	v_cmpx_gt_u32_e64 s0, v13
	s_cbranch_execz .LBB44_11
; %bb.10:
	v_add_co_u32 v13, vcc_lo, v11, v8
	s_wait_alu 0xfffd
	v_add_co_ci_u32_e64 v14, null, 0, v12, vcc_lo
	flat_load_b32 v2, v[13:14] offset:1536
.LBB44_11:
	s_wait_alu 0xfffe
	s_or_b32 exec_lo, exec_lo, s1
	v_add_nc_u32_e32 v13, 0x300, v0
	s_mov_b32 s1, exec_lo
	s_delay_alu instid0(VALU_DEP_1)
	v_cmpx_gt_u32_e64 s0, v13
	s_cbranch_execz .LBB44_13
; %bb.12:
	v_add_co_u32 v13, vcc_lo, v11, v8
	s_wait_alu 0xfffd
	v_add_co_ci_u32_e64 v14, null, 0, v12, vcc_lo
	flat_load_b32 v3, v[13:14] offset:3072
.LBB44_13:
	s_wait_alu 0xfffe
	;; [unrolled: 13-line block ×3, first 2 shown]
	s_or_b32 exec_lo, exec_lo, s1
	v_or_b32_e32 v13, 0x600, v0
	s_mov_b32 s1, exec_lo
	s_delay_alu instid0(VALU_DEP_1)
	v_cmpx_gt_u32_e64 s0, v13
	s_cbranch_execz .LBB44_17
; %bb.16:
	v_add_co_u32 v13, vcc_lo, v11, v8
	s_wait_alu 0xfffd
	v_add_co_ci_u32_e64 v14, null, 0, v12, vcc_lo
	flat_load_b32 v5, v[13:14] offset:6144
.LBB44_17:
	s_wait_alu 0xfffe
	s_or_b32 exec_lo, exec_lo, s1
	v_add_nc_u32_e32 v13, 0x780, v0
	s_mov_b32 s1, exec_lo
	s_delay_alu instid0(VALU_DEP_1)
	v_cmpx_gt_u32_e64 s0, v13
	s_cbranch_execz .LBB44_19
; %bb.18:
	v_add_co_u32 v13, vcc_lo, v11, v8
	s_wait_alu 0xfffd
	v_add_co_ci_u32_e64 v14, null, 0, v12, vcc_lo
	flat_load_b32 v6, v[13:14] offset:7680
.LBB44_19:
	s_wait_alu 0xfffe
	s_or_b32 exec_lo, exec_lo, s1
	v_add_nc_u32_e32 v13, 0x900, v0
	s_mov_b32 s1, exec_lo
	s_delay_alu instid0(VALU_DEP_1)
	v_cmpx_gt_u32_e64 s0, v13
	s_cbranch_execz .LBB44_21
; %bb.20:
	v_add_co_u32 v11, vcc_lo, v11, v8
	s_wait_alu 0xfffd
	v_add_co_ci_u32_e64 v12, null, 0, v12, vcc_lo
	flat_load_b32 v7, v[11:12] offset:9216
.LBB44_21:
	s_wait_alu 0xfffe
	s_or_b32 exec_lo, exec_lo, s1
	s_wait_loadcnt_dscnt 0x0
	ds_store_2addr_stride64_b32 v8, v1, v2 offset1:6
	ds_store_2addr_stride64_b32 v8, v3, v4 offset0:12 offset1:18
	ds_store_2addr_stride64_b32 v8, v5, v6 offset0:24 offset1:30
	ds_store_b32 v8, v7 offset:9216
	s_wait_dscnt 0x0
	s_barrier_signal -1
	s_barrier_wait -1
.LBB44_22:
	v_mul_u32_u24_e32 v1, 7, v0
	s_wait_loadcnt 0x0
	global_inv scope:SCOPE_SE
	s_and_not1_b32 vcc_lo, exec_lo, s5
	v_lshlrev_b32_e32 v32, 2, v1
	ds_load_2addr_b32 v[15:16], v32 offset1:1
	ds_load_2addr_b32 v[13:14], v32 offset0:2 offset1:3
	ds_load_2addr_b32 v[11:12], v32 offset0:4 offset1:5
	ds_load_b32 v33, v32 offset:24
	s_wait_loadcnt_dscnt 0x0
	s_barrier_signal -1
	s_barrier_wait -1
	global_inv scope:SCOPE_SE
	s_wait_alu 0xfffe
	s_cbranch_vccnz .LBB44_24
; %bb.23:
	v_and_b32_e32 v2, 1, v16
	v_and_b32_e32 v3, 1, v14
	;; [unrolled: 1-line block ×5, first 2 shown]
	v_lshlrev_b16 v2, 8, v2
	v_lshlrev_b16 v3, 8, v3
	v_and_b32_e32 v36, 1, v11
	s_delay_alu instid0(VALU_DEP_3) | instskip(NEXT) | instid1(VALU_DEP_3)
	v_lshrrev_b32_e32 v2, 8, v2
	v_lshrrev_b32_e32 v3, 8, v3
	s_delay_alu instid0(VALU_DEP_2) | instskip(NEXT) | instid1(VALU_DEP_2)
	v_lshlrev_b16 v2, 8, v2
	v_lshlrev_b16 v3, 8, v3
	s_delay_alu instid0(VALU_DEP_2) | instskip(NEXT) | instid1(VALU_DEP_2)
	v_or_b32_e32 v2, v4, v2
	v_or_b32_e32 v3, v5, v3
	v_and_b32_e32 v4, 1, v12
	v_lshlrev_b16 v5, 8, v34
	s_delay_alu instid0(VALU_DEP_4) | instskip(NEXT) | instid1(VALU_DEP_4)
	v_and_b32_e32 v2, 0xffff, v2
	v_lshlrev_b32_e32 v3, 16, v3
	s_delay_alu instid0(VALU_DEP_3) | instskip(NEXT) | instid1(VALU_DEP_2)
	v_or_b32_e32 v35, v4, v5
	v_or_b32_e32 v31, v2, v3
	s_cbranch_execz .LBB44_25
	s_branch .LBB44_26
.LBB44_24:
                                        ; implicit-def: $vgpr34
                                        ; implicit-def: $vgpr35
                                        ; implicit-def: $vgpr36
                                        ; implicit-def: $vgpr31
.LBB44_25:
	v_add_nc_u32_e32 v2, 3, v1
	v_add_nc_u32_e32 v3, 1, v1
	;; [unrolled: 1-line block ×5, first 2 shown]
	v_cmp_gt_u32_e32 vcc_lo, s0, v2
	s_wait_alu 0xfffd
	v_cndmask_b32_e64 v2, 0, 1, vcc_lo
	v_cmp_gt_u32_e32 vcc_lo, s0, v3
	s_delay_alu instid0(VALU_DEP_2)
	v_and_b32_e32 v2, v2, v14
	s_wait_alu 0xfffd
	v_cndmask_b32_e64 v3, 0, 1, vcc_lo
	v_cmp_gt_u32_e32 vcc_lo, s0, v1
	v_add_nc_u32_e32 v1, 6, v1
	v_lshlrev_b16 v2, 8, v2
	s_delay_alu instid0(VALU_DEP_4)
	v_and_b32_e32 v3, v3, v16
	s_wait_alu 0xfffd
	v_cndmask_b32_e64 v5, 0, 1, vcc_lo
	v_cmp_gt_u32_e32 vcc_lo, s0, v4
	v_lshrrev_b32_e32 v2, 8, v2
	v_lshlrev_b16 v3, 8, v3
	s_delay_alu instid0(VALU_DEP_4)
	v_and_b32_e32 v5, v5, v15
	s_wait_alu 0xfffd
	v_cndmask_b32_e64 v4, 0, 1, vcc_lo
	v_cmp_gt_u32_e32 vcc_lo, s0, v6
	v_and_b32_e32 v2, 1, v2
	v_lshrrev_b32_e32 v3, 8, v3
	v_and_b32_e32 v5, 1, v5
	v_and_b32_e32 v4, v4, v13
	s_wait_alu 0xfffd
	v_cndmask_b32_e64 v6, 0, 1, vcc_lo
	v_lshlrev_b16 v2, 8, v2
	v_lshlrev_b16 v3, 8, v3
	v_cmp_gt_u32_e32 vcc_lo, s0, v7
	v_and_b32_e32 v4, 1, v4
	v_and_b32_e32 v36, v6, v11
	s_delay_alu instid0(VALU_DEP_4) | instskip(NEXT) | instid1(VALU_DEP_3)
	v_or_b32_e32 v3, v5, v3
	v_or_b32_e32 v2, v4, v2
	s_wait_alu 0xfffd
	v_cndmask_b32_e64 v4, 0, 1, vcc_lo
	v_cmp_gt_u32_e32 vcc_lo, s0, v1
	v_and_b32_e32 v3, 0xffff, v3
	v_lshlrev_b32_e32 v2, 16, v2
	s_delay_alu instid0(VALU_DEP_4) | instskip(SKIP_2) | instid1(VALU_DEP_3)
	v_and_b32_e32 v35, v4, v12
	s_wait_alu 0xfffd
	v_cndmask_b32_e64 v1, 0, 1, vcc_lo
	v_or_b32_e32 v31, v3, v2
	s_delay_alu instid0(VALU_DEP_2)
	v_and_b32_e32 v34, v1, v33
.LBB44_26:
	s_delay_alu instid0(VALU_DEP_1)
	v_and_b32_e32 v42, 0xff, v31
	v_bfe_u32 v40, v31, 8, 8
	v_bfe_u32 v39, v31, 16, 8
	v_lshrrev_b32_e32 v37, 24, v31
	v_dual_mov_b32 v2, 0 :: v_dual_and_b32 v41, 0xff, v36
	v_and_b32_e32 v38, 0xff, v35
	s_delay_alu instid0(VALU_DEP_4)
	v_add3_u32 v1, v40, v42, v39
	v_mbcnt_lo_u32_b32 v43, -1, 0
	v_and_b32_e32 v4, 0xff, v34
	s_cmp_lg_u32 s10, 0
	s_mov_b32 s1, -1
	v_add_co_u32 v1, s0, v1, v37
	s_wait_alu 0xf1ff
	v_add_co_ci_u32_e64 v3, null, 0, 0, s0
	v_and_b32_e32 v44, 15, v43
	s_delay_alu instid0(VALU_DEP_3) | instskip(SKIP_1) | instid1(VALU_DEP_3)
	v_add_co_u32 v1, vcc_lo, v1, v41
	s_wait_alu 0xfffd
	v_add_co_ci_u32_e64 v3, null, 0, v3, vcc_lo
	s_delay_alu instid0(VALU_DEP_3) | instskip(NEXT) | instid1(VALU_DEP_3)
	v_cmp_ne_u32_e64 s0, 0, v44
	v_add_co_u32 v1, vcc_lo, v1, v38
	s_wait_alu 0xfffd
	s_delay_alu instid0(VALU_DEP_3) | instskip(NEXT) | instid1(VALU_DEP_2)
	v_add_co_ci_u32_e64 v3, null, 0, v3, vcc_lo
	v_add_co_u32 v17, vcc_lo, v1, v4
	s_wait_alu 0xfffd
	s_delay_alu instid0(VALU_DEP_2)
	v_add_co_ci_u32_e64 v18, null, 0, v3, vcc_lo
	s_cbranch_scc0 .LBB44_85
; %bb.27:
	v_mov_b32_e32 v3, v17
	v_mov_b32_dpp v1, v17 row_shr:1 row_mask:0xf bank_mask:0xf
	v_mov_b32_dpp v6, v2 row_shr:1 row_mask:0xf bank_mask:0xf
	v_dual_mov_b32 v5, v17 :: v_dual_mov_b32 v4, v18
	s_and_saveexec_b32 s1, s0
; %bb.28:
	s_delay_alu instid0(VALU_DEP_3) | instskip(SKIP_2) | instid1(VALU_DEP_2)
	v_add_co_u32 v5, vcc_lo, v17, v1
	s_wait_alu 0xfffd
	v_add_co_ci_u32_e64 v2, null, 0, v18, vcc_lo
	v_add_co_u32 v1, vcc_lo, 0, v5
	s_wait_alu 0xfffd
	s_delay_alu instid0(VALU_DEP_2) | instskip(NEXT) | instid1(VALU_DEP_1)
	v_add_co_ci_u32_e64 v2, null, v6, v2, vcc_lo
	v_dual_mov_b32 v4, v2 :: v_dual_mov_b32 v3, v1
; %bb.29:
	s_wait_alu 0xfffe
	s_or_b32 exec_lo, exec_lo, s1
	v_mov_b32_dpp v1, v5 row_shr:2 row_mask:0xf bank_mask:0xf
	v_mov_b32_dpp v6, v2 row_shr:2 row_mask:0xf bank_mask:0xf
	v_cmp_lt_u32_e32 vcc_lo, 1, v44
	s_and_saveexec_b32 s3, vcc_lo
; %bb.30:
	s_delay_alu instid0(VALU_DEP_3) | instskip(SKIP_2) | instid1(VALU_DEP_2)
	v_add_co_u32 v5, s1, v3, v1
	s_wait_alu 0xf1ff
	v_add_co_ci_u32_e64 v2, null, 0, v4, s1
	v_add_co_u32 v1, s1, 0, v5
	s_wait_alu 0xf1ff
	s_delay_alu instid0(VALU_DEP_2) | instskip(NEXT) | instid1(VALU_DEP_1)
	v_add_co_ci_u32_e64 v2, null, v6, v2, s1
	v_dual_mov_b32 v4, v2 :: v_dual_mov_b32 v3, v1
; %bb.31:
	s_or_b32 exec_lo, exec_lo, s3
	v_mov_b32_dpp v1, v5 row_shr:4 row_mask:0xf bank_mask:0xf
	v_mov_b32_dpp v6, v2 row_shr:4 row_mask:0xf bank_mask:0xf
	v_cmp_lt_u32_e64 s1, 3, v44
	s_and_saveexec_b32 s4, s1
; %bb.32:
	v_add_co_u32 v5, s3, v3, v1
	s_delay_alu instid0(VALU_DEP_1) | instskip(NEXT) | instid1(VALU_DEP_2)
	v_add_co_ci_u32_e64 v2, null, 0, v4, s3
	v_add_co_u32 v1, s3, 0, v5
	s_wait_alu 0xf1ff
	s_delay_alu instid0(VALU_DEP_2) | instskip(NEXT) | instid1(VALU_DEP_1)
	v_add_co_ci_u32_e64 v2, null, v6, v2, s3
	v_dual_mov_b32 v4, v2 :: v_dual_mov_b32 v3, v1
; %bb.33:
	s_wait_alu 0xfffe
	s_or_b32 exec_lo, exec_lo, s4
	v_mov_b32_dpp v6, v5 row_shr:8 row_mask:0xf bank_mask:0xf
	v_mov_b32_dpp v1, v2 row_shr:8 row_mask:0xf bank_mask:0xf
	v_cmp_lt_u32_e64 s3, 7, v44
	s_and_saveexec_b32 s7, s3
; %bb.34:
	v_add_co_u32 v5, s4, v3, v6
	s_wait_alu 0xf1ff
	v_add_co_ci_u32_e64 v2, null, 0, v4, s4
	s_delay_alu instid0(VALU_DEP_2) | instskip(SKIP_1) | instid1(VALU_DEP_2)
	v_add_co_u32 v3, s4, 0, v5
	s_wait_alu 0xf1ff
	v_add_co_ci_u32_e64 v4, null, v1, v2, s4
	s_delay_alu instid0(VALU_DEP_1)
	v_mov_b32_e32 v2, v4
; %bb.35:
	s_wait_alu 0xfffe
	s_or_b32 exec_lo, exec_lo, s7
	ds_swizzle_b32 v1, v5 offset:swizzle(BROADCAST,32,15)
	ds_swizzle_b32 v6, v2 offset:swizzle(BROADCAST,32,15)
	v_and_b32_e32 v7, 16, v43
	s_mov_b32 s7, exec_lo
	s_delay_alu instid0(VALU_DEP_1)
	v_cmpx_ne_u32_e32 0, v7
	s_cbranch_execz .LBB44_37
; %bb.36:
	s_wait_dscnt 0x1
	v_add_co_u32 v5, s4, v3, v1
	s_wait_alu 0xf1ff
	v_add_co_ci_u32_e64 v2, null, 0, v4, s4
	s_delay_alu instid0(VALU_DEP_2) | instskip(SKIP_2) | instid1(VALU_DEP_2)
	v_add_co_u32 v1, s4, 0, v5
	s_wait_dscnt 0x0
	s_wait_alu 0xf1ff
	v_add_co_ci_u32_e64 v2, null, v6, v2, s4
	s_delay_alu instid0(VALU_DEP_1)
	v_dual_mov_b32 v4, v2 :: v_dual_mov_b32 v3, v1
.LBB44_37:
	s_wait_alu 0xfffe
	s_or_b32 exec_lo, exec_lo, s7
	s_wait_dscnt 0x1
	v_and_b32_e32 v1, 0x1e0, v0
	s_mov_b32 s7, exec_lo
	s_delay_alu instid0(VALU_DEP_1) | instskip(SKIP_1) | instid1(VALU_DEP_1)
	v_min_u32_e32 v1, 0x160, v1
	s_wait_dscnt 0x0
	v_or_b32_e32 v6, 31, v1
	v_lshrrev_b32_e32 v1, 5, v0
	s_delay_alu instid0(VALU_DEP_2)
	v_cmpx_eq_u32_e64 v0, v6
; %bb.38:
	s_delay_alu instid0(VALU_DEP_2)
	v_lshlrev_b32_e32 v6, 3, v1
	ds_store_b64 v6, v[3:4]
; %bb.39:
	s_wait_alu 0xfffe
	s_or_b32 exec_lo, exec_lo, s7
	s_delay_alu instid0(SALU_CYCLE_1)
	s_mov_b32 s7, exec_lo
	s_wait_loadcnt_dscnt 0x0
	s_barrier_signal -1
	s_barrier_wait -1
	global_inv scope:SCOPE_SE
	v_cmpx_gt_u32_e32 12, v0
	s_cbranch_execz .LBB44_49
; %bb.40:
	v_lshlrev_b32_e32 v6, 3, v0
	ds_load_b64 v[3:4], v6
	s_wait_dscnt 0x0
	v_mov_b32_dpp v19, v3 row_shr:1 row_mask:0xf bank_mask:0xf
	v_mov_b32_dpp v8, v4 row_shr:1 row_mask:0xf bank_mask:0xf
	v_mov_b32_e32 v7, v3
	s_and_saveexec_b32 s11, s0
; %bb.41:
	s_delay_alu instid0(VALU_DEP_3) | instskip(SKIP_2) | instid1(VALU_DEP_2)
	v_add_co_u32 v7, s4, v3, v19
	s_wait_alu 0xf1ff
	v_add_co_ci_u32_e64 v4, null, 0, v4, s4
	v_add_co_u32 v3, s4, 0, v7
	s_wait_alu 0xf1ff
	s_delay_alu instid0(VALU_DEP_2)
	v_add_co_ci_u32_e64 v4, null, v8, v4, s4
; %bb.42:
	s_or_b32 exec_lo, exec_lo, s11
	v_mov_b32_dpp v19, v7 row_shr:2 row_mask:0xf bank_mask:0xf
	s_delay_alu instid0(VALU_DEP_2)
	v_mov_b32_dpp v8, v4 row_shr:2 row_mask:0xf bank_mask:0xf
	s_and_saveexec_b32 s4, vcc_lo
; %bb.43:
	s_delay_alu instid0(VALU_DEP_2) | instskip(SKIP_2) | instid1(VALU_DEP_2)
	v_add_co_u32 v7, vcc_lo, v3, v19
	s_wait_alu 0xfffd
	v_add_co_ci_u32_e64 v4, null, 0, v4, vcc_lo
	v_add_co_u32 v3, vcc_lo, 0, v7
	s_wait_alu 0xfffd
	s_delay_alu instid0(VALU_DEP_2)
	v_add_co_ci_u32_e64 v4, null, v8, v4, vcc_lo
; %bb.44:
	s_wait_alu 0xfffe
	s_or_b32 exec_lo, exec_lo, s4
	v_mov_b32_dpp v19, v7 row_shr:4 row_mask:0xf bank_mask:0xf
	s_delay_alu instid0(VALU_DEP_2)
	v_mov_b32_dpp v8, v4 row_shr:4 row_mask:0xf bank_mask:0xf
	s_and_saveexec_b32 s4, s1
; %bb.45:
	s_delay_alu instid0(VALU_DEP_2) | instskip(SKIP_2) | instid1(VALU_DEP_2)
	v_add_co_u32 v7, vcc_lo, v3, v19
	s_wait_alu 0xfffd
	v_add_co_ci_u32_e64 v4, null, 0, v4, vcc_lo
	v_add_co_u32 v3, vcc_lo, 0, v7
	s_wait_alu 0xfffd
	s_delay_alu instid0(VALU_DEP_2)
	v_add_co_ci_u32_e64 v4, null, v8, v4, vcc_lo
; %bb.46:
	s_wait_alu 0xfffe
	s_or_b32 exec_lo, exec_lo, s4
	v_mov_b32_dpp v8, v7 row_shr:8 row_mask:0xf bank_mask:0xf
	s_delay_alu instid0(VALU_DEP_2)
	v_mov_b32_dpp v7, v4 row_shr:8 row_mask:0xf bank_mask:0xf
	s_and_saveexec_b32 s1, s3
; %bb.47:
	s_delay_alu instid0(VALU_DEP_2) | instskip(SKIP_2) | instid1(VALU_DEP_2)
	v_add_co_u32 v3, vcc_lo, v3, v8
	s_wait_alu 0xfffd
	v_add_co_ci_u32_e64 v4, null, 0, v4, vcc_lo
	v_add_co_u32 v3, vcc_lo, v3, 0
	s_wait_alu 0xfffd
	s_delay_alu instid0(VALU_DEP_2)
	v_add_co_ci_u32_e64 v4, null, v4, v7, vcc_lo
; %bb.48:
	s_wait_alu 0xfffe
	s_or_b32 exec_lo, exec_lo, s1
	ds_store_b64 v6, v[3:4]
.LBB44_49:
	s_wait_alu 0xfffe
	s_or_b32 exec_lo, exec_lo, s7
	s_delay_alu instid0(SALU_CYCLE_1)
	s_mov_b32 s3, exec_lo
	v_cmp_gt_u32_e32 vcc_lo, 32, v0
	s_wait_loadcnt_dscnt 0x0
	s_barrier_signal -1
	s_barrier_wait -1
	global_inv scope:SCOPE_SE
                                        ; implicit-def: $vgpr19_vgpr20
	v_cmpx_lt_u32_e32 31, v0
	s_cbranch_execz .LBB44_51
; %bb.50:
	v_lshl_add_u32 v1, v1, 3, -8
	ds_load_b64 v[19:20], v1
	s_wait_dscnt 0x0
	v_add_co_u32 v5, s1, v5, v19
	s_wait_alu 0xf1ff
	v_add_co_ci_u32_e64 v2, null, v2, v20, s1
.LBB44_51:
	s_wait_alu 0xfffe
	s_or_b32 exec_lo, exec_lo, s3
	v_sub_co_u32 v1, s1, v43, 1
	s_delay_alu instid0(VALU_DEP_1) | instskip(SKIP_1) | instid1(VALU_DEP_1)
	v_cmp_gt_i32_e64 s3, 0, v1
	s_wait_alu 0xf1ff
	v_cndmask_b32_e64 v1, v1, v43, s3
	s_delay_alu instid0(VALU_DEP_1)
	v_lshlrev_b32_e32 v1, 2, v1
	ds_bpermute_b32 v25, v1, v5
	ds_bpermute_b32 v26, v1, v2
	s_and_saveexec_b32 s3, vcc_lo
	s_cbranch_execz .LBB44_90
; %bb.52:
	v_mov_b32_e32 v4, 0
	ds_load_b64 v[1:2], v4 offset:88
	s_and_saveexec_b32 s4, s1
	s_cbranch_execz .LBB44_54
; %bb.53:
	s_add_co_i32 s16, s10, 32
	s_mov_b32 s17, 0
	s_wait_alu 0xfffe
	s_lshl_b64 s[16:17], s[16:17], 4
	s_wait_alu 0xfffe
	s_add_nc_u64 s[16:17], s[14:15], s[16:17]
	v_mov_b32_e32 v3, 1
	s_wait_alu 0xfffe
	v_dual_mov_b32 v5, s16 :: v_dual_mov_b32 v6, s17
	s_wait_dscnt 0x0
	;;#ASMSTART
	global_store_b128 v[5:6], v[1:4] off scope:SCOPE_DEV	
s_wait_storecnt 0x0
	;;#ASMEND
.LBB44_54:
	s_wait_alu 0xfffe
	s_or_b32 exec_lo, exec_lo, s4
	v_xad_u32 v21, v43, -1, s10
	s_mov_b32 s7, 0
	s_mov_b32 s4, exec_lo
	s_delay_alu instid0(VALU_DEP_1) | instskip(NEXT) | instid1(VALU_DEP_1)
	v_add_nc_u32_e32 v3, 32, v21
	v_lshlrev_b64_e32 v[3:4], 4, v[3:4]
	s_delay_alu instid0(VALU_DEP_1) | instskip(SKIP_1) | instid1(VALU_DEP_2)
	v_add_co_u32 v3, vcc_lo, s14, v3
	s_wait_alu 0xfffd
	v_add_co_ci_u32_e64 v4, null, s15, v4, vcc_lo
	;;#ASMSTART
	global_load_b128 v[5:8], v[3:4] off scope:SCOPE_DEV	
s_wait_loadcnt 0x0
	;;#ASMEND
	v_and_b32_e32 v8, 0xff, v7
	s_delay_alu instid0(VALU_DEP_1)
	v_cmpx_eq_u16_e32 0, v8
	s_cbranch_execz .LBB44_57
.LBB44_55:                              ; =>This Inner Loop Header: Depth=1
	;;#ASMSTART
	global_load_b128 v[5:8], v[3:4] off scope:SCOPE_DEV	
s_wait_loadcnt 0x0
	;;#ASMEND
	v_and_b32_e32 v8, 0xff, v7
	s_delay_alu instid0(VALU_DEP_1)
	v_cmp_ne_u16_e32 vcc_lo, 0, v8
	s_wait_alu 0xfffe
	s_or_b32 s7, vcc_lo, s7
	s_wait_alu 0xfffe
	s_and_not1_b32 exec_lo, exec_lo, s7
	s_cbranch_execnz .LBB44_55
; %bb.56:
	s_or_b32 exec_lo, exec_lo, s7
.LBB44_57:
	s_wait_alu 0xfffe
	s_or_b32 exec_lo, exec_lo, s4
	v_cmp_ne_u32_e32 vcc_lo, 31, v43
	v_and_b32_e32 v4, 0xff, v7
	v_lshlrev_b32_e64 v28, v43, -1
	s_mov_b32 s4, exec_lo
	s_wait_alu 0xfffd
	v_add_co_ci_u32_e64 v3, null, 0, v43, vcc_lo
	v_cmp_eq_u16_e32 vcc_lo, 2, v4
	s_delay_alu instid0(VALU_DEP_2)
	v_dual_mov_b32 v4, v5 :: v_dual_lshlrev_b32 v27, 2, v3
	s_wait_alu 0xfffd
	v_and_or_b32 v3, vcc_lo, v28, 0x80000000
	ds_bpermute_b32 v22, v27, v5
	ds_bpermute_b32 v8, v27, v6
	v_ctz_i32_b32_e32 v3, v3
	s_delay_alu instid0(VALU_DEP_1)
	v_cmpx_lt_u32_e64 v43, v3
	s_cbranch_execz .LBB44_59
; %bb.58:
	s_wait_dscnt 0x1
	v_add_co_u32 v4, vcc_lo, v5, v22
	s_wait_alu 0xfffd
	v_add_co_ci_u32_e64 v6, null, 0, v6, vcc_lo
	s_delay_alu instid0(VALU_DEP_2) | instskip(SKIP_2) | instid1(VALU_DEP_2)
	v_add_co_u32 v5, vcc_lo, 0, v4
	s_wait_dscnt 0x0
	s_wait_alu 0xfffd
	v_add_co_ci_u32_e64 v6, null, v8, v6, vcc_lo
.LBB44_59:
	s_wait_alu 0xfffe
	s_or_b32 exec_lo, exec_lo, s4
	v_cmp_gt_u32_e32 vcc_lo, 30, v43
	v_add_nc_u32_e32 v30, 2, v43
	s_mov_b32 s4, exec_lo
	s_wait_dscnt 0x0
	s_wait_alu 0xfffd
	v_cndmask_b32_e64 v8, 0, 2, vcc_lo
	s_delay_alu instid0(VALU_DEP_1)
	v_add_lshl_u32 v29, v8, v43, 2
	ds_bpermute_b32 v22, v29, v4
	ds_bpermute_b32 v8, v29, v6
	v_cmpx_le_u32_e64 v30, v3
	s_cbranch_execz .LBB44_61
; %bb.60:
	s_wait_dscnt 0x1
	v_add_co_u32 v4, vcc_lo, v5, v22
	s_wait_alu 0xfffd
	v_add_co_ci_u32_e64 v6, null, 0, v6, vcc_lo
	s_delay_alu instid0(VALU_DEP_2) | instskip(SKIP_2) | instid1(VALU_DEP_2)
	v_add_co_u32 v5, vcc_lo, 0, v4
	s_wait_dscnt 0x0
	s_wait_alu 0xfffd
	v_add_co_ci_u32_e64 v6, null, v8, v6, vcc_lo
.LBB44_61:
	s_wait_alu 0xfffe
	s_or_b32 exec_lo, exec_lo, s4
	v_cmp_gt_u32_e32 vcc_lo, 28, v43
	v_add_nc_u32_e32 v46, 4, v43
	s_mov_b32 s4, exec_lo
	s_wait_dscnt 0x0
	s_wait_alu 0xfffd
	v_cndmask_b32_e64 v8, 0, 4, vcc_lo
	s_delay_alu instid0(VALU_DEP_1)
	v_add_lshl_u32 v45, v8, v43, 2
	ds_bpermute_b32 v22, v45, v4
	ds_bpermute_b32 v8, v45, v6
	v_cmpx_le_u32_e64 v46, v3
	;; [unrolled: 25-line block ×3, first 2 shown]
	s_cbranch_execz .LBB44_65
; %bb.64:
	s_wait_dscnt 0x1
	v_add_co_u32 v4, vcc_lo, v5, v22
	s_wait_alu 0xfffd
	v_add_co_ci_u32_e64 v6, null, 0, v6, vcc_lo
	s_delay_alu instid0(VALU_DEP_2) | instskip(SKIP_2) | instid1(VALU_DEP_2)
	v_add_co_u32 v5, vcc_lo, 0, v4
	s_wait_dscnt 0x0
	s_wait_alu 0xfffd
	v_add_co_ci_u32_e64 v6, null, v8, v6, vcc_lo
.LBB44_65:
	s_wait_alu 0xfffe
	s_or_b32 exec_lo, exec_lo, s4
	v_lshl_or_b32 v49, v43, 2, 64
	v_add_nc_u32_e32 v50, 16, v43
	s_mov_b32 s4, exec_lo
	s_wait_dscnt 0x0
	ds_bpermute_b32 v8, v49, v4
	ds_bpermute_b32 v4, v49, v6
	v_cmpx_le_u32_e64 v50, v3
	s_cbranch_execz .LBB44_67
; %bb.66:
	s_wait_dscnt 0x1
	v_add_co_u32 v3, vcc_lo, v5, v8
	s_wait_alu 0xfffd
	v_add_co_ci_u32_e64 v6, null, 0, v6, vcc_lo
	s_delay_alu instid0(VALU_DEP_2) | instskip(SKIP_2) | instid1(VALU_DEP_2)
	v_add_co_u32 v5, vcc_lo, v3, 0
	s_wait_dscnt 0x0
	s_wait_alu 0xfffd
	v_add_co_ci_u32_e64 v6, null, v6, v4, vcc_lo
.LBB44_67:
	s_wait_alu 0xfffe
	s_or_b32 exec_lo, exec_lo, s4
	v_mov_b32_e32 v22, 0
	s_branch .LBB44_70
.LBB44_68:                              ;   in Loop: Header=BB44_70 Depth=1
	s_wait_alu 0xfffe
	s_or_b32 exec_lo, exec_lo, s4
	v_add_co_u32 v5, vcc_lo, v5, v3
	v_subrev_nc_u32_e32 v21, 32, v21
	s_wait_alu 0xfffd
	v_add_co_ci_u32_e64 v6, null, v6, v4, vcc_lo
	s_mov_b32 s4, 0
.LBB44_69:                              ;   in Loop: Header=BB44_70 Depth=1
	s_wait_alu 0xfffe
	s_and_b32 vcc_lo, exec_lo, s4
	s_wait_alu 0xfffe
	s_cbranch_vccnz .LBB44_86
.LBB44_70:                              ; =>This Loop Header: Depth=1
                                        ;     Child Loop BB44_73 Depth 2
	v_and_b32_e32 v3, 0xff, v7
	s_mov_b32 s4, -1
	s_delay_alu instid0(VALU_DEP_1)
	v_cmp_ne_u16_e32 vcc_lo, 2, v3
	s_wait_dscnt 0x0
	v_dual_mov_b32 v3, v5 :: v_dual_mov_b32 v4, v6
                                        ; implicit-def: $vgpr5_vgpr6
	s_cmp_lg_u32 vcc_lo, exec_lo
	s_cbranch_scc1 .LBB44_69
; %bb.71:                               ;   in Loop: Header=BB44_70 Depth=1
	v_lshlrev_b64_e32 v[5:6], 4, v[21:22]
	s_mov_b32 s4, exec_lo
	s_delay_alu instid0(VALU_DEP_1) | instskip(SKIP_1) | instid1(VALU_DEP_2)
	v_add_co_u32 v23, vcc_lo, s14, v5
	s_wait_alu 0xfffd
	v_add_co_ci_u32_e64 v24, null, s15, v6, vcc_lo
	;;#ASMSTART
	global_load_b128 v[5:8], v[23:24] off scope:SCOPE_DEV	
s_wait_loadcnt 0x0
	;;#ASMEND
	v_and_b32_e32 v8, 0xff, v7
	s_delay_alu instid0(VALU_DEP_1)
	v_cmpx_eq_u16_e32 0, v8
	s_cbranch_execz .LBB44_75
; %bb.72:                               ;   in Loop: Header=BB44_70 Depth=1
	s_mov_b32 s7, 0
.LBB44_73:                              ;   Parent Loop BB44_70 Depth=1
                                        ; =>  This Inner Loop Header: Depth=2
	;;#ASMSTART
	global_load_b128 v[5:8], v[23:24] off scope:SCOPE_DEV	
s_wait_loadcnt 0x0
	;;#ASMEND
	v_and_b32_e32 v8, 0xff, v7
	s_delay_alu instid0(VALU_DEP_1)
	v_cmp_ne_u16_e32 vcc_lo, 0, v8
	s_wait_alu 0xfffe
	s_or_b32 s7, vcc_lo, s7
	s_wait_alu 0xfffe
	s_and_not1_b32 exec_lo, exec_lo, s7
	s_cbranch_execnz .LBB44_73
; %bb.74:                               ;   in Loop: Header=BB44_70 Depth=1
	s_or_b32 exec_lo, exec_lo, s7
.LBB44_75:                              ;   in Loop: Header=BB44_70 Depth=1
	s_wait_alu 0xfffe
	s_or_b32 exec_lo, exec_lo, s4
	v_dual_mov_b32 v23, v5 :: v_dual_and_b32 v8, 0xff, v7
	ds_bpermute_b32 v51, v27, v5
	ds_bpermute_b32 v24, v27, v6
	s_mov_b32 s4, exec_lo
	v_cmp_eq_u16_e32 vcc_lo, 2, v8
	s_wait_alu 0xfffd
	v_and_or_b32 v8, vcc_lo, v28, 0x80000000
	s_delay_alu instid0(VALU_DEP_1) | instskip(NEXT) | instid1(VALU_DEP_1)
	v_ctz_i32_b32_e32 v8, v8
	v_cmpx_lt_u32_e64 v43, v8
	s_cbranch_execz .LBB44_77
; %bb.76:                               ;   in Loop: Header=BB44_70 Depth=1
	s_wait_dscnt 0x1
	v_add_co_u32 v23, vcc_lo, v5, v51
	s_wait_alu 0xfffd
	v_add_co_ci_u32_e64 v6, null, 0, v6, vcc_lo
	s_delay_alu instid0(VALU_DEP_2) | instskip(SKIP_2) | instid1(VALU_DEP_2)
	v_add_co_u32 v5, vcc_lo, 0, v23
	s_wait_dscnt 0x0
	s_wait_alu 0xfffd
	v_add_co_ci_u32_e64 v6, null, v24, v6, vcc_lo
.LBB44_77:                              ;   in Loop: Header=BB44_70 Depth=1
	s_wait_alu 0xfffe
	s_or_b32 exec_lo, exec_lo, s4
	s_wait_dscnt 0x1
	ds_bpermute_b32 v51, v29, v23
	s_wait_dscnt 0x1
	ds_bpermute_b32 v24, v29, v6
	s_mov_b32 s4, exec_lo
	v_cmpx_le_u32_e64 v30, v8
	s_cbranch_execz .LBB44_79
; %bb.78:                               ;   in Loop: Header=BB44_70 Depth=1
	s_wait_dscnt 0x1
	v_add_co_u32 v23, vcc_lo, v5, v51
	s_wait_alu 0xfffd
	v_add_co_ci_u32_e64 v6, null, 0, v6, vcc_lo
	s_delay_alu instid0(VALU_DEP_2) | instskip(SKIP_2) | instid1(VALU_DEP_2)
	v_add_co_u32 v5, vcc_lo, 0, v23
	s_wait_dscnt 0x0
	s_wait_alu 0xfffd
	v_add_co_ci_u32_e64 v6, null, v24, v6, vcc_lo
.LBB44_79:                              ;   in Loop: Header=BB44_70 Depth=1
	s_wait_alu 0xfffe
	s_or_b32 exec_lo, exec_lo, s4
	s_wait_dscnt 0x1
	ds_bpermute_b32 v51, v45, v23
	s_wait_dscnt 0x1
	ds_bpermute_b32 v24, v45, v6
	s_mov_b32 s4, exec_lo
	v_cmpx_le_u32_e64 v46, v8
	;; [unrolled: 20-line block ×3, first 2 shown]
	s_cbranch_execz .LBB44_83
; %bb.82:                               ;   in Loop: Header=BB44_70 Depth=1
	s_wait_dscnt 0x1
	v_add_co_u32 v23, vcc_lo, v5, v51
	s_wait_alu 0xfffd
	v_add_co_ci_u32_e64 v6, null, 0, v6, vcc_lo
	s_delay_alu instid0(VALU_DEP_2) | instskip(SKIP_2) | instid1(VALU_DEP_2)
	v_add_co_u32 v5, vcc_lo, 0, v23
	s_wait_dscnt 0x0
	s_wait_alu 0xfffd
	v_add_co_ci_u32_e64 v6, null, v24, v6, vcc_lo
.LBB44_83:                              ;   in Loop: Header=BB44_70 Depth=1
	s_wait_alu 0xfffe
	s_or_b32 exec_lo, exec_lo, s4
	s_wait_dscnt 0x0
	ds_bpermute_b32 v24, v49, v23
	ds_bpermute_b32 v23, v49, v6
	s_mov_b32 s4, exec_lo
	v_cmpx_le_u32_e64 v50, v8
	s_cbranch_execz .LBB44_68
; %bb.84:                               ;   in Loop: Header=BB44_70 Depth=1
	s_wait_dscnt 0x1
	v_add_co_u32 v5, vcc_lo, v5, v24
	s_wait_alu 0xfffd
	v_add_co_ci_u32_e64 v6, null, 0, v6, vcc_lo
	s_delay_alu instid0(VALU_DEP_2) | instskip(SKIP_2) | instid1(VALU_DEP_2)
	v_add_co_u32 v5, vcc_lo, v5, 0
	s_wait_dscnt 0x0
	s_wait_alu 0xfffd
	v_add_co_ci_u32_e64 v6, null, v6, v23, vcc_lo
	s_branch .LBB44_68
.LBB44_85:
                                        ; implicit-def: $vgpr19_vgpr20
                                        ; implicit-def: $vgpr6_vgpr7
                                        ; implicit-def: $vgpr21_vgpr22
                                        ; implicit-def: $vgpr23_vgpr24
                                        ; implicit-def: $vgpr25_vgpr26
                                        ; implicit-def: $vgpr27_vgpr28
                                        ; implicit-def: $vgpr29_vgpr30
                                        ; implicit-def: $vgpr4_vgpr5
	s_wait_alu 0xfffe
	s_and_b32 vcc_lo, exec_lo, s1
	s_wait_alu 0xfffe
	s_cbranch_vccnz .LBB44_91
	s_branch .LBB44_118
.LBB44_86:
	s_and_saveexec_b32 s4, s1
	s_cbranch_execz .LBB44_88
; %bb.87:
	s_add_co_i32 s10, s10, 32
	s_mov_b32 s11, 0
	v_add_co_u32 v5, vcc_lo, v3, v1
	s_wait_alu 0xfffe
	s_lshl_b64 s[10:11], s[10:11], 4
	v_dual_mov_b32 v7, 2 :: v_dual_mov_b32 v8, 0
	s_wait_alu 0xfffe
	s_add_nc_u64 s[10:11], s[14:15], s[10:11]
	s_wait_alu 0xfffd
	v_add_co_ci_u32_e64 v6, null, v4, v2, vcc_lo
	s_wait_alu 0xfffe
	v_dual_mov_b32 v22, s11 :: v_dual_mov_b32 v21, s10
	;;#ASMSTART
	global_store_b128 v[21:22], v[5:8] off scope:SCOPE_DEV	
s_wait_storecnt 0x0
	;;#ASMEND
	ds_store_b128 v8, v[1:4] offset:10752
.LBB44_88:
	s_wait_alu 0xfffe
	s_or_b32 exec_lo, exec_lo, s4
	s_delay_alu instid0(SALU_CYCLE_1)
	s_and_b32 exec_lo, exec_lo, s2
; %bb.89:
	v_mov_b32_e32 v1, 0
	ds_store_b64 v1, v[3:4] offset:88
.LBB44_90:
	s_wait_alu 0xfffe
	s_or_b32 exec_lo, exec_lo, s3
	v_mov_b32_e32 v3, 0
	s_wait_loadcnt_dscnt 0x0
	s_barrier_signal -1
	s_barrier_wait -1
	global_inv scope:SCOPE_SE
	ds_load_b64 v[1:2], v3 offset:88
	v_cndmask_b32_e64 v4, v25, v19, s1
	v_cndmask_b32_e64 v5, v26, v20, s1
	s_wait_loadcnt_dscnt 0x0
	s_barrier_signal -1
	s_barrier_wait -1
	v_cndmask_b32_e64 v4, v4, 0, s2
	v_cndmask_b32_e64 v5, v5, 0, s2
	global_inv scope:SCOPE_SE
	v_add_co_u32 v29, vcc_lo, v1, v4
	s_wait_alu 0xfffd
	v_add_co_ci_u32_e64 v30, null, v2, v5, vcc_lo
	ds_load_b128 v[2:5], v3 offset:10752
	v_add_co_u32 v27, vcc_lo, v29, v42
	s_wait_alu 0xfffd
	v_add_co_ci_u32_e64 v28, null, 0, v30, vcc_lo
	s_delay_alu instid0(VALU_DEP_2) | instskip(SKIP_1) | instid1(VALU_DEP_2)
	v_add_co_u32 v25, vcc_lo, v27, v40
	s_wait_alu 0xfffd
	v_add_co_ci_u32_e64 v26, null, 0, v28, vcc_lo
	s_delay_alu instid0(VALU_DEP_2) | instskip(SKIP_1) | instid1(VALU_DEP_2)
	v_add_co_u32 v23, vcc_lo, v25, v39
	s_wait_alu 0xfffd
	v_add_co_ci_u32_e64 v24, null, 0, v26, vcc_lo
	s_delay_alu instid0(VALU_DEP_2) | instskip(SKIP_1) | instid1(VALU_DEP_2)
	v_add_co_u32 v21, vcc_lo, v23, v37
	s_wait_alu 0xfffd
	v_add_co_ci_u32_e64 v22, null, 0, v24, vcc_lo
	s_delay_alu instid0(VALU_DEP_2) | instskip(SKIP_1) | instid1(VALU_DEP_2)
	v_add_co_u32 v6, vcc_lo, v21, v41
	s_wait_alu 0xfffd
	v_add_co_ci_u32_e64 v7, null, 0, v22, vcc_lo
	s_delay_alu instid0(VALU_DEP_2) | instskip(SKIP_1) | instid1(VALU_DEP_2)
	v_add_co_u32 v19, vcc_lo, v6, v38
	s_wait_alu 0xfffd
	v_add_co_ci_u32_e64 v20, null, 0, v7, vcc_lo
	s_branch .LBB44_118
.LBB44_91:
	s_wait_dscnt 0x0
	v_dual_mov_b32 v2, 0 :: v_dual_mov_b32 v3, v17
	v_mov_b32_dpp v4, v17 row_shr:1 row_mask:0xf bank_mask:0xf
	s_delay_alu instid0(VALU_DEP_2)
	v_mov_b32_dpp v1, v2 row_shr:1 row_mask:0xf bank_mask:0xf
	s_and_saveexec_b32 s1, s0
; %bb.92:
	s_delay_alu instid0(VALU_DEP_2) | instskip(SKIP_2) | instid1(VALU_DEP_2)
	v_add_co_u32 v3, vcc_lo, v17, v4
	s_wait_alu 0xfffd
	v_add_co_ci_u32_e64 v2, null, 0, v18, vcc_lo
	v_add_co_u32 v17, vcc_lo, 0, v3
	s_wait_alu 0xfffd
	s_delay_alu instid0(VALU_DEP_2) | instskip(NEXT) | instid1(VALU_DEP_1)
	v_add_co_ci_u32_e64 v18, null, v1, v2, vcc_lo
	v_mov_b32_e32 v2, v18
; %bb.93:
	s_wait_alu 0xfffe
	s_or_b32 exec_lo, exec_lo, s1
	v_mov_b32_dpp v1, v3 row_shr:2 row_mask:0xf bank_mask:0xf
	s_delay_alu instid0(VALU_DEP_2)
	v_mov_b32_dpp v4, v2 row_shr:2 row_mask:0xf bank_mask:0xf
	v_cmp_lt_u32_e32 vcc_lo, 1, v44
	s_and_saveexec_b32 s3, vcc_lo
; %bb.94:
	s_delay_alu instid0(VALU_DEP_3) | instskip(SKIP_2) | instid1(VALU_DEP_2)
	v_add_co_u32 v3, s1, v17, v1
	s_wait_alu 0xf1ff
	v_add_co_ci_u32_e64 v2, null, 0, v18, s1
	v_add_co_u32 v1, s1, 0, v3
	s_wait_alu 0xf1ff
	s_delay_alu instid0(VALU_DEP_2) | instskip(NEXT) | instid1(VALU_DEP_1)
	v_add_co_ci_u32_e64 v2, null, v4, v2, s1
	v_dual_mov_b32 v18, v2 :: v_dual_mov_b32 v17, v1
; %bb.95:
	s_or_b32 exec_lo, exec_lo, s3
	v_mov_b32_dpp v1, v3 row_shr:4 row_mask:0xf bank_mask:0xf
	v_mov_b32_dpp v4, v2 row_shr:4 row_mask:0xf bank_mask:0xf
	v_cmp_lt_u32_e64 s1, 3, v44
	s_and_saveexec_b32 s4, s1
; %bb.96:
	v_add_co_u32 v3, s3, v17, v1
	s_delay_alu instid0(VALU_DEP_1) | instskip(NEXT) | instid1(VALU_DEP_2)
	v_add_co_ci_u32_e64 v2, null, 0, v18, s3
	v_add_co_u32 v1, s3, 0, v3
	s_wait_alu 0xf1ff
	s_delay_alu instid0(VALU_DEP_2) | instskip(NEXT) | instid1(VALU_DEP_1)
	v_add_co_ci_u32_e64 v2, null, v4, v2, s3
	v_dual_mov_b32 v18, v2 :: v_dual_mov_b32 v17, v1
; %bb.97:
	s_wait_alu 0xfffe
	s_or_b32 exec_lo, exec_lo, s4
	v_mov_b32_dpp v4, v3 row_shr:8 row_mask:0xf bank_mask:0xf
	v_mov_b32_dpp v1, v2 row_shr:8 row_mask:0xf bank_mask:0xf
	v_cmp_lt_u32_e64 s3, 7, v44
	s_and_saveexec_b32 s7, s3
; %bb.98:
	v_add_co_u32 v3, s4, v17, v4
	s_wait_alu 0xf1ff
	v_add_co_ci_u32_e64 v2, null, 0, v18, s4
	s_delay_alu instid0(VALU_DEP_2) | instskip(SKIP_1) | instid1(VALU_DEP_2)
	v_add_co_u32 v17, s4, 0, v3
	s_wait_alu 0xf1ff
	v_add_co_ci_u32_e64 v18, null, v1, v2, s4
	s_delay_alu instid0(VALU_DEP_1)
	v_mov_b32_e32 v2, v18
; %bb.99:
	s_wait_alu 0xfffe
	s_or_b32 exec_lo, exec_lo, s7
	ds_swizzle_b32 v3, v3 offset:swizzle(BROADCAST,32,15)
	ds_swizzle_b32 v1, v2 offset:swizzle(BROADCAST,32,15)
	v_and_b32_e32 v2, 16, v43
	s_mov_b32 s7, exec_lo
	s_delay_alu instid0(VALU_DEP_1)
	v_cmpx_ne_u32_e32 0, v2
	s_cbranch_execz .LBB44_101
; %bb.100:
	s_wait_dscnt 0x1
	v_add_co_u32 v2, s4, v17, v3
	s_wait_alu 0xf1ff
	v_add_co_ci_u32_e64 v3, null, 0, v18, s4
	s_delay_alu instid0(VALU_DEP_2) | instskip(SKIP_2) | instid1(VALU_DEP_2)
	v_add_co_u32 v17, s4, v2, 0
	s_wait_dscnt 0x0
	s_wait_alu 0xf1ff
	v_add_co_ci_u32_e64 v18, null, v3, v1, s4
.LBB44_101:
	s_wait_alu 0xfffe
	s_or_b32 exec_lo, exec_lo, s7
	s_wait_dscnt 0x0
	v_and_b32_e32 v1, 0x1e0, v0
	v_lshrrev_b32_e32 v3, 5, v0
	s_mov_b32 s7, exec_lo
	s_delay_alu instid0(VALU_DEP_2) | instskip(NEXT) | instid1(VALU_DEP_1)
	v_min_u32_e32 v1, 0x160, v1
	v_or_b32_e32 v1, 31, v1
	s_delay_alu instid0(VALU_DEP_1)
	v_cmpx_eq_u32_e64 v0, v1
; %bb.102:
	v_lshlrev_b32_e32 v1, 3, v3
	ds_store_b64 v1, v[17:18]
; %bb.103:
	s_wait_alu 0xfffe
	s_or_b32 exec_lo, exec_lo, s7
	s_delay_alu instid0(SALU_CYCLE_1)
	s_mov_b32 s7, exec_lo
	s_wait_loadcnt_dscnt 0x0
	s_barrier_signal -1
	s_barrier_wait -1
	global_inv scope:SCOPE_SE
	v_cmpx_gt_u32_e32 12, v0
	s_cbranch_execz .LBB44_113
; %bb.104:
	v_mad_i32_i24 v1, 0xffffffec, v0, v32
	ds_load_b64 v[1:2], v1
	s_wait_dscnt 0x0
	v_mov_b32_dpp v6, v1 row_shr:1 row_mask:0xf bank_mask:0xf
	v_mov_b32_dpp v5, v2 row_shr:1 row_mask:0xf bank_mask:0xf
	v_mov_b32_e32 v4, v1
	s_and_saveexec_b32 s4, s0
; %bb.105:
	s_delay_alu instid0(VALU_DEP_3) | instskip(SKIP_2) | instid1(VALU_DEP_2)
	v_add_co_u32 v4, s0, v1, v6
	s_wait_alu 0xf1ff
	v_add_co_ci_u32_e64 v2, null, 0, v2, s0
	v_add_co_u32 v1, s0, 0, v4
	s_wait_alu 0xf1ff
	s_delay_alu instid0(VALU_DEP_2)
	v_add_co_ci_u32_e64 v2, null, v5, v2, s0
; %bb.106:
	s_wait_alu 0xfffe
	s_or_b32 exec_lo, exec_lo, s4
	v_mov_b32_dpp v6, v4 row_shr:2 row_mask:0xf bank_mask:0xf
	s_delay_alu instid0(VALU_DEP_2)
	v_mov_b32_dpp v5, v2 row_shr:2 row_mask:0xf bank_mask:0xf
	s_and_saveexec_b32 s0, vcc_lo
; %bb.107:
	s_delay_alu instid0(VALU_DEP_2) | instskip(SKIP_2) | instid1(VALU_DEP_2)
	v_add_co_u32 v4, vcc_lo, v1, v6
	s_wait_alu 0xfffd
	v_add_co_ci_u32_e64 v2, null, 0, v2, vcc_lo
	v_add_co_u32 v1, vcc_lo, 0, v4
	s_wait_alu 0xfffd
	s_delay_alu instid0(VALU_DEP_2)
	v_add_co_ci_u32_e64 v2, null, v5, v2, vcc_lo
; %bb.108:
	s_wait_alu 0xfffe
	s_or_b32 exec_lo, exec_lo, s0
	v_mov_b32_dpp v6, v4 row_shr:4 row_mask:0xf bank_mask:0xf
	s_delay_alu instid0(VALU_DEP_2)
	v_mov_b32_dpp v5, v2 row_shr:4 row_mask:0xf bank_mask:0xf
	s_and_saveexec_b32 s0, s1
; %bb.109:
	s_delay_alu instid0(VALU_DEP_2) | instskip(SKIP_2) | instid1(VALU_DEP_2)
	v_add_co_u32 v4, vcc_lo, v1, v6
	s_wait_alu 0xfffd
	v_add_co_ci_u32_e64 v2, null, 0, v2, vcc_lo
	v_add_co_u32 v1, vcc_lo, 0, v4
	s_wait_alu 0xfffd
	s_delay_alu instid0(VALU_DEP_2)
	v_add_co_ci_u32_e64 v2, null, v5, v2, vcc_lo
; %bb.110:
	s_wait_alu 0xfffe
	s_or_b32 exec_lo, exec_lo, s0
	v_mul_i32_i24_e32 v5, 0xffffffec, v0
	v_mov_b32_dpp v6, v4 row_shr:8 row_mask:0xf bank_mask:0xf
	v_mov_b32_dpp v4, v2 row_shr:8 row_mask:0xf bank_mask:0xf
	s_and_saveexec_b32 s0, s3
; %bb.111:
	s_delay_alu instid0(VALU_DEP_2) | instskip(SKIP_2) | instid1(VALU_DEP_2)
	v_add_co_u32 v1, vcc_lo, v1, v6
	s_wait_alu 0xfffd
	v_add_co_ci_u32_e64 v2, null, 0, v2, vcc_lo
	v_add_co_u32 v1, vcc_lo, v1, 0
	s_wait_alu 0xfffd
	s_delay_alu instid0(VALU_DEP_2)
	v_add_co_ci_u32_e64 v2, null, v2, v4, vcc_lo
; %bb.112:
	s_wait_alu 0xfffe
	s_or_b32 exec_lo, exec_lo, s0
	v_add_nc_u32_e32 v4, v32, v5
	ds_store_b64 v4, v[1:2]
.LBB44_113:
	s_wait_alu 0xfffe
	s_or_b32 exec_lo, exec_lo, s7
	v_mov_b32_e32 v6, 0
	v_mov_b32_e32 v7, 0
	s_mov_b32 s0, exec_lo
	s_wait_loadcnt_dscnt 0x0
	s_barrier_signal -1
	s_barrier_wait -1
	global_inv scope:SCOPE_SE
	v_cmpx_lt_u32_e32 31, v0
; %bb.114:
	v_lshl_add_u32 v1, v3, 3, -8
	ds_load_b64 v[6:7], v1
; %bb.115:
	s_wait_alu 0xfffe
	s_or_b32 exec_lo, exec_lo, s0
	v_sub_co_u32 v1, vcc_lo, v43, 1
	v_mov_b32_e32 v5, 0
	s_delay_alu instid0(VALU_DEP_2) | instskip(SKIP_1) | instid1(VALU_DEP_1)
	v_cmp_gt_i32_e64 s0, 0, v1
	s_wait_alu 0xf1ff
	v_cndmask_b32_e64 v1, v1, v43, s0
	s_delay_alu instid0(VALU_DEP_1)
	v_lshlrev_b32_e32 v2, 2, v1
	s_wait_dscnt 0x0
	v_add_co_u32 v1, s0, v6, v17
	s_wait_alu 0xf1ff
	v_add_co_ci_u32_e64 v3, null, v7, v18, s0
	ds_bpermute_b32 v1, v2, v1
	ds_bpermute_b32 v8, v2, v3
	ds_load_b64 v[2:3], v5 offset:88
	s_and_saveexec_b32 s0, s2
	s_cbranch_execz .LBB44_117
; %bb.116:
	s_add_nc_u64 s[10:11], s[14:15], 0x200
	v_mov_b32_e32 v4, 2
	v_dual_mov_b32 v18, s11 :: v_dual_mov_b32 v17, s10
	s_wait_dscnt 0x0
	;;#ASMSTART
	global_store_b128 v[17:18], v[2:5] off scope:SCOPE_DEV	
s_wait_storecnt 0x0
	;;#ASMEND
.LBB44_117:
	s_wait_alu 0xfffe
	s_or_b32 exec_lo, exec_lo, s0
	s_wait_dscnt 0x1
	s_wait_alu 0xfffd
	v_dual_cndmask_b32 v1, v1, v6 :: v_dual_cndmask_b32 v4, v8, v7
	s_wait_loadcnt_dscnt 0x0
	s_barrier_signal -1
	s_barrier_wait -1
	s_delay_alu instid0(VALU_DEP_1)
	v_cndmask_b32_e64 v29, v1, 0, s2
	v_cndmask_b32_e64 v30, v4, 0, s2
	v_mov_b32_e32 v4, 0
	v_mov_b32_e32 v5, 0
	global_inv scope:SCOPE_SE
	v_add_co_u32 v27, vcc_lo, v29, v42
	s_wait_alu 0xfffd
	v_add_co_ci_u32_e64 v28, null, 0, v30, vcc_lo
	s_delay_alu instid0(VALU_DEP_2) | instskip(SKIP_1) | instid1(VALU_DEP_2)
	v_add_co_u32 v25, vcc_lo, v27, v40
	s_wait_alu 0xfffd
	v_add_co_ci_u32_e64 v26, null, 0, v28, vcc_lo
	s_delay_alu instid0(VALU_DEP_2) | instskip(SKIP_1) | instid1(VALU_DEP_2)
	;; [unrolled: 4-line block ×5, first 2 shown]
	v_add_co_u32 v19, vcc_lo, v6, v38
	s_wait_alu 0xfffd
	v_add_co_ci_u32_e64 v20, null, 0, v7, vcc_lo
.LBB44_118:
	v_and_b32_e32 v38, 1, v31
	s_wait_dscnt 0x0
	v_cmp_gt_u64_e32 vcc_lo, 0x181, v[2:3]
	v_lshlrev_b64_e32 v[17:18], 2, v[9:10]
	v_lshrrev_b32_e32 v8, 8, v31
	v_lshrrev_b32_e32 v1, 16, v31
	v_cmp_eq_u32_e64 s0, 1, v38
	s_mov_b32 s1, -1
	s_cbranch_vccnz .LBB44_122
; %bb.119:
	s_wait_alu 0xfffe
	s_and_b32 vcc_lo, exec_lo, s1
	s_wait_alu 0xfffe
	s_cbranch_vccnz .LBB44_137
.LBB44_120:
	s_and_b32 s0, s2, s6
	s_wait_alu 0xfffe
	s_and_saveexec_b32 s1, s0
	s_cbranch_execnz .LBB44_154
.LBB44_121:
	s_endpgm
.LBB44_122:
	v_add_co_u32 v31, vcc_lo, v4, v2
	s_wait_alu 0xfffd
	v_add_co_ci_u32_e64 v32, null, v5, v3, vcc_lo
	v_add_co_u32 v39, s1, s12, v17
	s_wait_alu 0xf1fe
	v_add_co_ci_u32_e64 v40, null, s13, v18, s1
	s_delay_alu instid0(VALU_DEP_3)
	v_cmp_lt_u64_e32 vcc_lo, v[29:30], v[31:32]
	s_or_b32 s1, s5, vcc_lo
	s_wait_alu 0xfffe
	s_and_b32 s1, s1, s0
	s_wait_alu 0xfffe
	s_and_saveexec_b32 s0, s1
	s_cbranch_execz .LBB44_124
; %bb.123:
	v_lshlrev_b64_e32 v[41:42], 2, v[29:30]
	s_delay_alu instid0(VALU_DEP_1) | instskip(SKIP_1) | instid1(VALU_DEP_2)
	v_add_co_u32 v41, vcc_lo, v39, v41
	s_wait_alu 0xfffd
	v_add_co_ci_u32_e64 v42, null, v40, v42, vcc_lo
	global_store_b32 v[41:42], v15, off
.LBB44_124:
	s_wait_alu 0xfffe
	s_or_b32 exec_lo, exec_lo, s0
	v_and_b32_e32 v30, 1, v8
	v_cmp_lt_u64_e32 vcc_lo, v[27:28], v[31:32]
	s_delay_alu instid0(VALU_DEP_2)
	v_cmp_eq_u32_e64 s0, 1, v30
	s_or_b32 s1, s5, vcc_lo
	s_wait_alu 0xfffe
	s_and_b32 s1, s1, s0
	s_wait_alu 0xfffe
	s_and_saveexec_b32 s0, s1
	s_cbranch_execz .LBB44_126
; %bb.125:
	v_lshlrev_b64_e32 v[41:42], 2, v[27:28]
	s_delay_alu instid0(VALU_DEP_1) | instskip(SKIP_1) | instid1(VALU_DEP_2)
	v_add_co_u32 v41, vcc_lo, v39, v41
	s_wait_alu 0xfffd
	v_add_co_ci_u32_e64 v42, null, v40, v42, vcc_lo
	global_store_b32 v[41:42], v16, off
.LBB44_126:
	s_wait_alu 0xfffe
	s_or_b32 exec_lo, exec_lo, s0
	v_and_b32_e32 v28, 1, v1
	v_cmp_lt_u64_e32 vcc_lo, v[25:26], v[31:32]
	s_delay_alu instid0(VALU_DEP_2)
	v_cmp_eq_u32_e64 s0, 1, v28
	;; [unrolled: 20-line block ×6, first 2 shown]
	s_or_b32 s1, s5, vcc_lo
	s_wait_alu 0xfffe
	s_and_b32 s1, s1, s0
	s_wait_alu 0xfffe
	s_and_saveexec_b32 s0, s1
	s_cbranch_execz .LBB44_136
; %bb.135:
	v_lshlrev_b64_e32 v[30:31], 2, v[19:20]
	s_delay_alu instid0(VALU_DEP_1) | instskip(SKIP_1) | instid1(VALU_DEP_2)
	v_add_co_u32 v30, vcc_lo, v39, v30
	s_wait_alu 0xfffd
	v_add_co_ci_u32_e64 v31, null, v40, v31, vcc_lo
	global_store_b32 v[30:31], v33, off
.LBB44_136:
	s_wait_alu 0xfffe
	s_or_b32 exec_lo, exec_lo, s0
	s_branch .LBB44_120
.LBB44_137:
	s_mov_b32 s0, exec_lo
	v_cmpx_eq_u32_e32 1, v38
; %bb.138:
	v_sub_nc_u32_e32 v7, v29, v4
	s_delay_alu instid0(VALU_DEP_1)
	v_lshlrev_b32_e32 v7, 2, v7
	ds_store_b32 v7, v15
; %bb.139:
	s_wait_alu 0xfffe
	s_or_b32 exec_lo, exec_lo, s0
	v_and_b32_e32 v7, 1, v8
	s_mov_b32 s0, exec_lo
	s_delay_alu instid0(VALU_DEP_1)
	v_cmpx_eq_u32_e32 1, v7
; %bb.140:
	v_sub_nc_u32_e32 v7, v27, v4
	s_delay_alu instid0(VALU_DEP_1)
	v_lshlrev_b32_e32 v7, 2, v7
	ds_store_b32 v7, v16
; %bb.141:
	s_wait_alu 0xfffe
	s_or_b32 exec_lo, exec_lo, s0
	v_and_b32_e32 v1, 1, v1
	s_mov_b32 s0, exec_lo
	s_delay_alu instid0(VALU_DEP_1)
	;; [unrolled: 12-line block ×6, first 2 shown]
	v_cmpx_eq_u32_e32 1, v1
; %bb.150:
	v_sub_nc_u32_e32 v1, v19, v4
	s_delay_alu instid0(VALU_DEP_1)
	v_lshlrev_b32_e32 v1, 2, v1
	ds_store_b32 v1, v33
; %bb.151:
	s_wait_alu 0xfffe
	s_or_b32 exec_lo, exec_lo, s0
	v_lshlrev_b64_e32 v[6:7], 2, v[4:5]
	v_mov_b32_e32 v1, 0
	s_mov_b32 s1, 0
	s_wait_storecnt 0x0
	s_wait_loadcnt_dscnt 0x0
	s_barrier_signal -1
	s_barrier_wait -1
	v_add_co_u32 v8, vcc_lo, s12, v6
	s_wait_alu 0xfffd
	v_add_co_ci_u32_e64 v11, null, s13, v7, vcc_lo
	v_dual_mov_b32 v7, v1 :: v_dual_mov_b32 v6, v0
	s_delay_alu instid0(VALU_DEP_3) | instskip(SKIP_1) | instid1(VALU_DEP_3)
	v_add_co_u32 v8, vcc_lo, v8, v17
	s_wait_alu 0xfffd
	v_add_co_ci_u32_e64 v11, null, v11, v18, vcc_lo
	v_add_nc_u32_e32 v0, 0x180, v0
	global_inv scope:SCOPE_SE
.LBB44_152:                             ; =>This Inner Loop Header: Depth=1
	v_lshlrev_b32_e32 v12, 2, v6
	v_cmp_le_u64_e32 vcc_lo, v[2:3], v[0:1]
	ds_load_b32 v14, v12
	v_lshlrev_b64_e32 v[12:13], 2, v[6:7]
	v_dual_mov_b32 v7, v1 :: v_dual_mov_b32 v6, v0
	v_add_nc_u32_e32 v0, 0x180, v0
	s_wait_alu 0xfffe
	s_or_b32 s1, vcc_lo, s1
	s_delay_alu instid0(VALU_DEP_3)
	v_add_co_u32 v12, s0, v8, v12
	s_wait_alu 0xf1ff
	v_add_co_ci_u32_e64 v13, null, v11, v13, s0
	s_wait_dscnt 0x0
	global_store_b32 v[12:13], v14, off
	s_wait_alu 0xfffe
	s_and_not1_b32 exec_lo, exec_lo, s1
	s_cbranch_execnz .LBB44_152
; %bb.153:
	s_or_b32 exec_lo, exec_lo, s1
	s_and_b32 s0, s2, s6
	s_wait_alu 0xfffe
	s_and_saveexec_b32 s1, s0
	s_cbranch_execz .LBB44_121
.LBB44_154:
	v_add_co_u32 v0, vcc_lo, v4, v2
	s_wait_alu 0xfffd
	v_add_co_ci_u32_e64 v1, null, v5, v3, vcc_lo
	v_mov_b32_e32 v2, 0
	s_delay_alu instid0(VALU_DEP_3) | instskip(SKIP_1) | instid1(VALU_DEP_3)
	v_add_co_u32 v0, vcc_lo, v0, v9
	s_wait_alu 0xfffd
	v_add_co_ci_u32_e64 v1, null, v1, v10, vcc_lo
	global_store_b64 v2, v[0:1], s[8:9]
	s_endpgm
	.section	.rodata,"a",@progbits
	.p2align	6, 0x0
	.amdhsa_kernel _ZN7rocprim17ROCPRIM_400000_NS6detail17trampoline_kernelINS0_14default_configENS1_25partition_config_selectorILNS1_17partition_subalgoE6EiNS0_10empty_typeEbEEZZNS1_14partition_implILS5_6ELb0ES3_mN6thrust23THRUST_200600_302600_NS6detail15normal_iteratorINSA_10device_ptrIiEEEEPS6_SG_NS0_5tupleIJSF_S6_EEENSH_IJSG_SG_EEES6_PlJ6is_oddIiEEEE10hipError_tPvRmT3_T4_T5_T6_T7_T9_mT8_P12ihipStream_tbDpT10_ENKUlT_T0_E_clISt17integral_constantIbLb0EES15_IbLb1EEEEDaS11_S12_EUlS11_E_NS1_11comp_targetILNS1_3genE10ELNS1_11target_archE1200ELNS1_3gpuE4ELNS1_3repE0EEENS1_30default_config_static_selectorELNS0_4arch9wavefront6targetE0EEEvT1_
		.amdhsa_group_segment_fixed_size 10768
		.amdhsa_private_segment_fixed_size 0
		.amdhsa_kernarg_size 128
		.amdhsa_user_sgpr_count 2
		.amdhsa_user_sgpr_dispatch_ptr 0
		.amdhsa_user_sgpr_queue_ptr 0
		.amdhsa_user_sgpr_kernarg_segment_ptr 1
		.amdhsa_user_sgpr_dispatch_id 0
		.amdhsa_user_sgpr_private_segment_size 0
		.amdhsa_wavefront_size32 1
		.amdhsa_uses_dynamic_stack 0
		.amdhsa_enable_private_segment 0
		.amdhsa_system_sgpr_workgroup_id_x 1
		.amdhsa_system_sgpr_workgroup_id_y 0
		.amdhsa_system_sgpr_workgroup_id_z 0
		.amdhsa_system_sgpr_workgroup_info 0
		.amdhsa_system_vgpr_workitem_id 0
		.amdhsa_next_free_vgpr 52
		.amdhsa_next_free_sgpr 20
		.amdhsa_reserve_vcc 1
		.amdhsa_float_round_mode_32 0
		.amdhsa_float_round_mode_16_64 0
		.amdhsa_float_denorm_mode_32 3
		.amdhsa_float_denorm_mode_16_64 3
		.amdhsa_fp16_overflow 0
		.amdhsa_workgroup_processor_mode 1
		.amdhsa_memory_ordered 1
		.amdhsa_forward_progress 1
		.amdhsa_inst_pref_size 60
		.amdhsa_round_robin_scheduling 0
		.amdhsa_exception_fp_ieee_invalid_op 0
		.amdhsa_exception_fp_denorm_src 0
		.amdhsa_exception_fp_ieee_div_zero 0
		.amdhsa_exception_fp_ieee_overflow 0
		.amdhsa_exception_fp_ieee_underflow 0
		.amdhsa_exception_fp_ieee_inexact 0
		.amdhsa_exception_int_div_zero 0
	.end_amdhsa_kernel
	.section	.text._ZN7rocprim17ROCPRIM_400000_NS6detail17trampoline_kernelINS0_14default_configENS1_25partition_config_selectorILNS1_17partition_subalgoE6EiNS0_10empty_typeEbEEZZNS1_14partition_implILS5_6ELb0ES3_mN6thrust23THRUST_200600_302600_NS6detail15normal_iteratorINSA_10device_ptrIiEEEEPS6_SG_NS0_5tupleIJSF_S6_EEENSH_IJSG_SG_EEES6_PlJ6is_oddIiEEEE10hipError_tPvRmT3_T4_T5_T6_T7_T9_mT8_P12ihipStream_tbDpT10_ENKUlT_T0_E_clISt17integral_constantIbLb0EES15_IbLb1EEEEDaS11_S12_EUlS11_E_NS1_11comp_targetILNS1_3genE10ELNS1_11target_archE1200ELNS1_3gpuE4ELNS1_3repE0EEENS1_30default_config_static_selectorELNS0_4arch9wavefront6targetE0EEEvT1_,"axG",@progbits,_ZN7rocprim17ROCPRIM_400000_NS6detail17trampoline_kernelINS0_14default_configENS1_25partition_config_selectorILNS1_17partition_subalgoE6EiNS0_10empty_typeEbEEZZNS1_14partition_implILS5_6ELb0ES3_mN6thrust23THRUST_200600_302600_NS6detail15normal_iteratorINSA_10device_ptrIiEEEEPS6_SG_NS0_5tupleIJSF_S6_EEENSH_IJSG_SG_EEES6_PlJ6is_oddIiEEEE10hipError_tPvRmT3_T4_T5_T6_T7_T9_mT8_P12ihipStream_tbDpT10_ENKUlT_T0_E_clISt17integral_constantIbLb0EES15_IbLb1EEEEDaS11_S12_EUlS11_E_NS1_11comp_targetILNS1_3genE10ELNS1_11target_archE1200ELNS1_3gpuE4ELNS1_3repE0EEENS1_30default_config_static_selectorELNS0_4arch9wavefront6targetE0EEEvT1_,comdat
.Lfunc_end44:
	.size	_ZN7rocprim17ROCPRIM_400000_NS6detail17trampoline_kernelINS0_14default_configENS1_25partition_config_selectorILNS1_17partition_subalgoE6EiNS0_10empty_typeEbEEZZNS1_14partition_implILS5_6ELb0ES3_mN6thrust23THRUST_200600_302600_NS6detail15normal_iteratorINSA_10device_ptrIiEEEEPS6_SG_NS0_5tupleIJSF_S6_EEENSH_IJSG_SG_EEES6_PlJ6is_oddIiEEEE10hipError_tPvRmT3_T4_T5_T6_T7_T9_mT8_P12ihipStream_tbDpT10_ENKUlT_T0_E_clISt17integral_constantIbLb0EES15_IbLb1EEEEDaS11_S12_EUlS11_E_NS1_11comp_targetILNS1_3genE10ELNS1_11target_archE1200ELNS1_3gpuE4ELNS1_3repE0EEENS1_30default_config_static_selectorELNS0_4arch9wavefront6targetE0EEEvT1_, .Lfunc_end44-_ZN7rocprim17ROCPRIM_400000_NS6detail17trampoline_kernelINS0_14default_configENS1_25partition_config_selectorILNS1_17partition_subalgoE6EiNS0_10empty_typeEbEEZZNS1_14partition_implILS5_6ELb0ES3_mN6thrust23THRUST_200600_302600_NS6detail15normal_iteratorINSA_10device_ptrIiEEEEPS6_SG_NS0_5tupleIJSF_S6_EEENSH_IJSG_SG_EEES6_PlJ6is_oddIiEEEE10hipError_tPvRmT3_T4_T5_T6_T7_T9_mT8_P12ihipStream_tbDpT10_ENKUlT_T0_E_clISt17integral_constantIbLb0EES15_IbLb1EEEEDaS11_S12_EUlS11_E_NS1_11comp_targetILNS1_3genE10ELNS1_11target_archE1200ELNS1_3gpuE4ELNS1_3repE0EEENS1_30default_config_static_selectorELNS0_4arch9wavefront6targetE0EEEvT1_
                                        ; -- End function
	.set _ZN7rocprim17ROCPRIM_400000_NS6detail17trampoline_kernelINS0_14default_configENS1_25partition_config_selectorILNS1_17partition_subalgoE6EiNS0_10empty_typeEbEEZZNS1_14partition_implILS5_6ELb0ES3_mN6thrust23THRUST_200600_302600_NS6detail15normal_iteratorINSA_10device_ptrIiEEEEPS6_SG_NS0_5tupleIJSF_S6_EEENSH_IJSG_SG_EEES6_PlJ6is_oddIiEEEE10hipError_tPvRmT3_T4_T5_T6_T7_T9_mT8_P12ihipStream_tbDpT10_ENKUlT_T0_E_clISt17integral_constantIbLb0EES15_IbLb1EEEEDaS11_S12_EUlS11_E_NS1_11comp_targetILNS1_3genE10ELNS1_11target_archE1200ELNS1_3gpuE4ELNS1_3repE0EEENS1_30default_config_static_selectorELNS0_4arch9wavefront6targetE0EEEvT1_.num_vgpr, 52
	.set _ZN7rocprim17ROCPRIM_400000_NS6detail17trampoline_kernelINS0_14default_configENS1_25partition_config_selectorILNS1_17partition_subalgoE6EiNS0_10empty_typeEbEEZZNS1_14partition_implILS5_6ELb0ES3_mN6thrust23THRUST_200600_302600_NS6detail15normal_iteratorINSA_10device_ptrIiEEEEPS6_SG_NS0_5tupleIJSF_S6_EEENSH_IJSG_SG_EEES6_PlJ6is_oddIiEEEE10hipError_tPvRmT3_T4_T5_T6_T7_T9_mT8_P12ihipStream_tbDpT10_ENKUlT_T0_E_clISt17integral_constantIbLb0EES15_IbLb1EEEEDaS11_S12_EUlS11_E_NS1_11comp_targetILNS1_3genE10ELNS1_11target_archE1200ELNS1_3gpuE4ELNS1_3repE0EEENS1_30default_config_static_selectorELNS0_4arch9wavefront6targetE0EEEvT1_.num_agpr, 0
	.set _ZN7rocprim17ROCPRIM_400000_NS6detail17trampoline_kernelINS0_14default_configENS1_25partition_config_selectorILNS1_17partition_subalgoE6EiNS0_10empty_typeEbEEZZNS1_14partition_implILS5_6ELb0ES3_mN6thrust23THRUST_200600_302600_NS6detail15normal_iteratorINSA_10device_ptrIiEEEEPS6_SG_NS0_5tupleIJSF_S6_EEENSH_IJSG_SG_EEES6_PlJ6is_oddIiEEEE10hipError_tPvRmT3_T4_T5_T6_T7_T9_mT8_P12ihipStream_tbDpT10_ENKUlT_T0_E_clISt17integral_constantIbLb0EES15_IbLb1EEEEDaS11_S12_EUlS11_E_NS1_11comp_targetILNS1_3genE10ELNS1_11target_archE1200ELNS1_3gpuE4ELNS1_3repE0EEENS1_30default_config_static_selectorELNS0_4arch9wavefront6targetE0EEEvT1_.numbered_sgpr, 20
	.set _ZN7rocprim17ROCPRIM_400000_NS6detail17trampoline_kernelINS0_14default_configENS1_25partition_config_selectorILNS1_17partition_subalgoE6EiNS0_10empty_typeEbEEZZNS1_14partition_implILS5_6ELb0ES3_mN6thrust23THRUST_200600_302600_NS6detail15normal_iteratorINSA_10device_ptrIiEEEEPS6_SG_NS0_5tupleIJSF_S6_EEENSH_IJSG_SG_EEES6_PlJ6is_oddIiEEEE10hipError_tPvRmT3_T4_T5_T6_T7_T9_mT8_P12ihipStream_tbDpT10_ENKUlT_T0_E_clISt17integral_constantIbLb0EES15_IbLb1EEEEDaS11_S12_EUlS11_E_NS1_11comp_targetILNS1_3genE10ELNS1_11target_archE1200ELNS1_3gpuE4ELNS1_3repE0EEENS1_30default_config_static_selectorELNS0_4arch9wavefront6targetE0EEEvT1_.num_named_barrier, 0
	.set _ZN7rocprim17ROCPRIM_400000_NS6detail17trampoline_kernelINS0_14default_configENS1_25partition_config_selectorILNS1_17partition_subalgoE6EiNS0_10empty_typeEbEEZZNS1_14partition_implILS5_6ELb0ES3_mN6thrust23THRUST_200600_302600_NS6detail15normal_iteratorINSA_10device_ptrIiEEEEPS6_SG_NS0_5tupleIJSF_S6_EEENSH_IJSG_SG_EEES6_PlJ6is_oddIiEEEE10hipError_tPvRmT3_T4_T5_T6_T7_T9_mT8_P12ihipStream_tbDpT10_ENKUlT_T0_E_clISt17integral_constantIbLb0EES15_IbLb1EEEEDaS11_S12_EUlS11_E_NS1_11comp_targetILNS1_3genE10ELNS1_11target_archE1200ELNS1_3gpuE4ELNS1_3repE0EEENS1_30default_config_static_selectorELNS0_4arch9wavefront6targetE0EEEvT1_.private_seg_size, 0
	.set _ZN7rocprim17ROCPRIM_400000_NS6detail17trampoline_kernelINS0_14default_configENS1_25partition_config_selectorILNS1_17partition_subalgoE6EiNS0_10empty_typeEbEEZZNS1_14partition_implILS5_6ELb0ES3_mN6thrust23THRUST_200600_302600_NS6detail15normal_iteratorINSA_10device_ptrIiEEEEPS6_SG_NS0_5tupleIJSF_S6_EEENSH_IJSG_SG_EEES6_PlJ6is_oddIiEEEE10hipError_tPvRmT3_T4_T5_T6_T7_T9_mT8_P12ihipStream_tbDpT10_ENKUlT_T0_E_clISt17integral_constantIbLb0EES15_IbLb1EEEEDaS11_S12_EUlS11_E_NS1_11comp_targetILNS1_3genE10ELNS1_11target_archE1200ELNS1_3gpuE4ELNS1_3repE0EEENS1_30default_config_static_selectorELNS0_4arch9wavefront6targetE0EEEvT1_.uses_vcc, 1
	.set _ZN7rocprim17ROCPRIM_400000_NS6detail17trampoline_kernelINS0_14default_configENS1_25partition_config_selectorILNS1_17partition_subalgoE6EiNS0_10empty_typeEbEEZZNS1_14partition_implILS5_6ELb0ES3_mN6thrust23THRUST_200600_302600_NS6detail15normal_iteratorINSA_10device_ptrIiEEEEPS6_SG_NS0_5tupleIJSF_S6_EEENSH_IJSG_SG_EEES6_PlJ6is_oddIiEEEE10hipError_tPvRmT3_T4_T5_T6_T7_T9_mT8_P12ihipStream_tbDpT10_ENKUlT_T0_E_clISt17integral_constantIbLb0EES15_IbLb1EEEEDaS11_S12_EUlS11_E_NS1_11comp_targetILNS1_3genE10ELNS1_11target_archE1200ELNS1_3gpuE4ELNS1_3repE0EEENS1_30default_config_static_selectorELNS0_4arch9wavefront6targetE0EEEvT1_.uses_flat_scratch, 1
	.set _ZN7rocprim17ROCPRIM_400000_NS6detail17trampoline_kernelINS0_14default_configENS1_25partition_config_selectorILNS1_17partition_subalgoE6EiNS0_10empty_typeEbEEZZNS1_14partition_implILS5_6ELb0ES3_mN6thrust23THRUST_200600_302600_NS6detail15normal_iteratorINSA_10device_ptrIiEEEEPS6_SG_NS0_5tupleIJSF_S6_EEENSH_IJSG_SG_EEES6_PlJ6is_oddIiEEEE10hipError_tPvRmT3_T4_T5_T6_T7_T9_mT8_P12ihipStream_tbDpT10_ENKUlT_T0_E_clISt17integral_constantIbLb0EES15_IbLb1EEEEDaS11_S12_EUlS11_E_NS1_11comp_targetILNS1_3genE10ELNS1_11target_archE1200ELNS1_3gpuE4ELNS1_3repE0EEENS1_30default_config_static_selectorELNS0_4arch9wavefront6targetE0EEEvT1_.has_dyn_sized_stack, 0
	.set _ZN7rocprim17ROCPRIM_400000_NS6detail17trampoline_kernelINS0_14default_configENS1_25partition_config_selectorILNS1_17partition_subalgoE6EiNS0_10empty_typeEbEEZZNS1_14partition_implILS5_6ELb0ES3_mN6thrust23THRUST_200600_302600_NS6detail15normal_iteratorINSA_10device_ptrIiEEEEPS6_SG_NS0_5tupleIJSF_S6_EEENSH_IJSG_SG_EEES6_PlJ6is_oddIiEEEE10hipError_tPvRmT3_T4_T5_T6_T7_T9_mT8_P12ihipStream_tbDpT10_ENKUlT_T0_E_clISt17integral_constantIbLb0EES15_IbLb1EEEEDaS11_S12_EUlS11_E_NS1_11comp_targetILNS1_3genE10ELNS1_11target_archE1200ELNS1_3gpuE4ELNS1_3repE0EEENS1_30default_config_static_selectorELNS0_4arch9wavefront6targetE0EEEvT1_.has_recursion, 0
	.set _ZN7rocprim17ROCPRIM_400000_NS6detail17trampoline_kernelINS0_14default_configENS1_25partition_config_selectorILNS1_17partition_subalgoE6EiNS0_10empty_typeEbEEZZNS1_14partition_implILS5_6ELb0ES3_mN6thrust23THRUST_200600_302600_NS6detail15normal_iteratorINSA_10device_ptrIiEEEEPS6_SG_NS0_5tupleIJSF_S6_EEENSH_IJSG_SG_EEES6_PlJ6is_oddIiEEEE10hipError_tPvRmT3_T4_T5_T6_T7_T9_mT8_P12ihipStream_tbDpT10_ENKUlT_T0_E_clISt17integral_constantIbLb0EES15_IbLb1EEEEDaS11_S12_EUlS11_E_NS1_11comp_targetILNS1_3genE10ELNS1_11target_archE1200ELNS1_3gpuE4ELNS1_3repE0EEENS1_30default_config_static_selectorELNS0_4arch9wavefront6targetE0EEEvT1_.has_indirect_call, 0
	.section	.AMDGPU.csdata,"",@progbits
; Kernel info:
; codeLenInByte = 7596
; TotalNumSgprs: 22
; NumVgprs: 52
; ScratchSize: 0
; MemoryBound: 0
; FloatMode: 240
; IeeeMode: 1
; LDSByteSize: 10768 bytes/workgroup (compile time only)
; SGPRBlocks: 0
; VGPRBlocks: 6
; NumSGPRsForWavesPerEU: 22
; NumVGPRsForWavesPerEU: 52
; Occupancy: 15
; WaveLimiterHint : 1
; COMPUTE_PGM_RSRC2:SCRATCH_EN: 0
; COMPUTE_PGM_RSRC2:USER_SGPR: 2
; COMPUTE_PGM_RSRC2:TRAP_HANDLER: 0
; COMPUTE_PGM_RSRC2:TGID_X_EN: 1
; COMPUTE_PGM_RSRC2:TGID_Y_EN: 0
; COMPUTE_PGM_RSRC2:TGID_Z_EN: 0
; COMPUTE_PGM_RSRC2:TIDIG_COMP_CNT: 0
	.section	.text._ZN7rocprim17ROCPRIM_400000_NS6detail17trampoline_kernelINS0_14default_configENS1_25partition_config_selectorILNS1_17partition_subalgoE6EiNS0_10empty_typeEbEEZZNS1_14partition_implILS5_6ELb0ES3_mN6thrust23THRUST_200600_302600_NS6detail15normal_iteratorINSA_10device_ptrIiEEEEPS6_SG_NS0_5tupleIJSF_S6_EEENSH_IJSG_SG_EEES6_PlJ6is_oddIiEEEE10hipError_tPvRmT3_T4_T5_T6_T7_T9_mT8_P12ihipStream_tbDpT10_ENKUlT_T0_E_clISt17integral_constantIbLb0EES15_IbLb1EEEEDaS11_S12_EUlS11_E_NS1_11comp_targetILNS1_3genE9ELNS1_11target_archE1100ELNS1_3gpuE3ELNS1_3repE0EEENS1_30default_config_static_selectorELNS0_4arch9wavefront6targetE0EEEvT1_,"axG",@progbits,_ZN7rocprim17ROCPRIM_400000_NS6detail17trampoline_kernelINS0_14default_configENS1_25partition_config_selectorILNS1_17partition_subalgoE6EiNS0_10empty_typeEbEEZZNS1_14partition_implILS5_6ELb0ES3_mN6thrust23THRUST_200600_302600_NS6detail15normal_iteratorINSA_10device_ptrIiEEEEPS6_SG_NS0_5tupleIJSF_S6_EEENSH_IJSG_SG_EEES6_PlJ6is_oddIiEEEE10hipError_tPvRmT3_T4_T5_T6_T7_T9_mT8_P12ihipStream_tbDpT10_ENKUlT_T0_E_clISt17integral_constantIbLb0EES15_IbLb1EEEEDaS11_S12_EUlS11_E_NS1_11comp_targetILNS1_3genE9ELNS1_11target_archE1100ELNS1_3gpuE3ELNS1_3repE0EEENS1_30default_config_static_selectorELNS0_4arch9wavefront6targetE0EEEvT1_,comdat
	.protected	_ZN7rocprim17ROCPRIM_400000_NS6detail17trampoline_kernelINS0_14default_configENS1_25partition_config_selectorILNS1_17partition_subalgoE6EiNS0_10empty_typeEbEEZZNS1_14partition_implILS5_6ELb0ES3_mN6thrust23THRUST_200600_302600_NS6detail15normal_iteratorINSA_10device_ptrIiEEEEPS6_SG_NS0_5tupleIJSF_S6_EEENSH_IJSG_SG_EEES6_PlJ6is_oddIiEEEE10hipError_tPvRmT3_T4_T5_T6_T7_T9_mT8_P12ihipStream_tbDpT10_ENKUlT_T0_E_clISt17integral_constantIbLb0EES15_IbLb1EEEEDaS11_S12_EUlS11_E_NS1_11comp_targetILNS1_3genE9ELNS1_11target_archE1100ELNS1_3gpuE3ELNS1_3repE0EEENS1_30default_config_static_selectorELNS0_4arch9wavefront6targetE0EEEvT1_ ; -- Begin function _ZN7rocprim17ROCPRIM_400000_NS6detail17trampoline_kernelINS0_14default_configENS1_25partition_config_selectorILNS1_17partition_subalgoE6EiNS0_10empty_typeEbEEZZNS1_14partition_implILS5_6ELb0ES3_mN6thrust23THRUST_200600_302600_NS6detail15normal_iteratorINSA_10device_ptrIiEEEEPS6_SG_NS0_5tupleIJSF_S6_EEENSH_IJSG_SG_EEES6_PlJ6is_oddIiEEEE10hipError_tPvRmT3_T4_T5_T6_T7_T9_mT8_P12ihipStream_tbDpT10_ENKUlT_T0_E_clISt17integral_constantIbLb0EES15_IbLb1EEEEDaS11_S12_EUlS11_E_NS1_11comp_targetILNS1_3genE9ELNS1_11target_archE1100ELNS1_3gpuE3ELNS1_3repE0EEENS1_30default_config_static_selectorELNS0_4arch9wavefront6targetE0EEEvT1_
	.globl	_ZN7rocprim17ROCPRIM_400000_NS6detail17trampoline_kernelINS0_14default_configENS1_25partition_config_selectorILNS1_17partition_subalgoE6EiNS0_10empty_typeEbEEZZNS1_14partition_implILS5_6ELb0ES3_mN6thrust23THRUST_200600_302600_NS6detail15normal_iteratorINSA_10device_ptrIiEEEEPS6_SG_NS0_5tupleIJSF_S6_EEENSH_IJSG_SG_EEES6_PlJ6is_oddIiEEEE10hipError_tPvRmT3_T4_T5_T6_T7_T9_mT8_P12ihipStream_tbDpT10_ENKUlT_T0_E_clISt17integral_constantIbLb0EES15_IbLb1EEEEDaS11_S12_EUlS11_E_NS1_11comp_targetILNS1_3genE9ELNS1_11target_archE1100ELNS1_3gpuE3ELNS1_3repE0EEENS1_30default_config_static_selectorELNS0_4arch9wavefront6targetE0EEEvT1_
	.p2align	8
	.type	_ZN7rocprim17ROCPRIM_400000_NS6detail17trampoline_kernelINS0_14default_configENS1_25partition_config_selectorILNS1_17partition_subalgoE6EiNS0_10empty_typeEbEEZZNS1_14partition_implILS5_6ELb0ES3_mN6thrust23THRUST_200600_302600_NS6detail15normal_iteratorINSA_10device_ptrIiEEEEPS6_SG_NS0_5tupleIJSF_S6_EEENSH_IJSG_SG_EEES6_PlJ6is_oddIiEEEE10hipError_tPvRmT3_T4_T5_T6_T7_T9_mT8_P12ihipStream_tbDpT10_ENKUlT_T0_E_clISt17integral_constantIbLb0EES15_IbLb1EEEEDaS11_S12_EUlS11_E_NS1_11comp_targetILNS1_3genE9ELNS1_11target_archE1100ELNS1_3gpuE3ELNS1_3repE0EEENS1_30default_config_static_selectorELNS0_4arch9wavefront6targetE0EEEvT1_,@function
_ZN7rocprim17ROCPRIM_400000_NS6detail17trampoline_kernelINS0_14default_configENS1_25partition_config_selectorILNS1_17partition_subalgoE6EiNS0_10empty_typeEbEEZZNS1_14partition_implILS5_6ELb0ES3_mN6thrust23THRUST_200600_302600_NS6detail15normal_iteratorINSA_10device_ptrIiEEEEPS6_SG_NS0_5tupleIJSF_S6_EEENSH_IJSG_SG_EEES6_PlJ6is_oddIiEEEE10hipError_tPvRmT3_T4_T5_T6_T7_T9_mT8_P12ihipStream_tbDpT10_ENKUlT_T0_E_clISt17integral_constantIbLb0EES15_IbLb1EEEEDaS11_S12_EUlS11_E_NS1_11comp_targetILNS1_3genE9ELNS1_11target_archE1100ELNS1_3gpuE3ELNS1_3repE0EEENS1_30default_config_static_selectorELNS0_4arch9wavefront6targetE0EEEvT1_: ; @_ZN7rocprim17ROCPRIM_400000_NS6detail17trampoline_kernelINS0_14default_configENS1_25partition_config_selectorILNS1_17partition_subalgoE6EiNS0_10empty_typeEbEEZZNS1_14partition_implILS5_6ELb0ES3_mN6thrust23THRUST_200600_302600_NS6detail15normal_iteratorINSA_10device_ptrIiEEEEPS6_SG_NS0_5tupleIJSF_S6_EEENSH_IJSG_SG_EEES6_PlJ6is_oddIiEEEE10hipError_tPvRmT3_T4_T5_T6_T7_T9_mT8_P12ihipStream_tbDpT10_ENKUlT_T0_E_clISt17integral_constantIbLb0EES15_IbLb1EEEEDaS11_S12_EUlS11_E_NS1_11comp_targetILNS1_3genE9ELNS1_11target_archE1100ELNS1_3gpuE3ELNS1_3repE0EEENS1_30default_config_static_selectorELNS0_4arch9wavefront6targetE0EEEvT1_
; %bb.0:
	.section	.rodata,"a",@progbits
	.p2align	6, 0x0
	.amdhsa_kernel _ZN7rocprim17ROCPRIM_400000_NS6detail17trampoline_kernelINS0_14default_configENS1_25partition_config_selectorILNS1_17partition_subalgoE6EiNS0_10empty_typeEbEEZZNS1_14partition_implILS5_6ELb0ES3_mN6thrust23THRUST_200600_302600_NS6detail15normal_iteratorINSA_10device_ptrIiEEEEPS6_SG_NS0_5tupleIJSF_S6_EEENSH_IJSG_SG_EEES6_PlJ6is_oddIiEEEE10hipError_tPvRmT3_T4_T5_T6_T7_T9_mT8_P12ihipStream_tbDpT10_ENKUlT_T0_E_clISt17integral_constantIbLb0EES15_IbLb1EEEEDaS11_S12_EUlS11_E_NS1_11comp_targetILNS1_3genE9ELNS1_11target_archE1100ELNS1_3gpuE3ELNS1_3repE0EEENS1_30default_config_static_selectorELNS0_4arch9wavefront6targetE0EEEvT1_
		.amdhsa_group_segment_fixed_size 0
		.amdhsa_private_segment_fixed_size 0
		.amdhsa_kernarg_size 128
		.amdhsa_user_sgpr_count 2
		.amdhsa_user_sgpr_dispatch_ptr 0
		.amdhsa_user_sgpr_queue_ptr 0
		.amdhsa_user_sgpr_kernarg_segment_ptr 1
		.amdhsa_user_sgpr_dispatch_id 0
		.amdhsa_user_sgpr_private_segment_size 0
		.amdhsa_wavefront_size32 1
		.amdhsa_uses_dynamic_stack 0
		.amdhsa_enable_private_segment 0
		.amdhsa_system_sgpr_workgroup_id_x 1
		.amdhsa_system_sgpr_workgroup_id_y 0
		.amdhsa_system_sgpr_workgroup_id_z 0
		.amdhsa_system_sgpr_workgroup_info 0
		.amdhsa_system_vgpr_workitem_id 0
		.amdhsa_next_free_vgpr 1
		.amdhsa_next_free_sgpr 1
		.amdhsa_reserve_vcc 0
		.amdhsa_float_round_mode_32 0
		.amdhsa_float_round_mode_16_64 0
		.amdhsa_float_denorm_mode_32 3
		.amdhsa_float_denorm_mode_16_64 3
		.amdhsa_fp16_overflow 0
		.amdhsa_workgroup_processor_mode 1
		.amdhsa_memory_ordered 1
		.amdhsa_forward_progress 1
		.amdhsa_inst_pref_size 0
		.amdhsa_round_robin_scheduling 0
		.amdhsa_exception_fp_ieee_invalid_op 0
		.amdhsa_exception_fp_denorm_src 0
		.amdhsa_exception_fp_ieee_div_zero 0
		.amdhsa_exception_fp_ieee_overflow 0
		.amdhsa_exception_fp_ieee_underflow 0
		.amdhsa_exception_fp_ieee_inexact 0
		.amdhsa_exception_int_div_zero 0
	.end_amdhsa_kernel
	.section	.text._ZN7rocprim17ROCPRIM_400000_NS6detail17trampoline_kernelINS0_14default_configENS1_25partition_config_selectorILNS1_17partition_subalgoE6EiNS0_10empty_typeEbEEZZNS1_14partition_implILS5_6ELb0ES3_mN6thrust23THRUST_200600_302600_NS6detail15normal_iteratorINSA_10device_ptrIiEEEEPS6_SG_NS0_5tupleIJSF_S6_EEENSH_IJSG_SG_EEES6_PlJ6is_oddIiEEEE10hipError_tPvRmT3_T4_T5_T6_T7_T9_mT8_P12ihipStream_tbDpT10_ENKUlT_T0_E_clISt17integral_constantIbLb0EES15_IbLb1EEEEDaS11_S12_EUlS11_E_NS1_11comp_targetILNS1_3genE9ELNS1_11target_archE1100ELNS1_3gpuE3ELNS1_3repE0EEENS1_30default_config_static_selectorELNS0_4arch9wavefront6targetE0EEEvT1_,"axG",@progbits,_ZN7rocprim17ROCPRIM_400000_NS6detail17trampoline_kernelINS0_14default_configENS1_25partition_config_selectorILNS1_17partition_subalgoE6EiNS0_10empty_typeEbEEZZNS1_14partition_implILS5_6ELb0ES3_mN6thrust23THRUST_200600_302600_NS6detail15normal_iteratorINSA_10device_ptrIiEEEEPS6_SG_NS0_5tupleIJSF_S6_EEENSH_IJSG_SG_EEES6_PlJ6is_oddIiEEEE10hipError_tPvRmT3_T4_T5_T6_T7_T9_mT8_P12ihipStream_tbDpT10_ENKUlT_T0_E_clISt17integral_constantIbLb0EES15_IbLb1EEEEDaS11_S12_EUlS11_E_NS1_11comp_targetILNS1_3genE9ELNS1_11target_archE1100ELNS1_3gpuE3ELNS1_3repE0EEENS1_30default_config_static_selectorELNS0_4arch9wavefront6targetE0EEEvT1_,comdat
.Lfunc_end45:
	.size	_ZN7rocprim17ROCPRIM_400000_NS6detail17trampoline_kernelINS0_14default_configENS1_25partition_config_selectorILNS1_17partition_subalgoE6EiNS0_10empty_typeEbEEZZNS1_14partition_implILS5_6ELb0ES3_mN6thrust23THRUST_200600_302600_NS6detail15normal_iteratorINSA_10device_ptrIiEEEEPS6_SG_NS0_5tupleIJSF_S6_EEENSH_IJSG_SG_EEES6_PlJ6is_oddIiEEEE10hipError_tPvRmT3_T4_T5_T6_T7_T9_mT8_P12ihipStream_tbDpT10_ENKUlT_T0_E_clISt17integral_constantIbLb0EES15_IbLb1EEEEDaS11_S12_EUlS11_E_NS1_11comp_targetILNS1_3genE9ELNS1_11target_archE1100ELNS1_3gpuE3ELNS1_3repE0EEENS1_30default_config_static_selectorELNS0_4arch9wavefront6targetE0EEEvT1_, .Lfunc_end45-_ZN7rocprim17ROCPRIM_400000_NS6detail17trampoline_kernelINS0_14default_configENS1_25partition_config_selectorILNS1_17partition_subalgoE6EiNS0_10empty_typeEbEEZZNS1_14partition_implILS5_6ELb0ES3_mN6thrust23THRUST_200600_302600_NS6detail15normal_iteratorINSA_10device_ptrIiEEEEPS6_SG_NS0_5tupleIJSF_S6_EEENSH_IJSG_SG_EEES6_PlJ6is_oddIiEEEE10hipError_tPvRmT3_T4_T5_T6_T7_T9_mT8_P12ihipStream_tbDpT10_ENKUlT_T0_E_clISt17integral_constantIbLb0EES15_IbLb1EEEEDaS11_S12_EUlS11_E_NS1_11comp_targetILNS1_3genE9ELNS1_11target_archE1100ELNS1_3gpuE3ELNS1_3repE0EEENS1_30default_config_static_selectorELNS0_4arch9wavefront6targetE0EEEvT1_
                                        ; -- End function
	.set _ZN7rocprim17ROCPRIM_400000_NS6detail17trampoline_kernelINS0_14default_configENS1_25partition_config_selectorILNS1_17partition_subalgoE6EiNS0_10empty_typeEbEEZZNS1_14partition_implILS5_6ELb0ES3_mN6thrust23THRUST_200600_302600_NS6detail15normal_iteratorINSA_10device_ptrIiEEEEPS6_SG_NS0_5tupleIJSF_S6_EEENSH_IJSG_SG_EEES6_PlJ6is_oddIiEEEE10hipError_tPvRmT3_T4_T5_T6_T7_T9_mT8_P12ihipStream_tbDpT10_ENKUlT_T0_E_clISt17integral_constantIbLb0EES15_IbLb1EEEEDaS11_S12_EUlS11_E_NS1_11comp_targetILNS1_3genE9ELNS1_11target_archE1100ELNS1_3gpuE3ELNS1_3repE0EEENS1_30default_config_static_selectorELNS0_4arch9wavefront6targetE0EEEvT1_.num_vgpr, 0
	.set _ZN7rocprim17ROCPRIM_400000_NS6detail17trampoline_kernelINS0_14default_configENS1_25partition_config_selectorILNS1_17partition_subalgoE6EiNS0_10empty_typeEbEEZZNS1_14partition_implILS5_6ELb0ES3_mN6thrust23THRUST_200600_302600_NS6detail15normal_iteratorINSA_10device_ptrIiEEEEPS6_SG_NS0_5tupleIJSF_S6_EEENSH_IJSG_SG_EEES6_PlJ6is_oddIiEEEE10hipError_tPvRmT3_T4_T5_T6_T7_T9_mT8_P12ihipStream_tbDpT10_ENKUlT_T0_E_clISt17integral_constantIbLb0EES15_IbLb1EEEEDaS11_S12_EUlS11_E_NS1_11comp_targetILNS1_3genE9ELNS1_11target_archE1100ELNS1_3gpuE3ELNS1_3repE0EEENS1_30default_config_static_selectorELNS0_4arch9wavefront6targetE0EEEvT1_.num_agpr, 0
	.set _ZN7rocprim17ROCPRIM_400000_NS6detail17trampoline_kernelINS0_14default_configENS1_25partition_config_selectorILNS1_17partition_subalgoE6EiNS0_10empty_typeEbEEZZNS1_14partition_implILS5_6ELb0ES3_mN6thrust23THRUST_200600_302600_NS6detail15normal_iteratorINSA_10device_ptrIiEEEEPS6_SG_NS0_5tupleIJSF_S6_EEENSH_IJSG_SG_EEES6_PlJ6is_oddIiEEEE10hipError_tPvRmT3_T4_T5_T6_T7_T9_mT8_P12ihipStream_tbDpT10_ENKUlT_T0_E_clISt17integral_constantIbLb0EES15_IbLb1EEEEDaS11_S12_EUlS11_E_NS1_11comp_targetILNS1_3genE9ELNS1_11target_archE1100ELNS1_3gpuE3ELNS1_3repE0EEENS1_30default_config_static_selectorELNS0_4arch9wavefront6targetE0EEEvT1_.numbered_sgpr, 0
	.set _ZN7rocprim17ROCPRIM_400000_NS6detail17trampoline_kernelINS0_14default_configENS1_25partition_config_selectorILNS1_17partition_subalgoE6EiNS0_10empty_typeEbEEZZNS1_14partition_implILS5_6ELb0ES3_mN6thrust23THRUST_200600_302600_NS6detail15normal_iteratorINSA_10device_ptrIiEEEEPS6_SG_NS0_5tupleIJSF_S6_EEENSH_IJSG_SG_EEES6_PlJ6is_oddIiEEEE10hipError_tPvRmT3_T4_T5_T6_T7_T9_mT8_P12ihipStream_tbDpT10_ENKUlT_T0_E_clISt17integral_constantIbLb0EES15_IbLb1EEEEDaS11_S12_EUlS11_E_NS1_11comp_targetILNS1_3genE9ELNS1_11target_archE1100ELNS1_3gpuE3ELNS1_3repE0EEENS1_30default_config_static_selectorELNS0_4arch9wavefront6targetE0EEEvT1_.num_named_barrier, 0
	.set _ZN7rocprim17ROCPRIM_400000_NS6detail17trampoline_kernelINS0_14default_configENS1_25partition_config_selectorILNS1_17partition_subalgoE6EiNS0_10empty_typeEbEEZZNS1_14partition_implILS5_6ELb0ES3_mN6thrust23THRUST_200600_302600_NS6detail15normal_iteratorINSA_10device_ptrIiEEEEPS6_SG_NS0_5tupleIJSF_S6_EEENSH_IJSG_SG_EEES6_PlJ6is_oddIiEEEE10hipError_tPvRmT3_T4_T5_T6_T7_T9_mT8_P12ihipStream_tbDpT10_ENKUlT_T0_E_clISt17integral_constantIbLb0EES15_IbLb1EEEEDaS11_S12_EUlS11_E_NS1_11comp_targetILNS1_3genE9ELNS1_11target_archE1100ELNS1_3gpuE3ELNS1_3repE0EEENS1_30default_config_static_selectorELNS0_4arch9wavefront6targetE0EEEvT1_.private_seg_size, 0
	.set _ZN7rocprim17ROCPRIM_400000_NS6detail17trampoline_kernelINS0_14default_configENS1_25partition_config_selectorILNS1_17partition_subalgoE6EiNS0_10empty_typeEbEEZZNS1_14partition_implILS5_6ELb0ES3_mN6thrust23THRUST_200600_302600_NS6detail15normal_iteratorINSA_10device_ptrIiEEEEPS6_SG_NS0_5tupleIJSF_S6_EEENSH_IJSG_SG_EEES6_PlJ6is_oddIiEEEE10hipError_tPvRmT3_T4_T5_T6_T7_T9_mT8_P12ihipStream_tbDpT10_ENKUlT_T0_E_clISt17integral_constantIbLb0EES15_IbLb1EEEEDaS11_S12_EUlS11_E_NS1_11comp_targetILNS1_3genE9ELNS1_11target_archE1100ELNS1_3gpuE3ELNS1_3repE0EEENS1_30default_config_static_selectorELNS0_4arch9wavefront6targetE0EEEvT1_.uses_vcc, 0
	.set _ZN7rocprim17ROCPRIM_400000_NS6detail17trampoline_kernelINS0_14default_configENS1_25partition_config_selectorILNS1_17partition_subalgoE6EiNS0_10empty_typeEbEEZZNS1_14partition_implILS5_6ELb0ES3_mN6thrust23THRUST_200600_302600_NS6detail15normal_iteratorINSA_10device_ptrIiEEEEPS6_SG_NS0_5tupleIJSF_S6_EEENSH_IJSG_SG_EEES6_PlJ6is_oddIiEEEE10hipError_tPvRmT3_T4_T5_T6_T7_T9_mT8_P12ihipStream_tbDpT10_ENKUlT_T0_E_clISt17integral_constantIbLb0EES15_IbLb1EEEEDaS11_S12_EUlS11_E_NS1_11comp_targetILNS1_3genE9ELNS1_11target_archE1100ELNS1_3gpuE3ELNS1_3repE0EEENS1_30default_config_static_selectorELNS0_4arch9wavefront6targetE0EEEvT1_.uses_flat_scratch, 0
	.set _ZN7rocprim17ROCPRIM_400000_NS6detail17trampoline_kernelINS0_14default_configENS1_25partition_config_selectorILNS1_17partition_subalgoE6EiNS0_10empty_typeEbEEZZNS1_14partition_implILS5_6ELb0ES3_mN6thrust23THRUST_200600_302600_NS6detail15normal_iteratorINSA_10device_ptrIiEEEEPS6_SG_NS0_5tupleIJSF_S6_EEENSH_IJSG_SG_EEES6_PlJ6is_oddIiEEEE10hipError_tPvRmT3_T4_T5_T6_T7_T9_mT8_P12ihipStream_tbDpT10_ENKUlT_T0_E_clISt17integral_constantIbLb0EES15_IbLb1EEEEDaS11_S12_EUlS11_E_NS1_11comp_targetILNS1_3genE9ELNS1_11target_archE1100ELNS1_3gpuE3ELNS1_3repE0EEENS1_30default_config_static_selectorELNS0_4arch9wavefront6targetE0EEEvT1_.has_dyn_sized_stack, 0
	.set _ZN7rocprim17ROCPRIM_400000_NS6detail17trampoline_kernelINS0_14default_configENS1_25partition_config_selectorILNS1_17partition_subalgoE6EiNS0_10empty_typeEbEEZZNS1_14partition_implILS5_6ELb0ES3_mN6thrust23THRUST_200600_302600_NS6detail15normal_iteratorINSA_10device_ptrIiEEEEPS6_SG_NS0_5tupleIJSF_S6_EEENSH_IJSG_SG_EEES6_PlJ6is_oddIiEEEE10hipError_tPvRmT3_T4_T5_T6_T7_T9_mT8_P12ihipStream_tbDpT10_ENKUlT_T0_E_clISt17integral_constantIbLb0EES15_IbLb1EEEEDaS11_S12_EUlS11_E_NS1_11comp_targetILNS1_3genE9ELNS1_11target_archE1100ELNS1_3gpuE3ELNS1_3repE0EEENS1_30default_config_static_selectorELNS0_4arch9wavefront6targetE0EEEvT1_.has_recursion, 0
	.set _ZN7rocprim17ROCPRIM_400000_NS6detail17trampoline_kernelINS0_14default_configENS1_25partition_config_selectorILNS1_17partition_subalgoE6EiNS0_10empty_typeEbEEZZNS1_14partition_implILS5_6ELb0ES3_mN6thrust23THRUST_200600_302600_NS6detail15normal_iteratorINSA_10device_ptrIiEEEEPS6_SG_NS0_5tupleIJSF_S6_EEENSH_IJSG_SG_EEES6_PlJ6is_oddIiEEEE10hipError_tPvRmT3_T4_T5_T6_T7_T9_mT8_P12ihipStream_tbDpT10_ENKUlT_T0_E_clISt17integral_constantIbLb0EES15_IbLb1EEEEDaS11_S12_EUlS11_E_NS1_11comp_targetILNS1_3genE9ELNS1_11target_archE1100ELNS1_3gpuE3ELNS1_3repE0EEENS1_30default_config_static_selectorELNS0_4arch9wavefront6targetE0EEEvT1_.has_indirect_call, 0
	.section	.AMDGPU.csdata,"",@progbits
; Kernel info:
; codeLenInByte = 0
; TotalNumSgprs: 0
; NumVgprs: 0
; ScratchSize: 0
; MemoryBound: 0
; FloatMode: 240
; IeeeMode: 1
; LDSByteSize: 0 bytes/workgroup (compile time only)
; SGPRBlocks: 0
; VGPRBlocks: 0
; NumSGPRsForWavesPerEU: 1
; NumVGPRsForWavesPerEU: 1
; Occupancy: 16
; WaveLimiterHint : 0
; COMPUTE_PGM_RSRC2:SCRATCH_EN: 0
; COMPUTE_PGM_RSRC2:USER_SGPR: 2
; COMPUTE_PGM_RSRC2:TRAP_HANDLER: 0
; COMPUTE_PGM_RSRC2:TGID_X_EN: 1
; COMPUTE_PGM_RSRC2:TGID_Y_EN: 0
; COMPUTE_PGM_RSRC2:TGID_Z_EN: 0
; COMPUTE_PGM_RSRC2:TIDIG_COMP_CNT: 0
	.section	.text._ZN7rocprim17ROCPRIM_400000_NS6detail17trampoline_kernelINS0_14default_configENS1_25partition_config_selectorILNS1_17partition_subalgoE6EiNS0_10empty_typeEbEEZZNS1_14partition_implILS5_6ELb0ES3_mN6thrust23THRUST_200600_302600_NS6detail15normal_iteratorINSA_10device_ptrIiEEEEPS6_SG_NS0_5tupleIJSF_S6_EEENSH_IJSG_SG_EEES6_PlJ6is_oddIiEEEE10hipError_tPvRmT3_T4_T5_T6_T7_T9_mT8_P12ihipStream_tbDpT10_ENKUlT_T0_E_clISt17integral_constantIbLb0EES15_IbLb1EEEEDaS11_S12_EUlS11_E_NS1_11comp_targetILNS1_3genE8ELNS1_11target_archE1030ELNS1_3gpuE2ELNS1_3repE0EEENS1_30default_config_static_selectorELNS0_4arch9wavefront6targetE0EEEvT1_,"axG",@progbits,_ZN7rocprim17ROCPRIM_400000_NS6detail17trampoline_kernelINS0_14default_configENS1_25partition_config_selectorILNS1_17partition_subalgoE6EiNS0_10empty_typeEbEEZZNS1_14partition_implILS5_6ELb0ES3_mN6thrust23THRUST_200600_302600_NS6detail15normal_iteratorINSA_10device_ptrIiEEEEPS6_SG_NS0_5tupleIJSF_S6_EEENSH_IJSG_SG_EEES6_PlJ6is_oddIiEEEE10hipError_tPvRmT3_T4_T5_T6_T7_T9_mT8_P12ihipStream_tbDpT10_ENKUlT_T0_E_clISt17integral_constantIbLb0EES15_IbLb1EEEEDaS11_S12_EUlS11_E_NS1_11comp_targetILNS1_3genE8ELNS1_11target_archE1030ELNS1_3gpuE2ELNS1_3repE0EEENS1_30default_config_static_selectorELNS0_4arch9wavefront6targetE0EEEvT1_,comdat
	.protected	_ZN7rocprim17ROCPRIM_400000_NS6detail17trampoline_kernelINS0_14default_configENS1_25partition_config_selectorILNS1_17partition_subalgoE6EiNS0_10empty_typeEbEEZZNS1_14partition_implILS5_6ELb0ES3_mN6thrust23THRUST_200600_302600_NS6detail15normal_iteratorINSA_10device_ptrIiEEEEPS6_SG_NS0_5tupleIJSF_S6_EEENSH_IJSG_SG_EEES6_PlJ6is_oddIiEEEE10hipError_tPvRmT3_T4_T5_T6_T7_T9_mT8_P12ihipStream_tbDpT10_ENKUlT_T0_E_clISt17integral_constantIbLb0EES15_IbLb1EEEEDaS11_S12_EUlS11_E_NS1_11comp_targetILNS1_3genE8ELNS1_11target_archE1030ELNS1_3gpuE2ELNS1_3repE0EEENS1_30default_config_static_selectorELNS0_4arch9wavefront6targetE0EEEvT1_ ; -- Begin function _ZN7rocprim17ROCPRIM_400000_NS6detail17trampoline_kernelINS0_14default_configENS1_25partition_config_selectorILNS1_17partition_subalgoE6EiNS0_10empty_typeEbEEZZNS1_14partition_implILS5_6ELb0ES3_mN6thrust23THRUST_200600_302600_NS6detail15normal_iteratorINSA_10device_ptrIiEEEEPS6_SG_NS0_5tupleIJSF_S6_EEENSH_IJSG_SG_EEES6_PlJ6is_oddIiEEEE10hipError_tPvRmT3_T4_T5_T6_T7_T9_mT8_P12ihipStream_tbDpT10_ENKUlT_T0_E_clISt17integral_constantIbLb0EES15_IbLb1EEEEDaS11_S12_EUlS11_E_NS1_11comp_targetILNS1_3genE8ELNS1_11target_archE1030ELNS1_3gpuE2ELNS1_3repE0EEENS1_30default_config_static_selectorELNS0_4arch9wavefront6targetE0EEEvT1_
	.globl	_ZN7rocprim17ROCPRIM_400000_NS6detail17trampoline_kernelINS0_14default_configENS1_25partition_config_selectorILNS1_17partition_subalgoE6EiNS0_10empty_typeEbEEZZNS1_14partition_implILS5_6ELb0ES3_mN6thrust23THRUST_200600_302600_NS6detail15normal_iteratorINSA_10device_ptrIiEEEEPS6_SG_NS0_5tupleIJSF_S6_EEENSH_IJSG_SG_EEES6_PlJ6is_oddIiEEEE10hipError_tPvRmT3_T4_T5_T6_T7_T9_mT8_P12ihipStream_tbDpT10_ENKUlT_T0_E_clISt17integral_constantIbLb0EES15_IbLb1EEEEDaS11_S12_EUlS11_E_NS1_11comp_targetILNS1_3genE8ELNS1_11target_archE1030ELNS1_3gpuE2ELNS1_3repE0EEENS1_30default_config_static_selectorELNS0_4arch9wavefront6targetE0EEEvT1_
	.p2align	8
	.type	_ZN7rocprim17ROCPRIM_400000_NS6detail17trampoline_kernelINS0_14default_configENS1_25partition_config_selectorILNS1_17partition_subalgoE6EiNS0_10empty_typeEbEEZZNS1_14partition_implILS5_6ELb0ES3_mN6thrust23THRUST_200600_302600_NS6detail15normal_iteratorINSA_10device_ptrIiEEEEPS6_SG_NS0_5tupleIJSF_S6_EEENSH_IJSG_SG_EEES6_PlJ6is_oddIiEEEE10hipError_tPvRmT3_T4_T5_T6_T7_T9_mT8_P12ihipStream_tbDpT10_ENKUlT_T0_E_clISt17integral_constantIbLb0EES15_IbLb1EEEEDaS11_S12_EUlS11_E_NS1_11comp_targetILNS1_3genE8ELNS1_11target_archE1030ELNS1_3gpuE2ELNS1_3repE0EEENS1_30default_config_static_selectorELNS0_4arch9wavefront6targetE0EEEvT1_,@function
_ZN7rocprim17ROCPRIM_400000_NS6detail17trampoline_kernelINS0_14default_configENS1_25partition_config_selectorILNS1_17partition_subalgoE6EiNS0_10empty_typeEbEEZZNS1_14partition_implILS5_6ELb0ES3_mN6thrust23THRUST_200600_302600_NS6detail15normal_iteratorINSA_10device_ptrIiEEEEPS6_SG_NS0_5tupleIJSF_S6_EEENSH_IJSG_SG_EEES6_PlJ6is_oddIiEEEE10hipError_tPvRmT3_T4_T5_T6_T7_T9_mT8_P12ihipStream_tbDpT10_ENKUlT_T0_E_clISt17integral_constantIbLb0EES15_IbLb1EEEEDaS11_S12_EUlS11_E_NS1_11comp_targetILNS1_3genE8ELNS1_11target_archE1030ELNS1_3gpuE2ELNS1_3repE0EEENS1_30default_config_static_selectorELNS0_4arch9wavefront6targetE0EEEvT1_: ; @_ZN7rocprim17ROCPRIM_400000_NS6detail17trampoline_kernelINS0_14default_configENS1_25partition_config_selectorILNS1_17partition_subalgoE6EiNS0_10empty_typeEbEEZZNS1_14partition_implILS5_6ELb0ES3_mN6thrust23THRUST_200600_302600_NS6detail15normal_iteratorINSA_10device_ptrIiEEEEPS6_SG_NS0_5tupleIJSF_S6_EEENSH_IJSG_SG_EEES6_PlJ6is_oddIiEEEE10hipError_tPvRmT3_T4_T5_T6_T7_T9_mT8_P12ihipStream_tbDpT10_ENKUlT_T0_E_clISt17integral_constantIbLb0EES15_IbLb1EEEEDaS11_S12_EUlS11_E_NS1_11comp_targetILNS1_3genE8ELNS1_11target_archE1030ELNS1_3gpuE2ELNS1_3repE0EEENS1_30default_config_static_selectorELNS0_4arch9wavefront6targetE0EEEvT1_
; %bb.0:
	.section	.rodata,"a",@progbits
	.p2align	6, 0x0
	.amdhsa_kernel _ZN7rocprim17ROCPRIM_400000_NS6detail17trampoline_kernelINS0_14default_configENS1_25partition_config_selectorILNS1_17partition_subalgoE6EiNS0_10empty_typeEbEEZZNS1_14partition_implILS5_6ELb0ES3_mN6thrust23THRUST_200600_302600_NS6detail15normal_iteratorINSA_10device_ptrIiEEEEPS6_SG_NS0_5tupleIJSF_S6_EEENSH_IJSG_SG_EEES6_PlJ6is_oddIiEEEE10hipError_tPvRmT3_T4_T5_T6_T7_T9_mT8_P12ihipStream_tbDpT10_ENKUlT_T0_E_clISt17integral_constantIbLb0EES15_IbLb1EEEEDaS11_S12_EUlS11_E_NS1_11comp_targetILNS1_3genE8ELNS1_11target_archE1030ELNS1_3gpuE2ELNS1_3repE0EEENS1_30default_config_static_selectorELNS0_4arch9wavefront6targetE0EEEvT1_
		.amdhsa_group_segment_fixed_size 0
		.amdhsa_private_segment_fixed_size 0
		.amdhsa_kernarg_size 128
		.amdhsa_user_sgpr_count 2
		.amdhsa_user_sgpr_dispatch_ptr 0
		.amdhsa_user_sgpr_queue_ptr 0
		.amdhsa_user_sgpr_kernarg_segment_ptr 1
		.amdhsa_user_sgpr_dispatch_id 0
		.amdhsa_user_sgpr_private_segment_size 0
		.amdhsa_wavefront_size32 1
		.amdhsa_uses_dynamic_stack 0
		.amdhsa_enable_private_segment 0
		.amdhsa_system_sgpr_workgroup_id_x 1
		.amdhsa_system_sgpr_workgroup_id_y 0
		.amdhsa_system_sgpr_workgroup_id_z 0
		.amdhsa_system_sgpr_workgroup_info 0
		.amdhsa_system_vgpr_workitem_id 0
		.amdhsa_next_free_vgpr 1
		.amdhsa_next_free_sgpr 1
		.amdhsa_reserve_vcc 0
		.amdhsa_float_round_mode_32 0
		.amdhsa_float_round_mode_16_64 0
		.amdhsa_float_denorm_mode_32 3
		.amdhsa_float_denorm_mode_16_64 3
		.amdhsa_fp16_overflow 0
		.amdhsa_workgroup_processor_mode 1
		.amdhsa_memory_ordered 1
		.amdhsa_forward_progress 1
		.amdhsa_inst_pref_size 0
		.amdhsa_round_robin_scheduling 0
		.amdhsa_exception_fp_ieee_invalid_op 0
		.amdhsa_exception_fp_denorm_src 0
		.amdhsa_exception_fp_ieee_div_zero 0
		.amdhsa_exception_fp_ieee_overflow 0
		.amdhsa_exception_fp_ieee_underflow 0
		.amdhsa_exception_fp_ieee_inexact 0
		.amdhsa_exception_int_div_zero 0
	.end_amdhsa_kernel
	.section	.text._ZN7rocprim17ROCPRIM_400000_NS6detail17trampoline_kernelINS0_14default_configENS1_25partition_config_selectorILNS1_17partition_subalgoE6EiNS0_10empty_typeEbEEZZNS1_14partition_implILS5_6ELb0ES3_mN6thrust23THRUST_200600_302600_NS6detail15normal_iteratorINSA_10device_ptrIiEEEEPS6_SG_NS0_5tupleIJSF_S6_EEENSH_IJSG_SG_EEES6_PlJ6is_oddIiEEEE10hipError_tPvRmT3_T4_T5_T6_T7_T9_mT8_P12ihipStream_tbDpT10_ENKUlT_T0_E_clISt17integral_constantIbLb0EES15_IbLb1EEEEDaS11_S12_EUlS11_E_NS1_11comp_targetILNS1_3genE8ELNS1_11target_archE1030ELNS1_3gpuE2ELNS1_3repE0EEENS1_30default_config_static_selectorELNS0_4arch9wavefront6targetE0EEEvT1_,"axG",@progbits,_ZN7rocprim17ROCPRIM_400000_NS6detail17trampoline_kernelINS0_14default_configENS1_25partition_config_selectorILNS1_17partition_subalgoE6EiNS0_10empty_typeEbEEZZNS1_14partition_implILS5_6ELb0ES3_mN6thrust23THRUST_200600_302600_NS6detail15normal_iteratorINSA_10device_ptrIiEEEEPS6_SG_NS0_5tupleIJSF_S6_EEENSH_IJSG_SG_EEES6_PlJ6is_oddIiEEEE10hipError_tPvRmT3_T4_T5_T6_T7_T9_mT8_P12ihipStream_tbDpT10_ENKUlT_T0_E_clISt17integral_constantIbLb0EES15_IbLb1EEEEDaS11_S12_EUlS11_E_NS1_11comp_targetILNS1_3genE8ELNS1_11target_archE1030ELNS1_3gpuE2ELNS1_3repE0EEENS1_30default_config_static_selectorELNS0_4arch9wavefront6targetE0EEEvT1_,comdat
.Lfunc_end46:
	.size	_ZN7rocprim17ROCPRIM_400000_NS6detail17trampoline_kernelINS0_14default_configENS1_25partition_config_selectorILNS1_17partition_subalgoE6EiNS0_10empty_typeEbEEZZNS1_14partition_implILS5_6ELb0ES3_mN6thrust23THRUST_200600_302600_NS6detail15normal_iteratorINSA_10device_ptrIiEEEEPS6_SG_NS0_5tupleIJSF_S6_EEENSH_IJSG_SG_EEES6_PlJ6is_oddIiEEEE10hipError_tPvRmT3_T4_T5_T6_T7_T9_mT8_P12ihipStream_tbDpT10_ENKUlT_T0_E_clISt17integral_constantIbLb0EES15_IbLb1EEEEDaS11_S12_EUlS11_E_NS1_11comp_targetILNS1_3genE8ELNS1_11target_archE1030ELNS1_3gpuE2ELNS1_3repE0EEENS1_30default_config_static_selectorELNS0_4arch9wavefront6targetE0EEEvT1_, .Lfunc_end46-_ZN7rocprim17ROCPRIM_400000_NS6detail17trampoline_kernelINS0_14default_configENS1_25partition_config_selectorILNS1_17partition_subalgoE6EiNS0_10empty_typeEbEEZZNS1_14partition_implILS5_6ELb0ES3_mN6thrust23THRUST_200600_302600_NS6detail15normal_iteratorINSA_10device_ptrIiEEEEPS6_SG_NS0_5tupleIJSF_S6_EEENSH_IJSG_SG_EEES6_PlJ6is_oddIiEEEE10hipError_tPvRmT3_T4_T5_T6_T7_T9_mT8_P12ihipStream_tbDpT10_ENKUlT_T0_E_clISt17integral_constantIbLb0EES15_IbLb1EEEEDaS11_S12_EUlS11_E_NS1_11comp_targetILNS1_3genE8ELNS1_11target_archE1030ELNS1_3gpuE2ELNS1_3repE0EEENS1_30default_config_static_selectorELNS0_4arch9wavefront6targetE0EEEvT1_
                                        ; -- End function
	.set _ZN7rocprim17ROCPRIM_400000_NS6detail17trampoline_kernelINS0_14default_configENS1_25partition_config_selectorILNS1_17partition_subalgoE6EiNS0_10empty_typeEbEEZZNS1_14partition_implILS5_6ELb0ES3_mN6thrust23THRUST_200600_302600_NS6detail15normal_iteratorINSA_10device_ptrIiEEEEPS6_SG_NS0_5tupleIJSF_S6_EEENSH_IJSG_SG_EEES6_PlJ6is_oddIiEEEE10hipError_tPvRmT3_T4_T5_T6_T7_T9_mT8_P12ihipStream_tbDpT10_ENKUlT_T0_E_clISt17integral_constantIbLb0EES15_IbLb1EEEEDaS11_S12_EUlS11_E_NS1_11comp_targetILNS1_3genE8ELNS1_11target_archE1030ELNS1_3gpuE2ELNS1_3repE0EEENS1_30default_config_static_selectorELNS0_4arch9wavefront6targetE0EEEvT1_.num_vgpr, 0
	.set _ZN7rocprim17ROCPRIM_400000_NS6detail17trampoline_kernelINS0_14default_configENS1_25partition_config_selectorILNS1_17partition_subalgoE6EiNS0_10empty_typeEbEEZZNS1_14partition_implILS5_6ELb0ES3_mN6thrust23THRUST_200600_302600_NS6detail15normal_iteratorINSA_10device_ptrIiEEEEPS6_SG_NS0_5tupleIJSF_S6_EEENSH_IJSG_SG_EEES6_PlJ6is_oddIiEEEE10hipError_tPvRmT3_T4_T5_T6_T7_T9_mT8_P12ihipStream_tbDpT10_ENKUlT_T0_E_clISt17integral_constantIbLb0EES15_IbLb1EEEEDaS11_S12_EUlS11_E_NS1_11comp_targetILNS1_3genE8ELNS1_11target_archE1030ELNS1_3gpuE2ELNS1_3repE0EEENS1_30default_config_static_selectorELNS0_4arch9wavefront6targetE0EEEvT1_.num_agpr, 0
	.set _ZN7rocprim17ROCPRIM_400000_NS6detail17trampoline_kernelINS0_14default_configENS1_25partition_config_selectorILNS1_17partition_subalgoE6EiNS0_10empty_typeEbEEZZNS1_14partition_implILS5_6ELb0ES3_mN6thrust23THRUST_200600_302600_NS6detail15normal_iteratorINSA_10device_ptrIiEEEEPS6_SG_NS0_5tupleIJSF_S6_EEENSH_IJSG_SG_EEES6_PlJ6is_oddIiEEEE10hipError_tPvRmT3_T4_T5_T6_T7_T9_mT8_P12ihipStream_tbDpT10_ENKUlT_T0_E_clISt17integral_constantIbLb0EES15_IbLb1EEEEDaS11_S12_EUlS11_E_NS1_11comp_targetILNS1_3genE8ELNS1_11target_archE1030ELNS1_3gpuE2ELNS1_3repE0EEENS1_30default_config_static_selectorELNS0_4arch9wavefront6targetE0EEEvT1_.numbered_sgpr, 0
	.set _ZN7rocprim17ROCPRIM_400000_NS6detail17trampoline_kernelINS0_14default_configENS1_25partition_config_selectorILNS1_17partition_subalgoE6EiNS0_10empty_typeEbEEZZNS1_14partition_implILS5_6ELb0ES3_mN6thrust23THRUST_200600_302600_NS6detail15normal_iteratorINSA_10device_ptrIiEEEEPS6_SG_NS0_5tupleIJSF_S6_EEENSH_IJSG_SG_EEES6_PlJ6is_oddIiEEEE10hipError_tPvRmT3_T4_T5_T6_T7_T9_mT8_P12ihipStream_tbDpT10_ENKUlT_T0_E_clISt17integral_constantIbLb0EES15_IbLb1EEEEDaS11_S12_EUlS11_E_NS1_11comp_targetILNS1_3genE8ELNS1_11target_archE1030ELNS1_3gpuE2ELNS1_3repE0EEENS1_30default_config_static_selectorELNS0_4arch9wavefront6targetE0EEEvT1_.num_named_barrier, 0
	.set _ZN7rocprim17ROCPRIM_400000_NS6detail17trampoline_kernelINS0_14default_configENS1_25partition_config_selectorILNS1_17partition_subalgoE6EiNS0_10empty_typeEbEEZZNS1_14partition_implILS5_6ELb0ES3_mN6thrust23THRUST_200600_302600_NS6detail15normal_iteratorINSA_10device_ptrIiEEEEPS6_SG_NS0_5tupleIJSF_S6_EEENSH_IJSG_SG_EEES6_PlJ6is_oddIiEEEE10hipError_tPvRmT3_T4_T5_T6_T7_T9_mT8_P12ihipStream_tbDpT10_ENKUlT_T0_E_clISt17integral_constantIbLb0EES15_IbLb1EEEEDaS11_S12_EUlS11_E_NS1_11comp_targetILNS1_3genE8ELNS1_11target_archE1030ELNS1_3gpuE2ELNS1_3repE0EEENS1_30default_config_static_selectorELNS0_4arch9wavefront6targetE0EEEvT1_.private_seg_size, 0
	.set _ZN7rocprim17ROCPRIM_400000_NS6detail17trampoline_kernelINS0_14default_configENS1_25partition_config_selectorILNS1_17partition_subalgoE6EiNS0_10empty_typeEbEEZZNS1_14partition_implILS5_6ELb0ES3_mN6thrust23THRUST_200600_302600_NS6detail15normal_iteratorINSA_10device_ptrIiEEEEPS6_SG_NS0_5tupleIJSF_S6_EEENSH_IJSG_SG_EEES6_PlJ6is_oddIiEEEE10hipError_tPvRmT3_T4_T5_T6_T7_T9_mT8_P12ihipStream_tbDpT10_ENKUlT_T0_E_clISt17integral_constantIbLb0EES15_IbLb1EEEEDaS11_S12_EUlS11_E_NS1_11comp_targetILNS1_3genE8ELNS1_11target_archE1030ELNS1_3gpuE2ELNS1_3repE0EEENS1_30default_config_static_selectorELNS0_4arch9wavefront6targetE0EEEvT1_.uses_vcc, 0
	.set _ZN7rocprim17ROCPRIM_400000_NS6detail17trampoline_kernelINS0_14default_configENS1_25partition_config_selectorILNS1_17partition_subalgoE6EiNS0_10empty_typeEbEEZZNS1_14partition_implILS5_6ELb0ES3_mN6thrust23THRUST_200600_302600_NS6detail15normal_iteratorINSA_10device_ptrIiEEEEPS6_SG_NS0_5tupleIJSF_S6_EEENSH_IJSG_SG_EEES6_PlJ6is_oddIiEEEE10hipError_tPvRmT3_T4_T5_T6_T7_T9_mT8_P12ihipStream_tbDpT10_ENKUlT_T0_E_clISt17integral_constantIbLb0EES15_IbLb1EEEEDaS11_S12_EUlS11_E_NS1_11comp_targetILNS1_3genE8ELNS1_11target_archE1030ELNS1_3gpuE2ELNS1_3repE0EEENS1_30default_config_static_selectorELNS0_4arch9wavefront6targetE0EEEvT1_.uses_flat_scratch, 0
	.set _ZN7rocprim17ROCPRIM_400000_NS6detail17trampoline_kernelINS0_14default_configENS1_25partition_config_selectorILNS1_17partition_subalgoE6EiNS0_10empty_typeEbEEZZNS1_14partition_implILS5_6ELb0ES3_mN6thrust23THRUST_200600_302600_NS6detail15normal_iteratorINSA_10device_ptrIiEEEEPS6_SG_NS0_5tupleIJSF_S6_EEENSH_IJSG_SG_EEES6_PlJ6is_oddIiEEEE10hipError_tPvRmT3_T4_T5_T6_T7_T9_mT8_P12ihipStream_tbDpT10_ENKUlT_T0_E_clISt17integral_constantIbLb0EES15_IbLb1EEEEDaS11_S12_EUlS11_E_NS1_11comp_targetILNS1_3genE8ELNS1_11target_archE1030ELNS1_3gpuE2ELNS1_3repE0EEENS1_30default_config_static_selectorELNS0_4arch9wavefront6targetE0EEEvT1_.has_dyn_sized_stack, 0
	.set _ZN7rocprim17ROCPRIM_400000_NS6detail17trampoline_kernelINS0_14default_configENS1_25partition_config_selectorILNS1_17partition_subalgoE6EiNS0_10empty_typeEbEEZZNS1_14partition_implILS5_6ELb0ES3_mN6thrust23THRUST_200600_302600_NS6detail15normal_iteratorINSA_10device_ptrIiEEEEPS6_SG_NS0_5tupleIJSF_S6_EEENSH_IJSG_SG_EEES6_PlJ6is_oddIiEEEE10hipError_tPvRmT3_T4_T5_T6_T7_T9_mT8_P12ihipStream_tbDpT10_ENKUlT_T0_E_clISt17integral_constantIbLb0EES15_IbLb1EEEEDaS11_S12_EUlS11_E_NS1_11comp_targetILNS1_3genE8ELNS1_11target_archE1030ELNS1_3gpuE2ELNS1_3repE0EEENS1_30default_config_static_selectorELNS0_4arch9wavefront6targetE0EEEvT1_.has_recursion, 0
	.set _ZN7rocprim17ROCPRIM_400000_NS6detail17trampoline_kernelINS0_14default_configENS1_25partition_config_selectorILNS1_17partition_subalgoE6EiNS0_10empty_typeEbEEZZNS1_14partition_implILS5_6ELb0ES3_mN6thrust23THRUST_200600_302600_NS6detail15normal_iteratorINSA_10device_ptrIiEEEEPS6_SG_NS0_5tupleIJSF_S6_EEENSH_IJSG_SG_EEES6_PlJ6is_oddIiEEEE10hipError_tPvRmT3_T4_T5_T6_T7_T9_mT8_P12ihipStream_tbDpT10_ENKUlT_T0_E_clISt17integral_constantIbLb0EES15_IbLb1EEEEDaS11_S12_EUlS11_E_NS1_11comp_targetILNS1_3genE8ELNS1_11target_archE1030ELNS1_3gpuE2ELNS1_3repE0EEENS1_30default_config_static_selectorELNS0_4arch9wavefront6targetE0EEEvT1_.has_indirect_call, 0
	.section	.AMDGPU.csdata,"",@progbits
; Kernel info:
; codeLenInByte = 0
; TotalNumSgprs: 0
; NumVgprs: 0
; ScratchSize: 0
; MemoryBound: 0
; FloatMode: 240
; IeeeMode: 1
; LDSByteSize: 0 bytes/workgroup (compile time only)
; SGPRBlocks: 0
; VGPRBlocks: 0
; NumSGPRsForWavesPerEU: 1
; NumVGPRsForWavesPerEU: 1
; Occupancy: 16
; WaveLimiterHint : 0
; COMPUTE_PGM_RSRC2:SCRATCH_EN: 0
; COMPUTE_PGM_RSRC2:USER_SGPR: 2
; COMPUTE_PGM_RSRC2:TRAP_HANDLER: 0
; COMPUTE_PGM_RSRC2:TGID_X_EN: 1
; COMPUTE_PGM_RSRC2:TGID_Y_EN: 0
; COMPUTE_PGM_RSRC2:TGID_Z_EN: 0
; COMPUTE_PGM_RSRC2:TIDIG_COMP_CNT: 0
	.section	.text._ZN7rocprim17ROCPRIM_400000_NS6detail17trampoline_kernelINS0_14default_configENS1_22reduce_config_selectorIlEEZNS1_11reduce_implILb1ES3_PlS7_lN6thrust23THRUST_200600_302600_NS4plusIlEEEE10hipError_tPvRmT1_T2_T3_mT4_P12ihipStream_tbEUlT_E0_NS1_11comp_targetILNS1_3genE0ELNS1_11target_archE4294967295ELNS1_3gpuE0ELNS1_3repE0EEENS1_30default_config_static_selectorELNS0_4arch9wavefront6targetE0EEEvSF_,"axG",@progbits,_ZN7rocprim17ROCPRIM_400000_NS6detail17trampoline_kernelINS0_14default_configENS1_22reduce_config_selectorIlEEZNS1_11reduce_implILb1ES3_PlS7_lN6thrust23THRUST_200600_302600_NS4plusIlEEEE10hipError_tPvRmT1_T2_T3_mT4_P12ihipStream_tbEUlT_E0_NS1_11comp_targetILNS1_3genE0ELNS1_11target_archE4294967295ELNS1_3gpuE0ELNS1_3repE0EEENS1_30default_config_static_selectorELNS0_4arch9wavefront6targetE0EEEvSF_,comdat
	.protected	_ZN7rocprim17ROCPRIM_400000_NS6detail17trampoline_kernelINS0_14default_configENS1_22reduce_config_selectorIlEEZNS1_11reduce_implILb1ES3_PlS7_lN6thrust23THRUST_200600_302600_NS4plusIlEEEE10hipError_tPvRmT1_T2_T3_mT4_P12ihipStream_tbEUlT_E0_NS1_11comp_targetILNS1_3genE0ELNS1_11target_archE4294967295ELNS1_3gpuE0ELNS1_3repE0EEENS1_30default_config_static_selectorELNS0_4arch9wavefront6targetE0EEEvSF_ ; -- Begin function _ZN7rocprim17ROCPRIM_400000_NS6detail17trampoline_kernelINS0_14default_configENS1_22reduce_config_selectorIlEEZNS1_11reduce_implILb1ES3_PlS7_lN6thrust23THRUST_200600_302600_NS4plusIlEEEE10hipError_tPvRmT1_T2_T3_mT4_P12ihipStream_tbEUlT_E0_NS1_11comp_targetILNS1_3genE0ELNS1_11target_archE4294967295ELNS1_3gpuE0ELNS1_3repE0EEENS1_30default_config_static_selectorELNS0_4arch9wavefront6targetE0EEEvSF_
	.globl	_ZN7rocprim17ROCPRIM_400000_NS6detail17trampoline_kernelINS0_14default_configENS1_22reduce_config_selectorIlEEZNS1_11reduce_implILb1ES3_PlS7_lN6thrust23THRUST_200600_302600_NS4plusIlEEEE10hipError_tPvRmT1_T2_T3_mT4_P12ihipStream_tbEUlT_E0_NS1_11comp_targetILNS1_3genE0ELNS1_11target_archE4294967295ELNS1_3gpuE0ELNS1_3repE0EEENS1_30default_config_static_selectorELNS0_4arch9wavefront6targetE0EEEvSF_
	.p2align	8
	.type	_ZN7rocprim17ROCPRIM_400000_NS6detail17trampoline_kernelINS0_14default_configENS1_22reduce_config_selectorIlEEZNS1_11reduce_implILb1ES3_PlS7_lN6thrust23THRUST_200600_302600_NS4plusIlEEEE10hipError_tPvRmT1_T2_T3_mT4_P12ihipStream_tbEUlT_E0_NS1_11comp_targetILNS1_3genE0ELNS1_11target_archE4294967295ELNS1_3gpuE0ELNS1_3repE0EEENS1_30default_config_static_selectorELNS0_4arch9wavefront6targetE0EEEvSF_,@function
_ZN7rocprim17ROCPRIM_400000_NS6detail17trampoline_kernelINS0_14default_configENS1_22reduce_config_selectorIlEEZNS1_11reduce_implILb1ES3_PlS7_lN6thrust23THRUST_200600_302600_NS4plusIlEEEE10hipError_tPvRmT1_T2_T3_mT4_P12ihipStream_tbEUlT_E0_NS1_11comp_targetILNS1_3genE0ELNS1_11target_archE4294967295ELNS1_3gpuE0ELNS1_3repE0EEENS1_30default_config_static_selectorELNS0_4arch9wavefront6targetE0EEEvSF_: ; @_ZN7rocprim17ROCPRIM_400000_NS6detail17trampoline_kernelINS0_14default_configENS1_22reduce_config_selectorIlEEZNS1_11reduce_implILb1ES3_PlS7_lN6thrust23THRUST_200600_302600_NS4plusIlEEEE10hipError_tPvRmT1_T2_T3_mT4_P12ihipStream_tbEUlT_E0_NS1_11comp_targetILNS1_3genE0ELNS1_11target_archE4294967295ELNS1_3gpuE0ELNS1_3repE0EEENS1_30default_config_static_selectorELNS0_4arch9wavefront6targetE0EEEvSF_
; %bb.0:
	.section	.rodata,"a",@progbits
	.p2align	6, 0x0
	.amdhsa_kernel _ZN7rocprim17ROCPRIM_400000_NS6detail17trampoline_kernelINS0_14default_configENS1_22reduce_config_selectorIlEEZNS1_11reduce_implILb1ES3_PlS7_lN6thrust23THRUST_200600_302600_NS4plusIlEEEE10hipError_tPvRmT1_T2_T3_mT4_P12ihipStream_tbEUlT_E0_NS1_11comp_targetILNS1_3genE0ELNS1_11target_archE4294967295ELNS1_3gpuE0ELNS1_3repE0EEENS1_30default_config_static_selectorELNS0_4arch9wavefront6targetE0EEEvSF_
		.amdhsa_group_segment_fixed_size 0
		.amdhsa_private_segment_fixed_size 0
		.amdhsa_kernarg_size 64
		.amdhsa_user_sgpr_count 2
		.amdhsa_user_sgpr_dispatch_ptr 0
		.amdhsa_user_sgpr_queue_ptr 0
		.amdhsa_user_sgpr_kernarg_segment_ptr 1
		.amdhsa_user_sgpr_dispatch_id 0
		.amdhsa_user_sgpr_private_segment_size 0
		.amdhsa_wavefront_size32 1
		.amdhsa_uses_dynamic_stack 0
		.amdhsa_enable_private_segment 0
		.amdhsa_system_sgpr_workgroup_id_x 1
		.amdhsa_system_sgpr_workgroup_id_y 0
		.amdhsa_system_sgpr_workgroup_id_z 0
		.amdhsa_system_sgpr_workgroup_info 0
		.amdhsa_system_vgpr_workitem_id 0
		.amdhsa_next_free_vgpr 1
		.amdhsa_next_free_sgpr 1
		.amdhsa_reserve_vcc 0
		.amdhsa_float_round_mode_32 0
		.amdhsa_float_round_mode_16_64 0
		.amdhsa_float_denorm_mode_32 3
		.amdhsa_float_denorm_mode_16_64 3
		.amdhsa_fp16_overflow 0
		.amdhsa_workgroup_processor_mode 1
		.amdhsa_memory_ordered 1
		.amdhsa_forward_progress 1
		.amdhsa_inst_pref_size 0
		.amdhsa_round_robin_scheduling 0
		.amdhsa_exception_fp_ieee_invalid_op 0
		.amdhsa_exception_fp_denorm_src 0
		.amdhsa_exception_fp_ieee_div_zero 0
		.amdhsa_exception_fp_ieee_overflow 0
		.amdhsa_exception_fp_ieee_underflow 0
		.amdhsa_exception_fp_ieee_inexact 0
		.amdhsa_exception_int_div_zero 0
	.end_amdhsa_kernel
	.section	.text._ZN7rocprim17ROCPRIM_400000_NS6detail17trampoline_kernelINS0_14default_configENS1_22reduce_config_selectorIlEEZNS1_11reduce_implILb1ES3_PlS7_lN6thrust23THRUST_200600_302600_NS4plusIlEEEE10hipError_tPvRmT1_T2_T3_mT4_P12ihipStream_tbEUlT_E0_NS1_11comp_targetILNS1_3genE0ELNS1_11target_archE4294967295ELNS1_3gpuE0ELNS1_3repE0EEENS1_30default_config_static_selectorELNS0_4arch9wavefront6targetE0EEEvSF_,"axG",@progbits,_ZN7rocprim17ROCPRIM_400000_NS6detail17trampoline_kernelINS0_14default_configENS1_22reduce_config_selectorIlEEZNS1_11reduce_implILb1ES3_PlS7_lN6thrust23THRUST_200600_302600_NS4plusIlEEEE10hipError_tPvRmT1_T2_T3_mT4_P12ihipStream_tbEUlT_E0_NS1_11comp_targetILNS1_3genE0ELNS1_11target_archE4294967295ELNS1_3gpuE0ELNS1_3repE0EEENS1_30default_config_static_selectorELNS0_4arch9wavefront6targetE0EEEvSF_,comdat
.Lfunc_end47:
	.size	_ZN7rocprim17ROCPRIM_400000_NS6detail17trampoline_kernelINS0_14default_configENS1_22reduce_config_selectorIlEEZNS1_11reduce_implILb1ES3_PlS7_lN6thrust23THRUST_200600_302600_NS4plusIlEEEE10hipError_tPvRmT1_T2_T3_mT4_P12ihipStream_tbEUlT_E0_NS1_11comp_targetILNS1_3genE0ELNS1_11target_archE4294967295ELNS1_3gpuE0ELNS1_3repE0EEENS1_30default_config_static_selectorELNS0_4arch9wavefront6targetE0EEEvSF_, .Lfunc_end47-_ZN7rocprim17ROCPRIM_400000_NS6detail17trampoline_kernelINS0_14default_configENS1_22reduce_config_selectorIlEEZNS1_11reduce_implILb1ES3_PlS7_lN6thrust23THRUST_200600_302600_NS4plusIlEEEE10hipError_tPvRmT1_T2_T3_mT4_P12ihipStream_tbEUlT_E0_NS1_11comp_targetILNS1_3genE0ELNS1_11target_archE4294967295ELNS1_3gpuE0ELNS1_3repE0EEENS1_30default_config_static_selectorELNS0_4arch9wavefront6targetE0EEEvSF_
                                        ; -- End function
	.set _ZN7rocprim17ROCPRIM_400000_NS6detail17trampoline_kernelINS0_14default_configENS1_22reduce_config_selectorIlEEZNS1_11reduce_implILb1ES3_PlS7_lN6thrust23THRUST_200600_302600_NS4plusIlEEEE10hipError_tPvRmT1_T2_T3_mT4_P12ihipStream_tbEUlT_E0_NS1_11comp_targetILNS1_3genE0ELNS1_11target_archE4294967295ELNS1_3gpuE0ELNS1_3repE0EEENS1_30default_config_static_selectorELNS0_4arch9wavefront6targetE0EEEvSF_.num_vgpr, 0
	.set _ZN7rocprim17ROCPRIM_400000_NS6detail17trampoline_kernelINS0_14default_configENS1_22reduce_config_selectorIlEEZNS1_11reduce_implILb1ES3_PlS7_lN6thrust23THRUST_200600_302600_NS4plusIlEEEE10hipError_tPvRmT1_T2_T3_mT4_P12ihipStream_tbEUlT_E0_NS1_11comp_targetILNS1_3genE0ELNS1_11target_archE4294967295ELNS1_3gpuE0ELNS1_3repE0EEENS1_30default_config_static_selectorELNS0_4arch9wavefront6targetE0EEEvSF_.num_agpr, 0
	.set _ZN7rocprim17ROCPRIM_400000_NS6detail17trampoline_kernelINS0_14default_configENS1_22reduce_config_selectorIlEEZNS1_11reduce_implILb1ES3_PlS7_lN6thrust23THRUST_200600_302600_NS4plusIlEEEE10hipError_tPvRmT1_T2_T3_mT4_P12ihipStream_tbEUlT_E0_NS1_11comp_targetILNS1_3genE0ELNS1_11target_archE4294967295ELNS1_3gpuE0ELNS1_3repE0EEENS1_30default_config_static_selectorELNS0_4arch9wavefront6targetE0EEEvSF_.numbered_sgpr, 0
	.set _ZN7rocprim17ROCPRIM_400000_NS6detail17trampoline_kernelINS0_14default_configENS1_22reduce_config_selectorIlEEZNS1_11reduce_implILb1ES3_PlS7_lN6thrust23THRUST_200600_302600_NS4plusIlEEEE10hipError_tPvRmT1_T2_T3_mT4_P12ihipStream_tbEUlT_E0_NS1_11comp_targetILNS1_3genE0ELNS1_11target_archE4294967295ELNS1_3gpuE0ELNS1_3repE0EEENS1_30default_config_static_selectorELNS0_4arch9wavefront6targetE0EEEvSF_.num_named_barrier, 0
	.set _ZN7rocprim17ROCPRIM_400000_NS6detail17trampoline_kernelINS0_14default_configENS1_22reduce_config_selectorIlEEZNS1_11reduce_implILb1ES3_PlS7_lN6thrust23THRUST_200600_302600_NS4plusIlEEEE10hipError_tPvRmT1_T2_T3_mT4_P12ihipStream_tbEUlT_E0_NS1_11comp_targetILNS1_3genE0ELNS1_11target_archE4294967295ELNS1_3gpuE0ELNS1_3repE0EEENS1_30default_config_static_selectorELNS0_4arch9wavefront6targetE0EEEvSF_.private_seg_size, 0
	.set _ZN7rocprim17ROCPRIM_400000_NS6detail17trampoline_kernelINS0_14default_configENS1_22reduce_config_selectorIlEEZNS1_11reduce_implILb1ES3_PlS7_lN6thrust23THRUST_200600_302600_NS4plusIlEEEE10hipError_tPvRmT1_T2_T3_mT4_P12ihipStream_tbEUlT_E0_NS1_11comp_targetILNS1_3genE0ELNS1_11target_archE4294967295ELNS1_3gpuE0ELNS1_3repE0EEENS1_30default_config_static_selectorELNS0_4arch9wavefront6targetE0EEEvSF_.uses_vcc, 0
	.set _ZN7rocprim17ROCPRIM_400000_NS6detail17trampoline_kernelINS0_14default_configENS1_22reduce_config_selectorIlEEZNS1_11reduce_implILb1ES3_PlS7_lN6thrust23THRUST_200600_302600_NS4plusIlEEEE10hipError_tPvRmT1_T2_T3_mT4_P12ihipStream_tbEUlT_E0_NS1_11comp_targetILNS1_3genE0ELNS1_11target_archE4294967295ELNS1_3gpuE0ELNS1_3repE0EEENS1_30default_config_static_selectorELNS0_4arch9wavefront6targetE0EEEvSF_.uses_flat_scratch, 0
	.set _ZN7rocprim17ROCPRIM_400000_NS6detail17trampoline_kernelINS0_14default_configENS1_22reduce_config_selectorIlEEZNS1_11reduce_implILb1ES3_PlS7_lN6thrust23THRUST_200600_302600_NS4plusIlEEEE10hipError_tPvRmT1_T2_T3_mT4_P12ihipStream_tbEUlT_E0_NS1_11comp_targetILNS1_3genE0ELNS1_11target_archE4294967295ELNS1_3gpuE0ELNS1_3repE0EEENS1_30default_config_static_selectorELNS0_4arch9wavefront6targetE0EEEvSF_.has_dyn_sized_stack, 0
	.set _ZN7rocprim17ROCPRIM_400000_NS6detail17trampoline_kernelINS0_14default_configENS1_22reduce_config_selectorIlEEZNS1_11reduce_implILb1ES3_PlS7_lN6thrust23THRUST_200600_302600_NS4plusIlEEEE10hipError_tPvRmT1_T2_T3_mT4_P12ihipStream_tbEUlT_E0_NS1_11comp_targetILNS1_3genE0ELNS1_11target_archE4294967295ELNS1_3gpuE0ELNS1_3repE0EEENS1_30default_config_static_selectorELNS0_4arch9wavefront6targetE0EEEvSF_.has_recursion, 0
	.set _ZN7rocprim17ROCPRIM_400000_NS6detail17trampoline_kernelINS0_14default_configENS1_22reduce_config_selectorIlEEZNS1_11reduce_implILb1ES3_PlS7_lN6thrust23THRUST_200600_302600_NS4plusIlEEEE10hipError_tPvRmT1_T2_T3_mT4_P12ihipStream_tbEUlT_E0_NS1_11comp_targetILNS1_3genE0ELNS1_11target_archE4294967295ELNS1_3gpuE0ELNS1_3repE0EEENS1_30default_config_static_selectorELNS0_4arch9wavefront6targetE0EEEvSF_.has_indirect_call, 0
	.section	.AMDGPU.csdata,"",@progbits
; Kernel info:
; codeLenInByte = 0
; TotalNumSgprs: 0
; NumVgprs: 0
; ScratchSize: 0
; MemoryBound: 0
; FloatMode: 240
; IeeeMode: 1
; LDSByteSize: 0 bytes/workgroup (compile time only)
; SGPRBlocks: 0
; VGPRBlocks: 0
; NumSGPRsForWavesPerEU: 1
; NumVGPRsForWavesPerEU: 1
; Occupancy: 16
; WaveLimiterHint : 0
; COMPUTE_PGM_RSRC2:SCRATCH_EN: 0
; COMPUTE_PGM_RSRC2:USER_SGPR: 2
; COMPUTE_PGM_RSRC2:TRAP_HANDLER: 0
; COMPUTE_PGM_RSRC2:TGID_X_EN: 1
; COMPUTE_PGM_RSRC2:TGID_Y_EN: 0
; COMPUTE_PGM_RSRC2:TGID_Z_EN: 0
; COMPUTE_PGM_RSRC2:TIDIG_COMP_CNT: 0
	.section	.text._ZN7rocprim17ROCPRIM_400000_NS6detail17trampoline_kernelINS0_14default_configENS1_22reduce_config_selectorIlEEZNS1_11reduce_implILb1ES3_PlS7_lN6thrust23THRUST_200600_302600_NS4plusIlEEEE10hipError_tPvRmT1_T2_T3_mT4_P12ihipStream_tbEUlT_E0_NS1_11comp_targetILNS1_3genE5ELNS1_11target_archE942ELNS1_3gpuE9ELNS1_3repE0EEENS1_30default_config_static_selectorELNS0_4arch9wavefront6targetE0EEEvSF_,"axG",@progbits,_ZN7rocprim17ROCPRIM_400000_NS6detail17trampoline_kernelINS0_14default_configENS1_22reduce_config_selectorIlEEZNS1_11reduce_implILb1ES3_PlS7_lN6thrust23THRUST_200600_302600_NS4plusIlEEEE10hipError_tPvRmT1_T2_T3_mT4_P12ihipStream_tbEUlT_E0_NS1_11comp_targetILNS1_3genE5ELNS1_11target_archE942ELNS1_3gpuE9ELNS1_3repE0EEENS1_30default_config_static_selectorELNS0_4arch9wavefront6targetE0EEEvSF_,comdat
	.protected	_ZN7rocprim17ROCPRIM_400000_NS6detail17trampoline_kernelINS0_14default_configENS1_22reduce_config_selectorIlEEZNS1_11reduce_implILb1ES3_PlS7_lN6thrust23THRUST_200600_302600_NS4plusIlEEEE10hipError_tPvRmT1_T2_T3_mT4_P12ihipStream_tbEUlT_E0_NS1_11comp_targetILNS1_3genE5ELNS1_11target_archE942ELNS1_3gpuE9ELNS1_3repE0EEENS1_30default_config_static_selectorELNS0_4arch9wavefront6targetE0EEEvSF_ ; -- Begin function _ZN7rocprim17ROCPRIM_400000_NS6detail17trampoline_kernelINS0_14default_configENS1_22reduce_config_selectorIlEEZNS1_11reduce_implILb1ES3_PlS7_lN6thrust23THRUST_200600_302600_NS4plusIlEEEE10hipError_tPvRmT1_T2_T3_mT4_P12ihipStream_tbEUlT_E0_NS1_11comp_targetILNS1_3genE5ELNS1_11target_archE942ELNS1_3gpuE9ELNS1_3repE0EEENS1_30default_config_static_selectorELNS0_4arch9wavefront6targetE0EEEvSF_
	.globl	_ZN7rocprim17ROCPRIM_400000_NS6detail17trampoline_kernelINS0_14default_configENS1_22reduce_config_selectorIlEEZNS1_11reduce_implILb1ES3_PlS7_lN6thrust23THRUST_200600_302600_NS4plusIlEEEE10hipError_tPvRmT1_T2_T3_mT4_P12ihipStream_tbEUlT_E0_NS1_11comp_targetILNS1_3genE5ELNS1_11target_archE942ELNS1_3gpuE9ELNS1_3repE0EEENS1_30default_config_static_selectorELNS0_4arch9wavefront6targetE0EEEvSF_
	.p2align	8
	.type	_ZN7rocprim17ROCPRIM_400000_NS6detail17trampoline_kernelINS0_14default_configENS1_22reduce_config_selectorIlEEZNS1_11reduce_implILb1ES3_PlS7_lN6thrust23THRUST_200600_302600_NS4plusIlEEEE10hipError_tPvRmT1_T2_T3_mT4_P12ihipStream_tbEUlT_E0_NS1_11comp_targetILNS1_3genE5ELNS1_11target_archE942ELNS1_3gpuE9ELNS1_3repE0EEENS1_30default_config_static_selectorELNS0_4arch9wavefront6targetE0EEEvSF_,@function
_ZN7rocprim17ROCPRIM_400000_NS6detail17trampoline_kernelINS0_14default_configENS1_22reduce_config_selectorIlEEZNS1_11reduce_implILb1ES3_PlS7_lN6thrust23THRUST_200600_302600_NS4plusIlEEEE10hipError_tPvRmT1_T2_T3_mT4_P12ihipStream_tbEUlT_E0_NS1_11comp_targetILNS1_3genE5ELNS1_11target_archE942ELNS1_3gpuE9ELNS1_3repE0EEENS1_30default_config_static_selectorELNS0_4arch9wavefront6targetE0EEEvSF_: ; @_ZN7rocprim17ROCPRIM_400000_NS6detail17trampoline_kernelINS0_14default_configENS1_22reduce_config_selectorIlEEZNS1_11reduce_implILb1ES3_PlS7_lN6thrust23THRUST_200600_302600_NS4plusIlEEEE10hipError_tPvRmT1_T2_T3_mT4_P12ihipStream_tbEUlT_E0_NS1_11comp_targetILNS1_3genE5ELNS1_11target_archE942ELNS1_3gpuE9ELNS1_3repE0EEENS1_30default_config_static_selectorELNS0_4arch9wavefront6targetE0EEEvSF_
; %bb.0:
	.section	.rodata,"a",@progbits
	.p2align	6, 0x0
	.amdhsa_kernel _ZN7rocprim17ROCPRIM_400000_NS6detail17trampoline_kernelINS0_14default_configENS1_22reduce_config_selectorIlEEZNS1_11reduce_implILb1ES3_PlS7_lN6thrust23THRUST_200600_302600_NS4plusIlEEEE10hipError_tPvRmT1_T2_T3_mT4_P12ihipStream_tbEUlT_E0_NS1_11comp_targetILNS1_3genE5ELNS1_11target_archE942ELNS1_3gpuE9ELNS1_3repE0EEENS1_30default_config_static_selectorELNS0_4arch9wavefront6targetE0EEEvSF_
		.amdhsa_group_segment_fixed_size 0
		.amdhsa_private_segment_fixed_size 0
		.amdhsa_kernarg_size 64
		.amdhsa_user_sgpr_count 2
		.amdhsa_user_sgpr_dispatch_ptr 0
		.amdhsa_user_sgpr_queue_ptr 0
		.amdhsa_user_sgpr_kernarg_segment_ptr 1
		.amdhsa_user_sgpr_dispatch_id 0
		.amdhsa_user_sgpr_private_segment_size 0
		.amdhsa_wavefront_size32 1
		.amdhsa_uses_dynamic_stack 0
		.amdhsa_enable_private_segment 0
		.amdhsa_system_sgpr_workgroup_id_x 1
		.amdhsa_system_sgpr_workgroup_id_y 0
		.amdhsa_system_sgpr_workgroup_id_z 0
		.amdhsa_system_sgpr_workgroup_info 0
		.amdhsa_system_vgpr_workitem_id 0
		.amdhsa_next_free_vgpr 1
		.amdhsa_next_free_sgpr 1
		.amdhsa_reserve_vcc 0
		.amdhsa_float_round_mode_32 0
		.amdhsa_float_round_mode_16_64 0
		.amdhsa_float_denorm_mode_32 3
		.amdhsa_float_denorm_mode_16_64 3
		.amdhsa_fp16_overflow 0
		.amdhsa_workgroup_processor_mode 1
		.amdhsa_memory_ordered 1
		.amdhsa_forward_progress 1
		.amdhsa_inst_pref_size 0
		.amdhsa_round_robin_scheduling 0
		.amdhsa_exception_fp_ieee_invalid_op 0
		.amdhsa_exception_fp_denorm_src 0
		.amdhsa_exception_fp_ieee_div_zero 0
		.amdhsa_exception_fp_ieee_overflow 0
		.amdhsa_exception_fp_ieee_underflow 0
		.amdhsa_exception_fp_ieee_inexact 0
		.amdhsa_exception_int_div_zero 0
	.end_amdhsa_kernel
	.section	.text._ZN7rocprim17ROCPRIM_400000_NS6detail17trampoline_kernelINS0_14default_configENS1_22reduce_config_selectorIlEEZNS1_11reduce_implILb1ES3_PlS7_lN6thrust23THRUST_200600_302600_NS4plusIlEEEE10hipError_tPvRmT1_T2_T3_mT4_P12ihipStream_tbEUlT_E0_NS1_11comp_targetILNS1_3genE5ELNS1_11target_archE942ELNS1_3gpuE9ELNS1_3repE0EEENS1_30default_config_static_selectorELNS0_4arch9wavefront6targetE0EEEvSF_,"axG",@progbits,_ZN7rocprim17ROCPRIM_400000_NS6detail17trampoline_kernelINS0_14default_configENS1_22reduce_config_selectorIlEEZNS1_11reduce_implILb1ES3_PlS7_lN6thrust23THRUST_200600_302600_NS4plusIlEEEE10hipError_tPvRmT1_T2_T3_mT4_P12ihipStream_tbEUlT_E0_NS1_11comp_targetILNS1_3genE5ELNS1_11target_archE942ELNS1_3gpuE9ELNS1_3repE0EEENS1_30default_config_static_selectorELNS0_4arch9wavefront6targetE0EEEvSF_,comdat
.Lfunc_end48:
	.size	_ZN7rocprim17ROCPRIM_400000_NS6detail17trampoline_kernelINS0_14default_configENS1_22reduce_config_selectorIlEEZNS1_11reduce_implILb1ES3_PlS7_lN6thrust23THRUST_200600_302600_NS4plusIlEEEE10hipError_tPvRmT1_T2_T3_mT4_P12ihipStream_tbEUlT_E0_NS1_11comp_targetILNS1_3genE5ELNS1_11target_archE942ELNS1_3gpuE9ELNS1_3repE0EEENS1_30default_config_static_selectorELNS0_4arch9wavefront6targetE0EEEvSF_, .Lfunc_end48-_ZN7rocprim17ROCPRIM_400000_NS6detail17trampoline_kernelINS0_14default_configENS1_22reduce_config_selectorIlEEZNS1_11reduce_implILb1ES3_PlS7_lN6thrust23THRUST_200600_302600_NS4plusIlEEEE10hipError_tPvRmT1_T2_T3_mT4_P12ihipStream_tbEUlT_E0_NS1_11comp_targetILNS1_3genE5ELNS1_11target_archE942ELNS1_3gpuE9ELNS1_3repE0EEENS1_30default_config_static_selectorELNS0_4arch9wavefront6targetE0EEEvSF_
                                        ; -- End function
	.set _ZN7rocprim17ROCPRIM_400000_NS6detail17trampoline_kernelINS0_14default_configENS1_22reduce_config_selectorIlEEZNS1_11reduce_implILb1ES3_PlS7_lN6thrust23THRUST_200600_302600_NS4plusIlEEEE10hipError_tPvRmT1_T2_T3_mT4_P12ihipStream_tbEUlT_E0_NS1_11comp_targetILNS1_3genE5ELNS1_11target_archE942ELNS1_3gpuE9ELNS1_3repE0EEENS1_30default_config_static_selectorELNS0_4arch9wavefront6targetE0EEEvSF_.num_vgpr, 0
	.set _ZN7rocprim17ROCPRIM_400000_NS6detail17trampoline_kernelINS0_14default_configENS1_22reduce_config_selectorIlEEZNS1_11reduce_implILb1ES3_PlS7_lN6thrust23THRUST_200600_302600_NS4plusIlEEEE10hipError_tPvRmT1_T2_T3_mT4_P12ihipStream_tbEUlT_E0_NS1_11comp_targetILNS1_3genE5ELNS1_11target_archE942ELNS1_3gpuE9ELNS1_3repE0EEENS1_30default_config_static_selectorELNS0_4arch9wavefront6targetE0EEEvSF_.num_agpr, 0
	.set _ZN7rocprim17ROCPRIM_400000_NS6detail17trampoline_kernelINS0_14default_configENS1_22reduce_config_selectorIlEEZNS1_11reduce_implILb1ES3_PlS7_lN6thrust23THRUST_200600_302600_NS4plusIlEEEE10hipError_tPvRmT1_T2_T3_mT4_P12ihipStream_tbEUlT_E0_NS1_11comp_targetILNS1_3genE5ELNS1_11target_archE942ELNS1_3gpuE9ELNS1_3repE0EEENS1_30default_config_static_selectorELNS0_4arch9wavefront6targetE0EEEvSF_.numbered_sgpr, 0
	.set _ZN7rocprim17ROCPRIM_400000_NS6detail17trampoline_kernelINS0_14default_configENS1_22reduce_config_selectorIlEEZNS1_11reduce_implILb1ES3_PlS7_lN6thrust23THRUST_200600_302600_NS4plusIlEEEE10hipError_tPvRmT1_T2_T3_mT4_P12ihipStream_tbEUlT_E0_NS1_11comp_targetILNS1_3genE5ELNS1_11target_archE942ELNS1_3gpuE9ELNS1_3repE0EEENS1_30default_config_static_selectorELNS0_4arch9wavefront6targetE0EEEvSF_.num_named_barrier, 0
	.set _ZN7rocprim17ROCPRIM_400000_NS6detail17trampoline_kernelINS0_14default_configENS1_22reduce_config_selectorIlEEZNS1_11reduce_implILb1ES3_PlS7_lN6thrust23THRUST_200600_302600_NS4plusIlEEEE10hipError_tPvRmT1_T2_T3_mT4_P12ihipStream_tbEUlT_E0_NS1_11comp_targetILNS1_3genE5ELNS1_11target_archE942ELNS1_3gpuE9ELNS1_3repE0EEENS1_30default_config_static_selectorELNS0_4arch9wavefront6targetE0EEEvSF_.private_seg_size, 0
	.set _ZN7rocprim17ROCPRIM_400000_NS6detail17trampoline_kernelINS0_14default_configENS1_22reduce_config_selectorIlEEZNS1_11reduce_implILb1ES3_PlS7_lN6thrust23THRUST_200600_302600_NS4plusIlEEEE10hipError_tPvRmT1_T2_T3_mT4_P12ihipStream_tbEUlT_E0_NS1_11comp_targetILNS1_3genE5ELNS1_11target_archE942ELNS1_3gpuE9ELNS1_3repE0EEENS1_30default_config_static_selectorELNS0_4arch9wavefront6targetE0EEEvSF_.uses_vcc, 0
	.set _ZN7rocprim17ROCPRIM_400000_NS6detail17trampoline_kernelINS0_14default_configENS1_22reduce_config_selectorIlEEZNS1_11reduce_implILb1ES3_PlS7_lN6thrust23THRUST_200600_302600_NS4plusIlEEEE10hipError_tPvRmT1_T2_T3_mT4_P12ihipStream_tbEUlT_E0_NS1_11comp_targetILNS1_3genE5ELNS1_11target_archE942ELNS1_3gpuE9ELNS1_3repE0EEENS1_30default_config_static_selectorELNS0_4arch9wavefront6targetE0EEEvSF_.uses_flat_scratch, 0
	.set _ZN7rocprim17ROCPRIM_400000_NS6detail17trampoline_kernelINS0_14default_configENS1_22reduce_config_selectorIlEEZNS1_11reduce_implILb1ES3_PlS7_lN6thrust23THRUST_200600_302600_NS4plusIlEEEE10hipError_tPvRmT1_T2_T3_mT4_P12ihipStream_tbEUlT_E0_NS1_11comp_targetILNS1_3genE5ELNS1_11target_archE942ELNS1_3gpuE9ELNS1_3repE0EEENS1_30default_config_static_selectorELNS0_4arch9wavefront6targetE0EEEvSF_.has_dyn_sized_stack, 0
	.set _ZN7rocprim17ROCPRIM_400000_NS6detail17trampoline_kernelINS0_14default_configENS1_22reduce_config_selectorIlEEZNS1_11reduce_implILb1ES3_PlS7_lN6thrust23THRUST_200600_302600_NS4plusIlEEEE10hipError_tPvRmT1_T2_T3_mT4_P12ihipStream_tbEUlT_E0_NS1_11comp_targetILNS1_3genE5ELNS1_11target_archE942ELNS1_3gpuE9ELNS1_3repE0EEENS1_30default_config_static_selectorELNS0_4arch9wavefront6targetE0EEEvSF_.has_recursion, 0
	.set _ZN7rocprim17ROCPRIM_400000_NS6detail17trampoline_kernelINS0_14default_configENS1_22reduce_config_selectorIlEEZNS1_11reduce_implILb1ES3_PlS7_lN6thrust23THRUST_200600_302600_NS4plusIlEEEE10hipError_tPvRmT1_T2_T3_mT4_P12ihipStream_tbEUlT_E0_NS1_11comp_targetILNS1_3genE5ELNS1_11target_archE942ELNS1_3gpuE9ELNS1_3repE0EEENS1_30default_config_static_selectorELNS0_4arch9wavefront6targetE0EEEvSF_.has_indirect_call, 0
	.section	.AMDGPU.csdata,"",@progbits
; Kernel info:
; codeLenInByte = 0
; TotalNumSgprs: 0
; NumVgprs: 0
; ScratchSize: 0
; MemoryBound: 0
; FloatMode: 240
; IeeeMode: 1
; LDSByteSize: 0 bytes/workgroup (compile time only)
; SGPRBlocks: 0
; VGPRBlocks: 0
; NumSGPRsForWavesPerEU: 1
; NumVGPRsForWavesPerEU: 1
; Occupancy: 16
; WaveLimiterHint : 0
; COMPUTE_PGM_RSRC2:SCRATCH_EN: 0
; COMPUTE_PGM_RSRC2:USER_SGPR: 2
; COMPUTE_PGM_RSRC2:TRAP_HANDLER: 0
; COMPUTE_PGM_RSRC2:TGID_X_EN: 1
; COMPUTE_PGM_RSRC2:TGID_Y_EN: 0
; COMPUTE_PGM_RSRC2:TGID_Z_EN: 0
; COMPUTE_PGM_RSRC2:TIDIG_COMP_CNT: 0
	.section	.text._ZN7rocprim17ROCPRIM_400000_NS6detail17trampoline_kernelINS0_14default_configENS1_22reduce_config_selectorIlEEZNS1_11reduce_implILb1ES3_PlS7_lN6thrust23THRUST_200600_302600_NS4plusIlEEEE10hipError_tPvRmT1_T2_T3_mT4_P12ihipStream_tbEUlT_E0_NS1_11comp_targetILNS1_3genE4ELNS1_11target_archE910ELNS1_3gpuE8ELNS1_3repE0EEENS1_30default_config_static_selectorELNS0_4arch9wavefront6targetE0EEEvSF_,"axG",@progbits,_ZN7rocprim17ROCPRIM_400000_NS6detail17trampoline_kernelINS0_14default_configENS1_22reduce_config_selectorIlEEZNS1_11reduce_implILb1ES3_PlS7_lN6thrust23THRUST_200600_302600_NS4plusIlEEEE10hipError_tPvRmT1_T2_T3_mT4_P12ihipStream_tbEUlT_E0_NS1_11comp_targetILNS1_3genE4ELNS1_11target_archE910ELNS1_3gpuE8ELNS1_3repE0EEENS1_30default_config_static_selectorELNS0_4arch9wavefront6targetE0EEEvSF_,comdat
	.protected	_ZN7rocprim17ROCPRIM_400000_NS6detail17trampoline_kernelINS0_14default_configENS1_22reduce_config_selectorIlEEZNS1_11reduce_implILb1ES3_PlS7_lN6thrust23THRUST_200600_302600_NS4plusIlEEEE10hipError_tPvRmT1_T2_T3_mT4_P12ihipStream_tbEUlT_E0_NS1_11comp_targetILNS1_3genE4ELNS1_11target_archE910ELNS1_3gpuE8ELNS1_3repE0EEENS1_30default_config_static_selectorELNS0_4arch9wavefront6targetE0EEEvSF_ ; -- Begin function _ZN7rocprim17ROCPRIM_400000_NS6detail17trampoline_kernelINS0_14default_configENS1_22reduce_config_selectorIlEEZNS1_11reduce_implILb1ES3_PlS7_lN6thrust23THRUST_200600_302600_NS4plusIlEEEE10hipError_tPvRmT1_T2_T3_mT4_P12ihipStream_tbEUlT_E0_NS1_11comp_targetILNS1_3genE4ELNS1_11target_archE910ELNS1_3gpuE8ELNS1_3repE0EEENS1_30default_config_static_selectorELNS0_4arch9wavefront6targetE0EEEvSF_
	.globl	_ZN7rocprim17ROCPRIM_400000_NS6detail17trampoline_kernelINS0_14default_configENS1_22reduce_config_selectorIlEEZNS1_11reduce_implILb1ES3_PlS7_lN6thrust23THRUST_200600_302600_NS4plusIlEEEE10hipError_tPvRmT1_T2_T3_mT4_P12ihipStream_tbEUlT_E0_NS1_11comp_targetILNS1_3genE4ELNS1_11target_archE910ELNS1_3gpuE8ELNS1_3repE0EEENS1_30default_config_static_selectorELNS0_4arch9wavefront6targetE0EEEvSF_
	.p2align	8
	.type	_ZN7rocprim17ROCPRIM_400000_NS6detail17trampoline_kernelINS0_14default_configENS1_22reduce_config_selectorIlEEZNS1_11reduce_implILb1ES3_PlS7_lN6thrust23THRUST_200600_302600_NS4plusIlEEEE10hipError_tPvRmT1_T2_T3_mT4_P12ihipStream_tbEUlT_E0_NS1_11comp_targetILNS1_3genE4ELNS1_11target_archE910ELNS1_3gpuE8ELNS1_3repE0EEENS1_30default_config_static_selectorELNS0_4arch9wavefront6targetE0EEEvSF_,@function
_ZN7rocprim17ROCPRIM_400000_NS6detail17trampoline_kernelINS0_14default_configENS1_22reduce_config_selectorIlEEZNS1_11reduce_implILb1ES3_PlS7_lN6thrust23THRUST_200600_302600_NS4plusIlEEEE10hipError_tPvRmT1_T2_T3_mT4_P12ihipStream_tbEUlT_E0_NS1_11comp_targetILNS1_3genE4ELNS1_11target_archE910ELNS1_3gpuE8ELNS1_3repE0EEENS1_30default_config_static_selectorELNS0_4arch9wavefront6targetE0EEEvSF_: ; @_ZN7rocprim17ROCPRIM_400000_NS6detail17trampoline_kernelINS0_14default_configENS1_22reduce_config_selectorIlEEZNS1_11reduce_implILb1ES3_PlS7_lN6thrust23THRUST_200600_302600_NS4plusIlEEEE10hipError_tPvRmT1_T2_T3_mT4_P12ihipStream_tbEUlT_E0_NS1_11comp_targetILNS1_3genE4ELNS1_11target_archE910ELNS1_3gpuE8ELNS1_3repE0EEENS1_30default_config_static_selectorELNS0_4arch9wavefront6targetE0EEEvSF_
; %bb.0:
	.section	.rodata,"a",@progbits
	.p2align	6, 0x0
	.amdhsa_kernel _ZN7rocprim17ROCPRIM_400000_NS6detail17trampoline_kernelINS0_14default_configENS1_22reduce_config_selectorIlEEZNS1_11reduce_implILb1ES3_PlS7_lN6thrust23THRUST_200600_302600_NS4plusIlEEEE10hipError_tPvRmT1_T2_T3_mT4_P12ihipStream_tbEUlT_E0_NS1_11comp_targetILNS1_3genE4ELNS1_11target_archE910ELNS1_3gpuE8ELNS1_3repE0EEENS1_30default_config_static_selectorELNS0_4arch9wavefront6targetE0EEEvSF_
		.amdhsa_group_segment_fixed_size 0
		.amdhsa_private_segment_fixed_size 0
		.amdhsa_kernarg_size 64
		.amdhsa_user_sgpr_count 2
		.amdhsa_user_sgpr_dispatch_ptr 0
		.amdhsa_user_sgpr_queue_ptr 0
		.amdhsa_user_sgpr_kernarg_segment_ptr 1
		.amdhsa_user_sgpr_dispatch_id 0
		.amdhsa_user_sgpr_private_segment_size 0
		.amdhsa_wavefront_size32 1
		.amdhsa_uses_dynamic_stack 0
		.amdhsa_enable_private_segment 0
		.amdhsa_system_sgpr_workgroup_id_x 1
		.amdhsa_system_sgpr_workgroup_id_y 0
		.amdhsa_system_sgpr_workgroup_id_z 0
		.amdhsa_system_sgpr_workgroup_info 0
		.amdhsa_system_vgpr_workitem_id 0
		.amdhsa_next_free_vgpr 1
		.amdhsa_next_free_sgpr 1
		.amdhsa_reserve_vcc 0
		.amdhsa_float_round_mode_32 0
		.amdhsa_float_round_mode_16_64 0
		.amdhsa_float_denorm_mode_32 3
		.amdhsa_float_denorm_mode_16_64 3
		.amdhsa_fp16_overflow 0
		.amdhsa_workgroup_processor_mode 1
		.amdhsa_memory_ordered 1
		.amdhsa_forward_progress 1
		.amdhsa_inst_pref_size 0
		.amdhsa_round_robin_scheduling 0
		.amdhsa_exception_fp_ieee_invalid_op 0
		.amdhsa_exception_fp_denorm_src 0
		.amdhsa_exception_fp_ieee_div_zero 0
		.amdhsa_exception_fp_ieee_overflow 0
		.amdhsa_exception_fp_ieee_underflow 0
		.amdhsa_exception_fp_ieee_inexact 0
		.amdhsa_exception_int_div_zero 0
	.end_amdhsa_kernel
	.section	.text._ZN7rocprim17ROCPRIM_400000_NS6detail17trampoline_kernelINS0_14default_configENS1_22reduce_config_selectorIlEEZNS1_11reduce_implILb1ES3_PlS7_lN6thrust23THRUST_200600_302600_NS4plusIlEEEE10hipError_tPvRmT1_T2_T3_mT4_P12ihipStream_tbEUlT_E0_NS1_11comp_targetILNS1_3genE4ELNS1_11target_archE910ELNS1_3gpuE8ELNS1_3repE0EEENS1_30default_config_static_selectorELNS0_4arch9wavefront6targetE0EEEvSF_,"axG",@progbits,_ZN7rocprim17ROCPRIM_400000_NS6detail17trampoline_kernelINS0_14default_configENS1_22reduce_config_selectorIlEEZNS1_11reduce_implILb1ES3_PlS7_lN6thrust23THRUST_200600_302600_NS4plusIlEEEE10hipError_tPvRmT1_T2_T3_mT4_P12ihipStream_tbEUlT_E0_NS1_11comp_targetILNS1_3genE4ELNS1_11target_archE910ELNS1_3gpuE8ELNS1_3repE0EEENS1_30default_config_static_selectorELNS0_4arch9wavefront6targetE0EEEvSF_,comdat
.Lfunc_end49:
	.size	_ZN7rocprim17ROCPRIM_400000_NS6detail17trampoline_kernelINS0_14default_configENS1_22reduce_config_selectorIlEEZNS1_11reduce_implILb1ES3_PlS7_lN6thrust23THRUST_200600_302600_NS4plusIlEEEE10hipError_tPvRmT1_T2_T3_mT4_P12ihipStream_tbEUlT_E0_NS1_11comp_targetILNS1_3genE4ELNS1_11target_archE910ELNS1_3gpuE8ELNS1_3repE0EEENS1_30default_config_static_selectorELNS0_4arch9wavefront6targetE0EEEvSF_, .Lfunc_end49-_ZN7rocprim17ROCPRIM_400000_NS6detail17trampoline_kernelINS0_14default_configENS1_22reduce_config_selectorIlEEZNS1_11reduce_implILb1ES3_PlS7_lN6thrust23THRUST_200600_302600_NS4plusIlEEEE10hipError_tPvRmT1_T2_T3_mT4_P12ihipStream_tbEUlT_E0_NS1_11comp_targetILNS1_3genE4ELNS1_11target_archE910ELNS1_3gpuE8ELNS1_3repE0EEENS1_30default_config_static_selectorELNS0_4arch9wavefront6targetE0EEEvSF_
                                        ; -- End function
	.set _ZN7rocprim17ROCPRIM_400000_NS6detail17trampoline_kernelINS0_14default_configENS1_22reduce_config_selectorIlEEZNS1_11reduce_implILb1ES3_PlS7_lN6thrust23THRUST_200600_302600_NS4plusIlEEEE10hipError_tPvRmT1_T2_T3_mT4_P12ihipStream_tbEUlT_E0_NS1_11comp_targetILNS1_3genE4ELNS1_11target_archE910ELNS1_3gpuE8ELNS1_3repE0EEENS1_30default_config_static_selectorELNS0_4arch9wavefront6targetE0EEEvSF_.num_vgpr, 0
	.set _ZN7rocprim17ROCPRIM_400000_NS6detail17trampoline_kernelINS0_14default_configENS1_22reduce_config_selectorIlEEZNS1_11reduce_implILb1ES3_PlS7_lN6thrust23THRUST_200600_302600_NS4plusIlEEEE10hipError_tPvRmT1_T2_T3_mT4_P12ihipStream_tbEUlT_E0_NS1_11comp_targetILNS1_3genE4ELNS1_11target_archE910ELNS1_3gpuE8ELNS1_3repE0EEENS1_30default_config_static_selectorELNS0_4arch9wavefront6targetE0EEEvSF_.num_agpr, 0
	.set _ZN7rocprim17ROCPRIM_400000_NS6detail17trampoline_kernelINS0_14default_configENS1_22reduce_config_selectorIlEEZNS1_11reduce_implILb1ES3_PlS7_lN6thrust23THRUST_200600_302600_NS4plusIlEEEE10hipError_tPvRmT1_T2_T3_mT4_P12ihipStream_tbEUlT_E0_NS1_11comp_targetILNS1_3genE4ELNS1_11target_archE910ELNS1_3gpuE8ELNS1_3repE0EEENS1_30default_config_static_selectorELNS0_4arch9wavefront6targetE0EEEvSF_.numbered_sgpr, 0
	.set _ZN7rocprim17ROCPRIM_400000_NS6detail17trampoline_kernelINS0_14default_configENS1_22reduce_config_selectorIlEEZNS1_11reduce_implILb1ES3_PlS7_lN6thrust23THRUST_200600_302600_NS4plusIlEEEE10hipError_tPvRmT1_T2_T3_mT4_P12ihipStream_tbEUlT_E0_NS1_11comp_targetILNS1_3genE4ELNS1_11target_archE910ELNS1_3gpuE8ELNS1_3repE0EEENS1_30default_config_static_selectorELNS0_4arch9wavefront6targetE0EEEvSF_.num_named_barrier, 0
	.set _ZN7rocprim17ROCPRIM_400000_NS6detail17trampoline_kernelINS0_14default_configENS1_22reduce_config_selectorIlEEZNS1_11reduce_implILb1ES3_PlS7_lN6thrust23THRUST_200600_302600_NS4plusIlEEEE10hipError_tPvRmT1_T2_T3_mT4_P12ihipStream_tbEUlT_E0_NS1_11comp_targetILNS1_3genE4ELNS1_11target_archE910ELNS1_3gpuE8ELNS1_3repE0EEENS1_30default_config_static_selectorELNS0_4arch9wavefront6targetE0EEEvSF_.private_seg_size, 0
	.set _ZN7rocprim17ROCPRIM_400000_NS6detail17trampoline_kernelINS0_14default_configENS1_22reduce_config_selectorIlEEZNS1_11reduce_implILb1ES3_PlS7_lN6thrust23THRUST_200600_302600_NS4plusIlEEEE10hipError_tPvRmT1_T2_T3_mT4_P12ihipStream_tbEUlT_E0_NS1_11comp_targetILNS1_3genE4ELNS1_11target_archE910ELNS1_3gpuE8ELNS1_3repE0EEENS1_30default_config_static_selectorELNS0_4arch9wavefront6targetE0EEEvSF_.uses_vcc, 0
	.set _ZN7rocprim17ROCPRIM_400000_NS6detail17trampoline_kernelINS0_14default_configENS1_22reduce_config_selectorIlEEZNS1_11reduce_implILb1ES3_PlS7_lN6thrust23THRUST_200600_302600_NS4plusIlEEEE10hipError_tPvRmT1_T2_T3_mT4_P12ihipStream_tbEUlT_E0_NS1_11comp_targetILNS1_3genE4ELNS1_11target_archE910ELNS1_3gpuE8ELNS1_3repE0EEENS1_30default_config_static_selectorELNS0_4arch9wavefront6targetE0EEEvSF_.uses_flat_scratch, 0
	.set _ZN7rocprim17ROCPRIM_400000_NS6detail17trampoline_kernelINS0_14default_configENS1_22reduce_config_selectorIlEEZNS1_11reduce_implILb1ES3_PlS7_lN6thrust23THRUST_200600_302600_NS4plusIlEEEE10hipError_tPvRmT1_T2_T3_mT4_P12ihipStream_tbEUlT_E0_NS1_11comp_targetILNS1_3genE4ELNS1_11target_archE910ELNS1_3gpuE8ELNS1_3repE0EEENS1_30default_config_static_selectorELNS0_4arch9wavefront6targetE0EEEvSF_.has_dyn_sized_stack, 0
	.set _ZN7rocprim17ROCPRIM_400000_NS6detail17trampoline_kernelINS0_14default_configENS1_22reduce_config_selectorIlEEZNS1_11reduce_implILb1ES3_PlS7_lN6thrust23THRUST_200600_302600_NS4plusIlEEEE10hipError_tPvRmT1_T2_T3_mT4_P12ihipStream_tbEUlT_E0_NS1_11comp_targetILNS1_3genE4ELNS1_11target_archE910ELNS1_3gpuE8ELNS1_3repE0EEENS1_30default_config_static_selectorELNS0_4arch9wavefront6targetE0EEEvSF_.has_recursion, 0
	.set _ZN7rocprim17ROCPRIM_400000_NS6detail17trampoline_kernelINS0_14default_configENS1_22reduce_config_selectorIlEEZNS1_11reduce_implILb1ES3_PlS7_lN6thrust23THRUST_200600_302600_NS4plusIlEEEE10hipError_tPvRmT1_T2_T3_mT4_P12ihipStream_tbEUlT_E0_NS1_11comp_targetILNS1_3genE4ELNS1_11target_archE910ELNS1_3gpuE8ELNS1_3repE0EEENS1_30default_config_static_selectorELNS0_4arch9wavefront6targetE0EEEvSF_.has_indirect_call, 0
	.section	.AMDGPU.csdata,"",@progbits
; Kernel info:
; codeLenInByte = 0
; TotalNumSgprs: 0
; NumVgprs: 0
; ScratchSize: 0
; MemoryBound: 0
; FloatMode: 240
; IeeeMode: 1
; LDSByteSize: 0 bytes/workgroup (compile time only)
; SGPRBlocks: 0
; VGPRBlocks: 0
; NumSGPRsForWavesPerEU: 1
; NumVGPRsForWavesPerEU: 1
; Occupancy: 16
; WaveLimiterHint : 0
; COMPUTE_PGM_RSRC2:SCRATCH_EN: 0
; COMPUTE_PGM_RSRC2:USER_SGPR: 2
; COMPUTE_PGM_RSRC2:TRAP_HANDLER: 0
; COMPUTE_PGM_RSRC2:TGID_X_EN: 1
; COMPUTE_PGM_RSRC2:TGID_Y_EN: 0
; COMPUTE_PGM_RSRC2:TGID_Z_EN: 0
; COMPUTE_PGM_RSRC2:TIDIG_COMP_CNT: 0
	.section	.text._ZN7rocprim17ROCPRIM_400000_NS6detail17trampoline_kernelINS0_14default_configENS1_22reduce_config_selectorIlEEZNS1_11reduce_implILb1ES3_PlS7_lN6thrust23THRUST_200600_302600_NS4plusIlEEEE10hipError_tPvRmT1_T2_T3_mT4_P12ihipStream_tbEUlT_E0_NS1_11comp_targetILNS1_3genE3ELNS1_11target_archE908ELNS1_3gpuE7ELNS1_3repE0EEENS1_30default_config_static_selectorELNS0_4arch9wavefront6targetE0EEEvSF_,"axG",@progbits,_ZN7rocprim17ROCPRIM_400000_NS6detail17trampoline_kernelINS0_14default_configENS1_22reduce_config_selectorIlEEZNS1_11reduce_implILb1ES3_PlS7_lN6thrust23THRUST_200600_302600_NS4plusIlEEEE10hipError_tPvRmT1_T2_T3_mT4_P12ihipStream_tbEUlT_E0_NS1_11comp_targetILNS1_3genE3ELNS1_11target_archE908ELNS1_3gpuE7ELNS1_3repE0EEENS1_30default_config_static_selectorELNS0_4arch9wavefront6targetE0EEEvSF_,comdat
	.protected	_ZN7rocprim17ROCPRIM_400000_NS6detail17trampoline_kernelINS0_14default_configENS1_22reduce_config_selectorIlEEZNS1_11reduce_implILb1ES3_PlS7_lN6thrust23THRUST_200600_302600_NS4plusIlEEEE10hipError_tPvRmT1_T2_T3_mT4_P12ihipStream_tbEUlT_E0_NS1_11comp_targetILNS1_3genE3ELNS1_11target_archE908ELNS1_3gpuE7ELNS1_3repE0EEENS1_30default_config_static_selectorELNS0_4arch9wavefront6targetE0EEEvSF_ ; -- Begin function _ZN7rocprim17ROCPRIM_400000_NS6detail17trampoline_kernelINS0_14default_configENS1_22reduce_config_selectorIlEEZNS1_11reduce_implILb1ES3_PlS7_lN6thrust23THRUST_200600_302600_NS4plusIlEEEE10hipError_tPvRmT1_T2_T3_mT4_P12ihipStream_tbEUlT_E0_NS1_11comp_targetILNS1_3genE3ELNS1_11target_archE908ELNS1_3gpuE7ELNS1_3repE0EEENS1_30default_config_static_selectorELNS0_4arch9wavefront6targetE0EEEvSF_
	.globl	_ZN7rocprim17ROCPRIM_400000_NS6detail17trampoline_kernelINS0_14default_configENS1_22reduce_config_selectorIlEEZNS1_11reduce_implILb1ES3_PlS7_lN6thrust23THRUST_200600_302600_NS4plusIlEEEE10hipError_tPvRmT1_T2_T3_mT4_P12ihipStream_tbEUlT_E0_NS1_11comp_targetILNS1_3genE3ELNS1_11target_archE908ELNS1_3gpuE7ELNS1_3repE0EEENS1_30default_config_static_selectorELNS0_4arch9wavefront6targetE0EEEvSF_
	.p2align	8
	.type	_ZN7rocprim17ROCPRIM_400000_NS6detail17trampoline_kernelINS0_14default_configENS1_22reduce_config_selectorIlEEZNS1_11reduce_implILb1ES3_PlS7_lN6thrust23THRUST_200600_302600_NS4plusIlEEEE10hipError_tPvRmT1_T2_T3_mT4_P12ihipStream_tbEUlT_E0_NS1_11comp_targetILNS1_3genE3ELNS1_11target_archE908ELNS1_3gpuE7ELNS1_3repE0EEENS1_30default_config_static_selectorELNS0_4arch9wavefront6targetE0EEEvSF_,@function
_ZN7rocprim17ROCPRIM_400000_NS6detail17trampoline_kernelINS0_14default_configENS1_22reduce_config_selectorIlEEZNS1_11reduce_implILb1ES3_PlS7_lN6thrust23THRUST_200600_302600_NS4plusIlEEEE10hipError_tPvRmT1_T2_T3_mT4_P12ihipStream_tbEUlT_E0_NS1_11comp_targetILNS1_3genE3ELNS1_11target_archE908ELNS1_3gpuE7ELNS1_3repE0EEENS1_30default_config_static_selectorELNS0_4arch9wavefront6targetE0EEEvSF_: ; @_ZN7rocprim17ROCPRIM_400000_NS6detail17trampoline_kernelINS0_14default_configENS1_22reduce_config_selectorIlEEZNS1_11reduce_implILb1ES3_PlS7_lN6thrust23THRUST_200600_302600_NS4plusIlEEEE10hipError_tPvRmT1_T2_T3_mT4_P12ihipStream_tbEUlT_E0_NS1_11comp_targetILNS1_3genE3ELNS1_11target_archE908ELNS1_3gpuE7ELNS1_3repE0EEENS1_30default_config_static_selectorELNS0_4arch9wavefront6targetE0EEEvSF_
; %bb.0:
	.section	.rodata,"a",@progbits
	.p2align	6, 0x0
	.amdhsa_kernel _ZN7rocprim17ROCPRIM_400000_NS6detail17trampoline_kernelINS0_14default_configENS1_22reduce_config_selectorIlEEZNS1_11reduce_implILb1ES3_PlS7_lN6thrust23THRUST_200600_302600_NS4plusIlEEEE10hipError_tPvRmT1_T2_T3_mT4_P12ihipStream_tbEUlT_E0_NS1_11comp_targetILNS1_3genE3ELNS1_11target_archE908ELNS1_3gpuE7ELNS1_3repE0EEENS1_30default_config_static_selectorELNS0_4arch9wavefront6targetE0EEEvSF_
		.amdhsa_group_segment_fixed_size 0
		.amdhsa_private_segment_fixed_size 0
		.amdhsa_kernarg_size 64
		.amdhsa_user_sgpr_count 2
		.amdhsa_user_sgpr_dispatch_ptr 0
		.amdhsa_user_sgpr_queue_ptr 0
		.amdhsa_user_sgpr_kernarg_segment_ptr 1
		.amdhsa_user_sgpr_dispatch_id 0
		.amdhsa_user_sgpr_private_segment_size 0
		.amdhsa_wavefront_size32 1
		.amdhsa_uses_dynamic_stack 0
		.amdhsa_enable_private_segment 0
		.amdhsa_system_sgpr_workgroup_id_x 1
		.amdhsa_system_sgpr_workgroup_id_y 0
		.amdhsa_system_sgpr_workgroup_id_z 0
		.amdhsa_system_sgpr_workgroup_info 0
		.amdhsa_system_vgpr_workitem_id 0
		.amdhsa_next_free_vgpr 1
		.amdhsa_next_free_sgpr 1
		.amdhsa_reserve_vcc 0
		.amdhsa_float_round_mode_32 0
		.amdhsa_float_round_mode_16_64 0
		.amdhsa_float_denorm_mode_32 3
		.amdhsa_float_denorm_mode_16_64 3
		.amdhsa_fp16_overflow 0
		.amdhsa_workgroup_processor_mode 1
		.amdhsa_memory_ordered 1
		.amdhsa_forward_progress 1
		.amdhsa_inst_pref_size 0
		.amdhsa_round_robin_scheduling 0
		.amdhsa_exception_fp_ieee_invalid_op 0
		.amdhsa_exception_fp_denorm_src 0
		.amdhsa_exception_fp_ieee_div_zero 0
		.amdhsa_exception_fp_ieee_overflow 0
		.amdhsa_exception_fp_ieee_underflow 0
		.amdhsa_exception_fp_ieee_inexact 0
		.amdhsa_exception_int_div_zero 0
	.end_amdhsa_kernel
	.section	.text._ZN7rocprim17ROCPRIM_400000_NS6detail17trampoline_kernelINS0_14default_configENS1_22reduce_config_selectorIlEEZNS1_11reduce_implILb1ES3_PlS7_lN6thrust23THRUST_200600_302600_NS4plusIlEEEE10hipError_tPvRmT1_T2_T3_mT4_P12ihipStream_tbEUlT_E0_NS1_11comp_targetILNS1_3genE3ELNS1_11target_archE908ELNS1_3gpuE7ELNS1_3repE0EEENS1_30default_config_static_selectorELNS0_4arch9wavefront6targetE0EEEvSF_,"axG",@progbits,_ZN7rocprim17ROCPRIM_400000_NS6detail17trampoline_kernelINS0_14default_configENS1_22reduce_config_selectorIlEEZNS1_11reduce_implILb1ES3_PlS7_lN6thrust23THRUST_200600_302600_NS4plusIlEEEE10hipError_tPvRmT1_T2_T3_mT4_P12ihipStream_tbEUlT_E0_NS1_11comp_targetILNS1_3genE3ELNS1_11target_archE908ELNS1_3gpuE7ELNS1_3repE0EEENS1_30default_config_static_selectorELNS0_4arch9wavefront6targetE0EEEvSF_,comdat
.Lfunc_end50:
	.size	_ZN7rocprim17ROCPRIM_400000_NS6detail17trampoline_kernelINS0_14default_configENS1_22reduce_config_selectorIlEEZNS1_11reduce_implILb1ES3_PlS7_lN6thrust23THRUST_200600_302600_NS4plusIlEEEE10hipError_tPvRmT1_T2_T3_mT4_P12ihipStream_tbEUlT_E0_NS1_11comp_targetILNS1_3genE3ELNS1_11target_archE908ELNS1_3gpuE7ELNS1_3repE0EEENS1_30default_config_static_selectorELNS0_4arch9wavefront6targetE0EEEvSF_, .Lfunc_end50-_ZN7rocprim17ROCPRIM_400000_NS6detail17trampoline_kernelINS0_14default_configENS1_22reduce_config_selectorIlEEZNS1_11reduce_implILb1ES3_PlS7_lN6thrust23THRUST_200600_302600_NS4plusIlEEEE10hipError_tPvRmT1_T2_T3_mT4_P12ihipStream_tbEUlT_E0_NS1_11comp_targetILNS1_3genE3ELNS1_11target_archE908ELNS1_3gpuE7ELNS1_3repE0EEENS1_30default_config_static_selectorELNS0_4arch9wavefront6targetE0EEEvSF_
                                        ; -- End function
	.set _ZN7rocprim17ROCPRIM_400000_NS6detail17trampoline_kernelINS0_14default_configENS1_22reduce_config_selectorIlEEZNS1_11reduce_implILb1ES3_PlS7_lN6thrust23THRUST_200600_302600_NS4plusIlEEEE10hipError_tPvRmT1_T2_T3_mT4_P12ihipStream_tbEUlT_E0_NS1_11comp_targetILNS1_3genE3ELNS1_11target_archE908ELNS1_3gpuE7ELNS1_3repE0EEENS1_30default_config_static_selectorELNS0_4arch9wavefront6targetE0EEEvSF_.num_vgpr, 0
	.set _ZN7rocprim17ROCPRIM_400000_NS6detail17trampoline_kernelINS0_14default_configENS1_22reduce_config_selectorIlEEZNS1_11reduce_implILb1ES3_PlS7_lN6thrust23THRUST_200600_302600_NS4plusIlEEEE10hipError_tPvRmT1_T2_T3_mT4_P12ihipStream_tbEUlT_E0_NS1_11comp_targetILNS1_3genE3ELNS1_11target_archE908ELNS1_3gpuE7ELNS1_3repE0EEENS1_30default_config_static_selectorELNS0_4arch9wavefront6targetE0EEEvSF_.num_agpr, 0
	.set _ZN7rocprim17ROCPRIM_400000_NS6detail17trampoline_kernelINS0_14default_configENS1_22reduce_config_selectorIlEEZNS1_11reduce_implILb1ES3_PlS7_lN6thrust23THRUST_200600_302600_NS4plusIlEEEE10hipError_tPvRmT1_T2_T3_mT4_P12ihipStream_tbEUlT_E0_NS1_11comp_targetILNS1_3genE3ELNS1_11target_archE908ELNS1_3gpuE7ELNS1_3repE0EEENS1_30default_config_static_selectorELNS0_4arch9wavefront6targetE0EEEvSF_.numbered_sgpr, 0
	.set _ZN7rocprim17ROCPRIM_400000_NS6detail17trampoline_kernelINS0_14default_configENS1_22reduce_config_selectorIlEEZNS1_11reduce_implILb1ES3_PlS7_lN6thrust23THRUST_200600_302600_NS4plusIlEEEE10hipError_tPvRmT1_T2_T3_mT4_P12ihipStream_tbEUlT_E0_NS1_11comp_targetILNS1_3genE3ELNS1_11target_archE908ELNS1_3gpuE7ELNS1_3repE0EEENS1_30default_config_static_selectorELNS0_4arch9wavefront6targetE0EEEvSF_.num_named_barrier, 0
	.set _ZN7rocprim17ROCPRIM_400000_NS6detail17trampoline_kernelINS0_14default_configENS1_22reduce_config_selectorIlEEZNS1_11reduce_implILb1ES3_PlS7_lN6thrust23THRUST_200600_302600_NS4plusIlEEEE10hipError_tPvRmT1_T2_T3_mT4_P12ihipStream_tbEUlT_E0_NS1_11comp_targetILNS1_3genE3ELNS1_11target_archE908ELNS1_3gpuE7ELNS1_3repE0EEENS1_30default_config_static_selectorELNS0_4arch9wavefront6targetE0EEEvSF_.private_seg_size, 0
	.set _ZN7rocprim17ROCPRIM_400000_NS6detail17trampoline_kernelINS0_14default_configENS1_22reduce_config_selectorIlEEZNS1_11reduce_implILb1ES3_PlS7_lN6thrust23THRUST_200600_302600_NS4plusIlEEEE10hipError_tPvRmT1_T2_T3_mT4_P12ihipStream_tbEUlT_E0_NS1_11comp_targetILNS1_3genE3ELNS1_11target_archE908ELNS1_3gpuE7ELNS1_3repE0EEENS1_30default_config_static_selectorELNS0_4arch9wavefront6targetE0EEEvSF_.uses_vcc, 0
	.set _ZN7rocprim17ROCPRIM_400000_NS6detail17trampoline_kernelINS0_14default_configENS1_22reduce_config_selectorIlEEZNS1_11reduce_implILb1ES3_PlS7_lN6thrust23THRUST_200600_302600_NS4plusIlEEEE10hipError_tPvRmT1_T2_T3_mT4_P12ihipStream_tbEUlT_E0_NS1_11comp_targetILNS1_3genE3ELNS1_11target_archE908ELNS1_3gpuE7ELNS1_3repE0EEENS1_30default_config_static_selectorELNS0_4arch9wavefront6targetE0EEEvSF_.uses_flat_scratch, 0
	.set _ZN7rocprim17ROCPRIM_400000_NS6detail17trampoline_kernelINS0_14default_configENS1_22reduce_config_selectorIlEEZNS1_11reduce_implILb1ES3_PlS7_lN6thrust23THRUST_200600_302600_NS4plusIlEEEE10hipError_tPvRmT1_T2_T3_mT4_P12ihipStream_tbEUlT_E0_NS1_11comp_targetILNS1_3genE3ELNS1_11target_archE908ELNS1_3gpuE7ELNS1_3repE0EEENS1_30default_config_static_selectorELNS0_4arch9wavefront6targetE0EEEvSF_.has_dyn_sized_stack, 0
	.set _ZN7rocprim17ROCPRIM_400000_NS6detail17trampoline_kernelINS0_14default_configENS1_22reduce_config_selectorIlEEZNS1_11reduce_implILb1ES3_PlS7_lN6thrust23THRUST_200600_302600_NS4plusIlEEEE10hipError_tPvRmT1_T2_T3_mT4_P12ihipStream_tbEUlT_E0_NS1_11comp_targetILNS1_3genE3ELNS1_11target_archE908ELNS1_3gpuE7ELNS1_3repE0EEENS1_30default_config_static_selectorELNS0_4arch9wavefront6targetE0EEEvSF_.has_recursion, 0
	.set _ZN7rocprim17ROCPRIM_400000_NS6detail17trampoline_kernelINS0_14default_configENS1_22reduce_config_selectorIlEEZNS1_11reduce_implILb1ES3_PlS7_lN6thrust23THRUST_200600_302600_NS4plusIlEEEE10hipError_tPvRmT1_T2_T3_mT4_P12ihipStream_tbEUlT_E0_NS1_11comp_targetILNS1_3genE3ELNS1_11target_archE908ELNS1_3gpuE7ELNS1_3repE0EEENS1_30default_config_static_selectorELNS0_4arch9wavefront6targetE0EEEvSF_.has_indirect_call, 0
	.section	.AMDGPU.csdata,"",@progbits
; Kernel info:
; codeLenInByte = 0
; TotalNumSgprs: 0
; NumVgprs: 0
; ScratchSize: 0
; MemoryBound: 0
; FloatMode: 240
; IeeeMode: 1
; LDSByteSize: 0 bytes/workgroup (compile time only)
; SGPRBlocks: 0
; VGPRBlocks: 0
; NumSGPRsForWavesPerEU: 1
; NumVGPRsForWavesPerEU: 1
; Occupancy: 16
; WaveLimiterHint : 0
; COMPUTE_PGM_RSRC2:SCRATCH_EN: 0
; COMPUTE_PGM_RSRC2:USER_SGPR: 2
; COMPUTE_PGM_RSRC2:TRAP_HANDLER: 0
; COMPUTE_PGM_RSRC2:TGID_X_EN: 1
; COMPUTE_PGM_RSRC2:TGID_Y_EN: 0
; COMPUTE_PGM_RSRC2:TGID_Z_EN: 0
; COMPUTE_PGM_RSRC2:TIDIG_COMP_CNT: 0
	.section	.text._ZN7rocprim17ROCPRIM_400000_NS6detail17trampoline_kernelINS0_14default_configENS1_22reduce_config_selectorIlEEZNS1_11reduce_implILb1ES3_PlS7_lN6thrust23THRUST_200600_302600_NS4plusIlEEEE10hipError_tPvRmT1_T2_T3_mT4_P12ihipStream_tbEUlT_E0_NS1_11comp_targetILNS1_3genE2ELNS1_11target_archE906ELNS1_3gpuE6ELNS1_3repE0EEENS1_30default_config_static_selectorELNS0_4arch9wavefront6targetE0EEEvSF_,"axG",@progbits,_ZN7rocprim17ROCPRIM_400000_NS6detail17trampoline_kernelINS0_14default_configENS1_22reduce_config_selectorIlEEZNS1_11reduce_implILb1ES3_PlS7_lN6thrust23THRUST_200600_302600_NS4plusIlEEEE10hipError_tPvRmT1_T2_T3_mT4_P12ihipStream_tbEUlT_E0_NS1_11comp_targetILNS1_3genE2ELNS1_11target_archE906ELNS1_3gpuE6ELNS1_3repE0EEENS1_30default_config_static_selectorELNS0_4arch9wavefront6targetE0EEEvSF_,comdat
	.protected	_ZN7rocprim17ROCPRIM_400000_NS6detail17trampoline_kernelINS0_14default_configENS1_22reduce_config_selectorIlEEZNS1_11reduce_implILb1ES3_PlS7_lN6thrust23THRUST_200600_302600_NS4plusIlEEEE10hipError_tPvRmT1_T2_T3_mT4_P12ihipStream_tbEUlT_E0_NS1_11comp_targetILNS1_3genE2ELNS1_11target_archE906ELNS1_3gpuE6ELNS1_3repE0EEENS1_30default_config_static_selectorELNS0_4arch9wavefront6targetE0EEEvSF_ ; -- Begin function _ZN7rocprim17ROCPRIM_400000_NS6detail17trampoline_kernelINS0_14default_configENS1_22reduce_config_selectorIlEEZNS1_11reduce_implILb1ES3_PlS7_lN6thrust23THRUST_200600_302600_NS4plusIlEEEE10hipError_tPvRmT1_T2_T3_mT4_P12ihipStream_tbEUlT_E0_NS1_11comp_targetILNS1_3genE2ELNS1_11target_archE906ELNS1_3gpuE6ELNS1_3repE0EEENS1_30default_config_static_selectorELNS0_4arch9wavefront6targetE0EEEvSF_
	.globl	_ZN7rocprim17ROCPRIM_400000_NS6detail17trampoline_kernelINS0_14default_configENS1_22reduce_config_selectorIlEEZNS1_11reduce_implILb1ES3_PlS7_lN6thrust23THRUST_200600_302600_NS4plusIlEEEE10hipError_tPvRmT1_T2_T3_mT4_P12ihipStream_tbEUlT_E0_NS1_11comp_targetILNS1_3genE2ELNS1_11target_archE906ELNS1_3gpuE6ELNS1_3repE0EEENS1_30default_config_static_selectorELNS0_4arch9wavefront6targetE0EEEvSF_
	.p2align	8
	.type	_ZN7rocprim17ROCPRIM_400000_NS6detail17trampoline_kernelINS0_14default_configENS1_22reduce_config_selectorIlEEZNS1_11reduce_implILb1ES3_PlS7_lN6thrust23THRUST_200600_302600_NS4plusIlEEEE10hipError_tPvRmT1_T2_T3_mT4_P12ihipStream_tbEUlT_E0_NS1_11comp_targetILNS1_3genE2ELNS1_11target_archE906ELNS1_3gpuE6ELNS1_3repE0EEENS1_30default_config_static_selectorELNS0_4arch9wavefront6targetE0EEEvSF_,@function
_ZN7rocprim17ROCPRIM_400000_NS6detail17trampoline_kernelINS0_14default_configENS1_22reduce_config_selectorIlEEZNS1_11reduce_implILb1ES3_PlS7_lN6thrust23THRUST_200600_302600_NS4plusIlEEEE10hipError_tPvRmT1_T2_T3_mT4_P12ihipStream_tbEUlT_E0_NS1_11comp_targetILNS1_3genE2ELNS1_11target_archE906ELNS1_3gpuE6ELNS1_3repE0EEENS1_30default_config_static_selectorELNS0_4arch9wavefront6targetE0EEEvSF_: ; @_ZN7rocprim17ROCPRIM_400000_NS6detail17trampoline_kernelINS0_14default_configENS1_22reduce_config_selectorIlEEZNS1_11reduce_implILb1ES3_PlS7_lN6thrust23THRUST_200600_302600_NS4plusIlEEEE10hipError_tPvRmT1_T2_T3_mT4_P12ihipStream_tbEUlT_E0_NS1_11comp_targetILNS1_3genE2ELNS1_11target_archE906ELNS1_3gpuE6ELNS1_3repE0EEENS1_30default_config_static_selectorELNS0_4arch9wavefront6targetE0EEEvSF_
; %bb.0:
	.section	.rodata,"a",@progbits
	.p2align	6, 0x0
	.amdhsa_kernel _ZN7rocprim17ROCPRIM_400000_NS6detail17trampoline_kernelINS0_14default_configENS1_22reduce_config_selectorIlEEZNS1_11reduce_implILb1ES3_PlS7_lN6thrust23THRUST_200600_302600_NS4plusIlEEEE10hipError_tPvRmT1_T2_T3_mT4_P12ihipStream_tbEUlT_E0_NS1_11comp_targetILNS1_3genE2ELNS1_11target_archE906ELNS1_3gpuE6ELNS1_3repE0EEENS1_30default_config_static_selectorELNS0_4arch9wavefront6targetE0EEEvSF_
		.amdhsa_group_segment_fixed_size 0
		.amdhsa_private_segment_fixed_size 0
		.amdhsa_kernarg_size 64
		.amdhsa_user_sgpr_count 2
		.amdhsa_user_sgpr_dispatch_ptr 0
		.amdhsa_user_sgpr_queue_ptr 0
		.amdhsa_user_sgpr_kernarg_segment_ptr 1
		.amdhsa_user_sgpr_dispatch_id 0
		.amdhsa_user_sgpr_private_segment_size 0
		.amdhsa_wavefront_size32 1
		.amdhsa_uses_dynamic_stack 0
		.amdhsa_enable_private_segment 0
		.amdhsa_system_sgpr_workgroup_id_x 1
		.amdhsa_system_sgpr_workgroup_id_y 0
		.amdhsa_system_sgpr_workgroup_id_z 0
		.amdhsa_system_sgpr_workgroup_info 0
		.amdhsa_system_vgpr_workitem_id 0
		.amdhsa_next_free_vgpr 1
		.amdhsa_next_free_sgpr 1
		.amdhsa_reserve_vcc 0
		.amdhsa_float_round_mode_32 0
		.amdhsa_float_round_mode_16_64 0
		.amdhsa_float_denorm_mode_32 3
		.amdhsa_float_denorm_mode_16_64 3
		.amdhsa_fp16_overflow 0
		.amdhsa_workgroup_processor_mode 1
		.amdhsa_memory_ordered 1
		.amdhsa_forward_progress 1
		.amdhsa_inst_pref_size 0
		.amdhsa_round_robin_scheduling 0
		.amdhsa_exception_fp_ieee_invalid_op 0
		.amdhsa_exception_fp_denorm_src 0
		.amdhsa_exception_fp_ieee_div_zero 0
		.amdhsa_exception_fp_ieee_overflow 0
		.amdhsa_exception_fp_ieee_underflow 0
		.amdhsa_exception_fp_ieee_inexact 0
		.amdhsa_exception_int_div_zero 0
	.end_amdhsa_kernel
	.section	.text._ZN7rocprim17ROCPRIM_400000_NS6detail17trampoline_kernelINS0_14default_configENS1_22reduce_config_selectorIlEEZNS1_11reduce_implILb1ES3_PlS7_lN6thrust23THRUST_200600_302600_NS4plusIlEEEE10hipError_tPvRmT1_T2_T3_mT4_P12ihipStream_tbEUlT_E0_NS1_11comp_targetILNS1_3genE2ELNS1_11target_archE906ELNS1_3gpuE6ELNS1_3repE0EEENS1_30default_config_static_selectorELNS0_4arch9wavefront6targetE0EEEvSF_,"axG",@progbits,_ZN7rocprim17ROCPRIM_400000_NS6detail17trampoline_kernelINS0_14default_configENS1_22reduce_config_selectorIlEEZNS1_11reduce_implILb1ES3_PlS7_lN6thrust23THRUST_200600_302600_NS4plusIlEEEE10hipError_tPvRmT1_T2_T3_mT4_P12ihipStream_tbEUlT_E0_NS1_11comp_targetILNS1_3genE2ELNS1_11target_archE906ELNS1_3gpuE6ELNS1_3repE0EEENS1_30default_config_static_selectorELNS0_4arch9wavefront6targetE0EEEvSF_,comdat
.Lfunc_end51:
	.size	_ZN7rocprim17ROCPRIM_400000_NS6detail17trampoline_kernelINS0_14default_configENS1_22reduce_config_selectorIlEEZNS1_11reduce_implILb1ES3_PlS7_lN6thrust23THRUST_200600_302600_NS4plusIlEEEE10hipError_tPvRmT1_T2_T3_mT4_P12ihipStream_tbEUlT_E0_NS1_11comp_targetILNS1_3genE2ELNS1_11target_archE906ELNS1_3gpuE6ELNS1_3repE0EEENS1_30default_config_static_selectorELNS0_4arch9wavefront6targetE0EEEvSF_, .Lfunc_end51-_ZN7rocprim17ROCPRIM_400000_NS6detail17trampoline_kernelINS0_14default_configENS1_22reduce_config_selectorIlEEZNS1_11reduce_implILb1ES3_PlS7_lN6thrust23THRUST_200600_302600_NS4plusIlEEEE10hipError_tPvRmT1_T2_T3_mT4_P12ihipStream_tbEUlT_E0_NS1_11comp_targetILNS1_3genE2ELNS1_11target_archE906ELNS1_3gpuE6ELNS1_3repE0EEENS1_30default_config_static_selectorELNS0_4arch9wavefront6targetE0EEEvSF_
                                        ; -- End function
	.set _ZN7rocprim17ROCPRIM_400000_NS6detail17trampoline_kernelINS0_14default_configENS1_22reduce_config_selectorIlEEZNS1_11reduce_implILb1ES3_PlS7_lN6thrust23THRUST_200600_302600_NS4plusIlEEEE10hipError_tPvRmT1_T2_T3_mT4_P12ihipStream_tbEUlT_E0_NS1_11comp_targetILNS1_3genE2ELNS1_11target_archE906ELNS1_3gpuE6ELNS1_3repE0EEENS1_30default_config_static_selectorELNS0_4arch9wavefront6targetE0EEEvSF_.num_vgpr, 0
	.set _ZN7rocprim17ROCPRIM_400000_NS6detail17trampoline_kernelINS0_14default_configENS1_22reduce_config_selectorIlEEZNS1_11reduce_implILb1ES3_PlS7_lN6thrust23THRUST_200600_302600_NS4plusIlEEEE10hipError_tPvRmT1_T2_T3_mT4_P12ihipStream_tbEUlT_E0_NS1_11comp_targetILNS1_3genE2ELNS1_11target_archE906ELNS1_3gpuE6ELNS1_3repE0EEENS1_30default_config_static_selectorELNS0_4arch9wavefront6targetE0EEEvSF_.num_agpr, 0
	.set _ZN7rocprim17ROCPRIM_400000_NS6detail17trampoline_kernelINS0_14default_configENS1_22reduce_config_selectorIlEEZNS1_11reduce_implILb1ES3_PlS7_lN6thrust23THRUST_200600_302600_NS4plusIlEEEE10hipError_tPvRmT1_T2_T3_mT4_P12ihipStream_tbEUlT_E0_NS1_11comp_targetILNS1_3genE2ELNS1_11target_archE906ELNS1_3gpuE6ELNS1_3repE0EEENS1_30default_config_static_selectorELNS0_4arch9wavefront6targetE0EEEvSF_.numbered_sgpr, 0
	.set _ZN7rocprim17ROCPRIM_400000_NS6detail17trampoline_kernelINS0_14default_configENS1_22reduce_config_selectorIlEEZNS1_11reduce_implILb1ES3_PlS7_lN6thrust23THRUST_200600_302600_NS4plusIlEEEE10hipError_tPvRmT1_T2_T3_mT4_P12ihipStream_tbEUlT_E0_NS1_11comp_targetILNS1_3genE2ELNS1_11target_archE906ELNS1_3gpuE6ELNS1_3repE0EEENS1_30default_config_static_selectorELNS0_4arch9wavefront6targetE0EEEvSF_.num_named_barrier, 0
	.set _ZN7rocprim17ROCPRIM_400000_NS6detail17trampoline_kernelINS0_14default_configENS1_22reduce_config_selectorIlEEZNS1_11reduce_implILb1ES3_PlS7_lN6thrust23THRUST_200600_302600_NS4plusIlEEEE10hipError_tPvRmT1_T2_T3_mT4_P12ihipStream_tbEUlT_E0_NS1_11comp_targetILNS1_3genE2ELNS1_11target_archE906ELNS1_3gpuE6ELNS1_3repE0EEENS1_30default_config_static_selectorELNS0_4arch9wavefront6targetE0EEEvSF_.private_seg_size, 0
	.set _ZN7rocprim17ROCPRIM_400000_NS6detail17trampoline_kernelINS0_14default_configENS1_22reduce_config_selectorIlEEZNS1_11reduce_implILb1ES3_PlS7_lN6thrust23THRUST_200600_302600_NS4plusIlEEEE10hipError_tPvRmT1_T2_T3_mT4_P12ihipStream_tbEUlT_E0_NS1_11comp_targetILNS1_3genE2ELNS1_11target_archE906ELNS1_3gpuE6ELNS1_3repE0EEENS1_30default_config_static_selectorELNS0_4arch9wavefront6targetE0EEEvSF_.uses_vcc, 0
	.set _ZN7rocprim17ROCPRIM_400000_NS6detail17trampoline_kernelINS0_14default_configENS1_22reduce_config_selectorIlEEZNS1_11reduce_implILb1ES3_PlS7_lN6thrust23THRUST_200600_302600_NS4plusIlEEEE10hipError_tPvRmT1_T2_T3_mT4_P12ihipStream_tbEUlT_E0_NS1_11comp_targetILNS1_3genE2ELNS1_11target_archE906ELNS1_3gpuE6ELNS1_3repE0EEENS1_30default_config_static_selectorELNS0_4arch9wavefront6targetE0EEEvSF_.uses_flat_scratch, 0
	.set _ZN7rocprim17ROCPRIM_400000_NS6detail17trampoline_kernelINS0_14default_configENS1_22reduce_config_selectorIlEEZNS1_11reduce_implILb1ES3_PlS7_lN6thrust23THRUST_200600_302600_NS4plusIlEEEE10hipError_tPvRmT1_T2_T3_mT4_P12ihipStream_tbEUlT_E0_NS1_11comp_targetILNS1_3genE2ELNS1_11target_archE906ELNS1_3gpuE6ELNS1_3repE0EEENS1_30default_config_static_selectorELNS0_4arch9wavefront6targetE0EEEvSF_.has_dyn_sized_stack, 0
	.set _ZN7rocprim17ROCPRIM_400000_NS6detail17trampoline_kernelINS0_14default_configENS1_22reduce_config_selectorIlEEZNS1_11reduce_implILb1ES3_PlS7_lN6thrust23THRUST_200600_302600_NS4plusIlEEEE10hipError_tPvRmT1_T2_T3_mT4_P12ihipStream_tbEUlT_E0_NS1_11comp_targetILNS1_3genE2ELNS1_11target_archE906ELNS1_3gpuE6ELNS1_3repE0EEENS1_30default_config_static_selectorELNS0_4arch9wavefront6targetE0EEEvSF_.has_recursion, 0
	.set _ZN7rocprim17ROCPRIM_400000_NS6detail17trampoline_kernelINS0_14default_configENS1_22reduce_config_selectorIlEEZNS1_11reduce_implILb1ES3_PlS7_lN6thrust23THRUST_200600_302600_NS4plusIlEEEE10hipError_tPvRmT1_T2_T3_mT4_P12ihipStream_tbEUlT_E0_NS1_11comp_targetILNS1_3genE2ELNS1_11target_archE906ELNS1_3gpuE6ELNS1_3repE0EEENS1_30default_config_static_selectorELNS0_4arch9wavefront6targetE0EEEvSF_.has_indirect_call, 0
	.section	.AMDGPU.csdata,"",@progbits
; Kernel info:
; codeLenInByte = 0
; TotalNumSgprs: 0
; NumVgprs: 0
; ScratchSize: 0
; MemoryBound: 0
; FloatMode: 240
; IeeeMode: 1
; LDSByteSize: 0 bytes/workgroup (compile time only)
; SGPRBlocks: 0
; VGPRBlocks: 0
; NumSGPRsForWavesPerEU: 1
; NumVGPRsForWavesPerEU: 1
; Occupancy: 16
; WaveLimiterHint : 0
; COMPUTE_PGM_RSRC2:SCRATCH_EN: 0
; COMPUTE_PGM_RSRC2:USER_SGPR: 2
; COMPUTE_PGM_RSRC2:TRAP_HANDLER: 0
; COMPUTE_PGM_RSRC2:TGID_X_EN: 1
; COMPUTE_PGM_RSRC2:TGID_Y_EN: 0
; COMPUTE_PGM_RSRC2:TGID_Z_EN: 0
; COMPUTE_PGM_RSRC2:TIDIG_COMP_CNT: 0
	.section	.text._ZN7rocprim17ROCPRIM_400000_NS6detail17trampoline_kernelINS0_14default_configENS1_22reduce_config_selectorIlEEZNS1_11reduce_implILb1ES3_PlS7_lN6thrust23THRUST_200600_302600_NS4plusIlEEEE10hipError_tPvRmT1_T2_T3_mT4_P12ihipStream_tbEUlT_E0_NS1_11comp_targetILNS1_3genE10ELNS1_11target_archE1201ELNS1_3gpuE5ELNS1_3repE0EEENS1_30default_config_static_selectorELNS0_4arch9wavefront6targetE0EEEvSF_,"axG",@progbits,_ZN7rocprim17ROCPRIM_400000_NS6detail17trampoline_kernelINS0_14default_configENS1_22reduce_config_selectorIlEEZNS1_11reduce_implILb1ES3_PlS7_lN6thrust23THRUST_200600_302600_NS4plusIlEEEE10hipError_tPvRmT1_T2_T3_mT4_P12ihipStream_tbEUlT_E0_NS1_11comp_targetILNS1_3genE10ELNS1_11target_archE1201ELNS1_3gpuE5ELNS1_3repE0EEENS1_30default_config_static_selectorELNS0_4arch9wavefront6targetE0EEEvSF_,comdat
	.protected	_ZN7rocprim17ROCPRIM_400000_NS6detail17trampoline_kernelINS0_14default_configENS1_22reduce_config_selectorIlEEZNS1_11reduce_implILb1ES3_PlS7_lN6thrust23THRUST_200600_302600_NS4plusIlEEEE10hipError_tPvRmT1_T2_T3_mT4_P12ihipStream_tbEUlT_E0_NS1_11comp_targetILNS1_3genE10ELNS1_11target_archE1201ELNS1_3gpuE5ELNS1_3repE0EEENS1_30default_config_static_selectorELNS0_4arch9wavefront6targetE0EEEvSF_ ; -- Begin function _ZN7rocprim17ROCPRIM_400000_NS6detail17trampoline_kernelINS0_14default_configENS1_22reduce_config_selectorIlEEZNS1_11reduce_implILb1ES3_PlS7_lN6thrust23THRUST_200600_302600_NS4plusIlEEEE10hipError_tPvRmT1_T2_T3_mT4_P12ihipStream_tbEUlT_E0_NS1_11comp_targetILNS1_3genE10ELNS1_11target_archE1201ELNS1_3gpuE5ELNS1_3repE0EEENS1_30default_config_static_selectorELNS0_4arch9wavefront6targetE0EEEvSF_
	.globl	_ZN7rocprim17ROCPRIM_400000_NS6detail17trampoline_kernelINS0_14default_configENS1_22reduce_config_selectorIlEEZNS1_11reduce_implILb1ES3_PlS7_lN6thrust23THRUST_200600_302600_NS4plusIlEEEE10hipError_tPvRmT1_T2_T3_mT4_P12ihipStream_tbEUlT_E0_NS1_11comp_targetILNS1_3genE10ELNS1_11target_archE1201ELNS1_3gpuE5ELNS1_3repE0EEENS1_30default_config_static_selectorELNS0_4arch9wavefront6targetE0EEEvSF_
	.p2align	8
	.type	_ZN7rocprim17ROCPRIM_400000_NS6detail17trampoline_kernelINS0_14default_configENS1_22reduce_config_selectorIlEEZNS1_11reduce_implILb1ES3_PlS7_lN6thrust23THRUST_200600_302600_NS4plusIlEEEE10hipError_tPvRmT1_T2_T3_mT4_P12ihipStream_tbEUlT_E0_NS1_11comp_targetILNS1_3genE10ELNS1_11target_archE1201ELNS1_3gpuE5ELNS1_3repE0EEENS1_30default_config_static_selectorELNS0_4arch9wavefront6targetE0EEEvSF_,@function
_ZN7rocprim17ROCPRIM_400000_NS6detail17trampoline_kernelINS0_14default_configENS1_22reduce_config_selectorIlEEZNS1_11reduce_implILb1ES3_PlS7_lN6thrust23THRUST_200600_302600_NS4plusIlEEEE10hipError_tPvRmT1_T2_T3_mT4_P12ihipStream_tbEUlT_E0_NS1_11comp_targetILNS1_3genE10ELNS1_11target_archE1201ELNS1_3gpuE5ELNS1_3repE0EEENS1_30default_config_static_selectorELNS0_4arch9wavefront6targetE0EEEvSF_: ; @_ZN7rocprim17ROCPRIM_400000_NS6detail17trampoline_kernelINS0_14default_configENS1_22reduce_config_selectorIlEEZNS1_11reduce_implILb1ES3_PlS7_lN6thrust23THRUST_200600_302600_NS4plusIlEEEE10hipError_tPvRmT1_T2_T3_mT4_P12ihipStream_tbEUlT_E0_NS1_11comp_targetILNS1_3genE10ELNS1_11target_archE1201ELNS1_3gpuE5ELNS1_3repE0EEENS1_30default_config_static_selectorELNS0_4arch9wavefront6targetE0EEEvSF_
; %bb.0:
	s_clause 0x2
	s_load_b256 s[12:19], s[0:1], 0x0
	s_load_b128 s[20:23], s[0:1], 0x20
	s_load_b64 s[26:27], s[0:1], 0x30
	s_lshl_b32 s0, ttmp9, 12
	s_mov_b32 s1, 0
	v_mbcnt_lo_u32_b32 v34, -1, 0
	v_lshlrev_b32_e32 v35, 3, v0
	s_mov_b32 s24, ttmp9
	s_mov_b32 s25, s1
	s_lshl_b64 s[6:7], s[0:1], 3
	s_wait_kmcnt 0x0
	s_lshl_b64 s[2:3], s[14:15], 3
	s_lshr_b64 s[4:5], s[16:17], 12
	s_add_nc_u64 s[2:3], s[12:13], s[2:3]
	s_cmp_lg_u64 s[4:5], s[24:25]
	s_add_nc_u64 s[14:15], s[2:3], s[6:7]
	s_cbranch_scc0 .LBB52_6
; %bb.1:
	s_clause 0xf
	global_load_b64 v[1:2], v35, s[14:15]
	global_load_b64 v[3:4], v35, s[14:15] offset:2048
	global_load_b64 v[5:6], v35, s[14:15] offset:4096
	;; [unrolled: 1-line block ×15, first 2 shown]
	s_mov_b32 s1, exec_lo
	s_wait_loadcnt 0xe
	v_add_co_u32 v1, vcc_lo, v3, v1
	s_delay_alu instid0(VALU_DEP_1) | instskip(SKIP_1) | instid1(VALU_DEP_2)
	v_add_co_ci_u32_e64 v2, null, v4, v2, vcc_lo
	s_wait_loadcnt 0xd
	v_add_co_u32 v1, vcc_lo, v1, v5
	s_wait_alu 0xfffd
	s_delay_alu instid0(VALU_DEP_2) | instskip(SKIP_1) | instid1(VALU_DEP_2)
	v_add_co_ci_u32_e64 v2, null, v2, v6, vcc_lo
	s_wait_loadcnt 0xc
	v_add_co_u32 v1, vcc_lo, v1, v7
	s_wait_alu 0xfffd
	s_delay_alu instid0(VALU_DEP_2) | instskip(SKIP_1) | instid1(VALU_DEP_2)
	;; [unrolled: 5-line block ×13, first 2 shown]
	v_add_co_ci_u32_e64 v2, null, v2, v30, vcc_lo
	s_wait_loadcnt 0x0
	v_add_co_u32 v1, vcc_lo, v1, v31
	s_wait_alu 0xfffd
	s_delay_alu instid0(VALU_DEP_2) | instskip(NEXT) | instid1(VALU_DEP_2)
	v_add_co_ci_u32_e64 v2, null, v2, v32, vcc_lo
	v_mov_b32_dpp v3, v1 quad_perm:[1,0,3,2] row_mask:0xf bank_mask:0xf
	s_delay_alu instid0(VALU_DEP_1) | instskip(NEXT) | instid1(VALU_DEP_3)
	v_add_co_u32 v1, vcc_lo, v1, v3
	v_mov_b32_dpp v3, v2 quad_perm:[1,0,3,2] row_mask:0xf bank_mask:0xf
	s_wait_alu 0xfffd
	v_add_co_ci_u32_e64 v2, null, 0, v2, vcc_lo
	s_delay_alu instid0(VALU_DEP_3) | instskip(SKIP_2) | instid1(VALU_DEP_3)
	v_mov_b32_dpp v4, v1 quad_perm:[2,3,0,1] row_mask:0xf bank_mask:0xf
	v_add_co_u32 v1, vcc_lo, 0, v1
	s_wait_alu 0xfffd
	v_add_co_ci_u32_e64 v2, null, v3, v2, vcc_lo
	s_delay_alu instid0(VALU_DEP_2) | instskip(NEXT) | instid1(VALU_DEP_2)
	v_add_co_u32 v1, vcc_lo, v1, v4
	v_mov_b32_dpp v3, v2 quad_perm:[2,3,0,1] row_mask:0xf bank_mask:0xf
	s_wait_alu 0xfffd
	v_add_co_ci_u32_e64 v2, null, 0, v2, vcc_lo
	s_delay_alu instid0(VALU_DEP_3) | instskip(SKIP_2) | instid1(VALU_DEP_3)
	v_mov_b32_dpp v4, v1 row_ror:4 row_mask:0xf bank_mask:0xf
	v_add_co_u32 v1, vcc_lo, v1, 0
	s_wait_alu 0xfffd
	v_add_co_ci_u32_e64 v2, null, v2, v3, vcc_lo
	s_delay_alu instid0(VALU_DEP_2) | instskip(NEXT) | instid1(VALU_DEP_2)
	v_add_co_u32 v1, vcc_lo, v1, v4
	v_mov_b32_dpp v3, v2 row_ror:4 row_mask:0xf bank_mask:0xf
	s_wait_alu 0xfffd
	v_add_co_ci_u32_e64 v2, null, 0, v2, vcc_lo
	s_delay_alu instid0(VALU_DEP_3) | instskip(SKIP_2) | instid1(VALU_DEP_3)
	v_mov_b32_dpp v4, v1 row_ror:8 row_mask:0xf bank_mask:0xf
	v_add_co_u32 v1, vcc_lo, v1, 0
	s_wait_alu 0xfffd
	v_add_co_ci_u32_e64 v2, null, v2, v3, vcc_lo
	s_delay_alu instid0(VALU_DEP_2) | instskip(NEXT) | instid1(VALU_DEP_2)
	v_add_co_u32 v1, vcc_lo, v1, v4
	v_mov_b32_dpp v3, v2 row_ror:8 row_mask:0xf bank_mask:0xf
	s_wait_alu 0xfffd
	v_add_co_ci_u32_e64 v2, null, 0, v2, vcc_lo
	ds_swizzle_b32 v4, v1 offset:swizzle(BROADCAST,32,15)
	v_add_co_u32 v1, vcc_lo, v1, 0
	s_wait_alu 0xfffd
	v_add_co_ci_u32_e64 v2, null, v2, v3, vcc_lo
	ds_swizzle_b32 v3, v2 offset:swizzle(BROADCAST,32,15)
	s_wait_dscnt 0x1
	v_add_co_u32 v1, vcc_lo, v1, v4
	s_wait_alu 0xfffd
	v_add_co_ci_u32_e64 v2, null, 0, v2, vcc_lo
	v_mov_b32_e32 v4, 0
	s_wait_dscnt 0x0
	s_delay_alu instid0(VALU_DEP_2)
	v_add_nc_u32_e32 v2, v3, v2
	ds_bpermute_b32 v1, v4, v1 offset:124
	ds_bpermute_b32 v2, v4, v2 offset:124
	v_cmpx_eq_u32_e32 0, v34
	s_cbranch_execz .LBB52_3
; %bb.2:
	v_lshrrev_b32_e32 v3, 2, v0
	s_delay_alu instid0(VALU_DEP_1)
	v_and_b32_e32 v3, 56, v3
	s_wait_dscnt 0x0
	ds_store_b64 v3, v[1:2]
.LBB52_3:
	s_or_b32 exec_lo, exec_lo, s1
	s_delay_alu instid0(SALU_CYCLE_1)
	s_mov_b32 s1, exec_lo
	s_wait_dscnt 0x0
	s_barrier_signal -1
	s_barrier_wait -1
	global_inv scope:SCOPE_SE
	v_cmpx_gt_u32_e32 32, v0
	s_cbranch_execz .LBB52_5
; %bb.4:
	v_and_b32_e32 v3, 7, v34
	s_delay_alu instid0(VALU_DEP_1)
	v_lshlrev_b32_e32 v1, 3, v3
	v_cmp_ne_u32_e32 vcc_lo, 7, v3
	ds_load_b64 v[1:2], v1
	s_wait_alu 0xfffd
	v_add_co_ci_u32_e64 v4, null, 0, v34, vcc_lo
	v_cmp_gt_u32_e32 vcc_lo, 6, v3
	s_delay_alu instid0(VALU_DEP_2) | instskip(SKIP_2) | instid1(VALU_DEP_1)
	v_lshlrev_b32_e32 v4, 2, v4
	s_wait_alu 0xfffd
	v_cndmask_b32_e64 v3, 0, 2, vcc_lo
	v_add_lshl_u32 v3, v3, v34, 2
	s_wait_dscnt 0x0
	ds_bpermute_b32 v5, v4, v1
	ds_bpermute_b32 v4, v4, v2
	s_wait_dscnt 0x1
	v_add_co_u32 v1, vcc_lo, v1, v5
	s_wait_alu 0xfffd
	v_add_co_ci_u32_e64 v2, null, 0, v2, vcc_lo
	ds_bpermute_b32 v5, v3, v1
	v_add_co_u32 v1, vcc_lo, 0, v1
	s_wait_dscnt 0x1
	s_wait_alu 0xfffd
	v_add_co_ci_u32_e64 v2, null, v4, v2, vcc_lo
	v_lshlrev_b32_e32 v4, 2, v34
	ds_bpermute_b32 v3, v3, v2
	v_or_b32_e32 v4, 16, v4
	s_wait_dscnt 0x1
	v_add_co_u32 v1, vcc_lo, v1, v5
	s_wait_alu 0xfffd
	v_add_co_ci_u32_e64 v2, null, 0, v2, vcc_lo
	ds_bpermute_b32 v5, v4, v1
	v_add_co_u32 v1, vcc_lo, v1, 0
	s_wait_dscnt 0x1
	s_wait_alu 0xfffd
	v_add_co_ci_u32_e64 v2, null, v2, v3, vcc_lo
	ds_bpermute_b32 v3, v4, v2
	s_wait_dscnt 0x1
	v_add_co_u32 v1, vcc_lo, v1, v5
	s_wait_alu 0xfffd
	v_add_co_ci_u32_e64 v2, null, 0, v2, vcc_lo
	s_delay_alu instid0(VALU_DEP_2) | instskip(SKIP_2) | instid1(VALU_DEP_2)
	v_add_co_u32 v1, vcc_lo, v1, 0
	s_wait_dscnt 0x0
	s_wait_alu 0xfffd
	v_add_co_ci_u32_e64 v2, null, v2, v3, vcc_lo
.LBB52_5:
	s_or_b32 exec_lo, exec_lo, s1
	s_branch .LBB52_60
.LBB52_6:
                                        ; implicit-def: $vgpr1_vgpr2
	s_cbranch_execz .LBB52_60
; %bb.7:
	v_mov_b32_e32 v1, 0
	s_sub_co_i32 s28, s16, s0
	s_delay_alu instid0(SALU_CYCLE_1) | instskip(NEXT) | instid1(VALU_DEP_2)
	v_cmp_gt_u32_e32 vcc_lo, s28, v0
	v_dual_mov_b32 v2, v1 :: v_dual_mov_b32 v3, v1
	v_dual_mov_b32 v4, v1 :: v_dual_mov_b32 v5, v1
	v_dual_mov_b32 v6, v1 :: v_dual_mov_b32 v7, v1
	v_dual_mov_b32 v8, v1 :: v_dual_mov_b32 v9, v1
	v_dual_mov_b32 v10, v1 :: v_dual_mov_b32 v11, v1
	v_dual_mov_b32 v12, v1 :: v_dual_mov_b32 v13, v1
	v_dual_mov_b32 v14, v1 :: v_dual_mov_b32 v15, v1
	v_dual_mov_b32 v16, v1 :: v_dual_mov_b32 v17, v1
	v_dual_mov_b32 v18, v1 :: v_dual_mov_b32 v19, v1
	v_dual_mov_b32 v20, v1 :: v_dual_mov_b32 v21, v1
	v_dual_mov_b32 v22, v1 :: v_dual_mov_b32 v23, v1
	v_dual_mov_b32 v24, v1 :: v_dual_mov_b32 v25, v1
	v_dual_mov_b32 v26, v1 :: v_dual_mov_b32 v27, v1
	v_dual_mov_b32 v28, v1 :: v_dual_mov_b32 v29, v1
	v_dual_mov_b32 v30, v1 :: v_dual_mov_b32 v31, v1
	v_mov_b32_e32 v32, v1
	s_and_saveexec_b32 s0, vcc_lo
	s_cbranch_execz .LBB52_9
; %bb.8:
	global_load_b64 v[2:3], v35, s[14:15]
	v_dual_mov_b32 v32, v1 :: v_dual_mov_b32 v33, v1
	v_dual_mov_b32 v4, v1 :: v_dual_mov_b32 v5, v1
	;; [unrolled: 1-line block ×15, first 2 shown]
	s_wait_loadcnt 0x0
	v_mov_b32_e32 v1, v2
	v_mov_b32_e32 v2, v3
	;; [unrolled: 1-line block ×32, first 2 shown]
.LBB52_9:
	s_or_b32 exec_lo, exec_lo, s0
	v_or_b32_e32 v33, 0x100, v0
	s_delay_alu instid0(VALU_DEP_1)
	v_cmp_gt_u32_e32 vcc_lo, s28, v33
	s_and_saveexec_b32 s0, vcc_lo
	s_cbranch_execz .LBB52_11
; %bb.10:
	global_load_b64 v[3:4], v35, s[14:15] offset:2048
.LBB52_11:
	s_or_b32 exec_lo, exec_lo, s0
	v_or_b32_e32 v33, 0x200, v0
	s_delay_alu instid0(VALU_DEP_1)
	v_cmp_gt_u32_e64 s0, s28, v33
	s_and_saveexec_b32 s1, s0
	s_cbranch_execz .LBB52_13
; %bb.12:
	global_load_b64 v[5:6], v35, s[14:15] offset:4096
.LBB52_13:
	s_or_b32 exec_lo, exec_lo, s1
	v_or_b32_e32 v33, 0x300, v0
	s_delay_alu instid0(VALU_DEP_1)
	v_cmp_gt_u32_e64 s1, s28, v33
	s_and_saveexec_b32 s2, s1
	;; [unrolled: 9-line block ×14, first 2 shown]
	s_cbranch_execz .LBB52_39
; %bb.38:
	global_load_b64 v[31:32], v35, s[14:15] offset:30720
.LBB52_39:
	s_wait_alu 0xfffe
	s_or_b32 exec_lo, exec_lo, s29
	s_wait_loadcnt 0x0
	v_dual_cndmask_b32 v3, 0, v3 :: v_dual_cndmask_b32 v4, 0, v4
	v_cndmask_b32_e64 v5, 0, v5, s0
	v_cndmask_b32_e64 v6, 0, v6, s0
	s_min_u32 s0, s28, 0x100
	s_delay_alu instid0(VALU_DEP_3) | instskip(SKIP_3) | instid1(VALU_DEP_3)
	v_add_co_u32 v1, vcc_lo, v3, v1
	s_wait_alu 0xfffd
	v_add_co_ci_u32_e64 v2, null, v4, v2, vcc_lo
	v_cndmask_b32_e64 v3, 0, v7, s1
	v_add_co_u32 v1, vcc_lo, v1, v5
	s_wait_alu 0xfffd
	s_delay_alu instid0(VALU_DEP_3)
	v_add_co_ci_u32_e64 v2, null, v2, v6, vcc_lo
	v_cndmask_b32_e64 v4, 0, v8, s1
	v_cndmask_b32_e64 v5, 0, v9, s2
	v_add_co_u32 v1, vcc_lo, v1, v3
	v_cndmask_b32_e64 v3, 0, v10, s2
	s_wait_alu 0xfffd
	v_add_co_ci_u32_e64 v2, null, v2, v4, vcc_lo
	v_cndmask_b32_e64 v4, 0, v11, s3
	v_add_co_u32 v1, vcc_lo, v1, v5
	s_wait_alu 0xfffd
	s_delay_alu instid0(VALU_DEP_3)
	v_add_co_ci_u32_e64 v2, null, v2, v3, vcc_lo
	v_cndmask_b32_e64 v3, 0, v12, s3
	v_cndmask_b32_e64 v5, 0, v13, s4
	v_add_co_u32 v1, vcc_lo, v1, v4
	v_cndmask_b32_e64 v4, 0, v15, s5
	s_wait_alu 0xfffd
	v_add_co_ci_u32_e64 v2, null, v2, v3, vcc_lo
	v_cndmask_b32_e64 v3, 0, v14, s4
	v_add_co_u32 v1, vcc_lo, v1, v5
	v_cndmask_b32_e64 v5, 0, v17, s6
	s_wait_alu 0xfffd
	s_delay_alu instid0(VALU_DEP_3) | instskip(SKIP_4) | instid1(VALU_DEP_3)
	v_add_co_ci_u32_e64 v2, null, v2, v3, vcc_lo
	v_cndmask_b32_e64 v3, 0, v16, s5
	v_add_co_u32 v1, vcc_lo, v1, v4
	v_cndmask_b32_e64 v4, 0, v19, s7
	s_wait_alu 0xfffd
	v_add_co_ci_u32_e64 v2, null, v2, v3, vcc_lo
	v_cndmask_b32_e64 v3, 0, v18, s6
	v_add_co_u32 v1, vcc_lo, v1, v5
	v_cndmask_b32_e64 v5, 0, v21, s8
	s_wait_alu 0xfffd
	s_delay_alu instid0(VALU_DEP_3) | instskip(SKIP_4) | instid1(VALU_DEP_3)
	v_add_co_ci_u32_e64 v2, null, v2, v3, vcc_lo
	;; [unrolled: 11-line block ×4, first 2 shown]
	v_cndmask_b32_e64 v3, 0, v28, s11
	v_add_co_u32 v1, vcc_lo, v1, v4
	v_cndmask_b32_e64 v4, 0, v29, s13
	s_wait_alu 0xfffd
	v_add_co_ci_u32_e64 v2, null, v2, v3, vcc_lo
	v_cmp_ne_u32_e32 vcc_lo, 31, v34
	v_cndmask_b32_e64 v3, 0, v30, s13
	s_wait_alu 0xfffd
	v_add_co_ci_u32_e64 v6, null, 0, v34, vcc_lo
	v_add_co_u32 v1, vcc_lo, v1, v4
	s_wait_alu 0xfffd
	v_add_co_ci_u32_e64 v2, null, v2, v3, vcc_lo
	v_cndmask_b32_e64 v3, 0, v32, s12
	s_delay_alu instid0(VALU_DEP_3)
	v_add_co_u32 v1, vcc_lo, v1, v5
	v_lshlrev_b32_e32 v4, 2, v6
	v_add_nc_u32_e32 v5, 1, v34
	s_wait_alu 0xfffd
	v_add_co_ci_u32_e64 v2, null, v2, v3, vcc_lo
	v_and_b32_e32 v3, 0xe0, v0
	s_wait_alu 0xfffe
	s_delay_alu instid0(VALU_DEP_1) | instskip(NEXT) | instid1(VALU_DEP_1)
	v_sub_nc_u32_e64 v3, s0, v3 clamp
	v_cmp_lt_u32_e32 vcc_lo, v5, v3
	v_mov_b32_e32 v5, v1
	ds_bpermute_b32 v6, v4, v1
	ds_bpermute_b32 v4, v4, v2
	s_and_saveexec_b32 s1, vcc_lo
	s_cbranch_execz .LBB52_41
; %bb.40:
	s_wait_dscnt 0x1
	v_add_co_u32 v5, vcc_lo, v1, v6
	s_wait_alu 0xfffd
	v_add_co_ci_u32_e64 v2, null, 0, v2, vcc_lo
	s_delay_alu instid0(VALU_DEP_2) | instskip(SKIP_2) | instid1(VALU_DEP_2)
	v_add_co_u32 v1, vcc_lo, v5, 0
	s_wait_dscnt 0x0
	s_wait_alu 0xfffd
	v_add_co_ci_u32_e64 v2, null, v2, v4, vcc_lo
.LBB52_41:
	s_wait_alu 0xfffe
	s_or_b32 exec_lo, exec_lo, s1
	v_cmp_gt_u32_e32 vcc_lo, 30, v34
	v_add_nc_u32_e32 v7, 2, v34
	s_mov_b32 s1, exec_lo
	s_wait_dscnt 0x0
	s_wait_alu 0xfffd
	v_cndmask_b32_e64 v4, 0, 2, vcc_lo
	s_delay_alu instid0(VALU_DEP_1)
	v_add_lshl_u32 v4, v4, v34, 2
	ds_bpermute_b32 v6, v4, v5
	ds_bpermute_b32 v4, v4, v2
	v_cmpx_lt_u32_e64 v7, v3
	s_cbranch_execz .LBB52_43
; %bb.42:
	s_wait_dscnt 0x1
	v_add_co_u32 v5, vcc_lo, v1, v6
	s_wait_alu 0xfffd
	v_add_co_ci_u32_e64 v2, null, 0, v2, vcc_lo
	s_delay_alu instid0(VALU_DEP_2) | instskip(SKIP_2) | instid1(VALU_DEP_2)
	v_add_co_u32 v1, vcc_lo, 0, v5
	s_wait_dscnt 0x0
	s_wait_alu 0xfffd
	v_add_co_ci_u32_e64 v2, null, v4, v2, vcc_lo
.LBB52_43:
	s_wait_alu 0xfffe
	s_or_b32 exec_lo, exec_lo, s1
	v_cmp_gt_u32_e32 vcc_lo, 28, v34
	v_add_nc_u32_e32 v7, 4, v34
	s_mov_b32 s1, exec_lo
	s_wait_dscnt 0x0
	s_wait_alu 0xfffd
	v_cndmask_b32_e64 v4, 0, 4, vcc_lo
	s_delay_alu instid0(VALU_DEP_1)
	v_add_lshl_u32 v4, v4, v34, 2
	ds_bpermute_b32 v6, v4, v5
	ds_bpermute_b32 v4, v4, v2
	v_cmpx_lt_u32_e64 v7, v3
	;; [unrolled: 25-line block ×3, first 2 shown]
	s_cbranch_execz .LBB52_47
; %bb.46:
	s_wait_dscnt 0x1
	v_add_co_u32 v5, vcc_lo, v1, v6
	s_wait_alu 0xfffd
	v_add_co_ci_u32_e64 v2, null, 0, v2, vcc_lo
	s_delay_alu instid0(VALU_DEP_2) | instskip(SKIP_2) | instid1(VALU_DEP_2)
	v_add_co_u32 v1, vcc_lo, 0, v5
	s_wait_dscnt 0x0
	s_wait_alu 0xfffd
	v_add_co_ci_u32_e64 v2, null, v4, v2, vcc_lo
.LBB52_47:
	s_wait_alu 0xfffe
	s_or_b32 exec_lo, exec_lo, s1
	s_wait_dscnt 0x0
	v_lshlrev_b32_e32 v4, 2, v34
	s_mov_b32 s1, exec_lo
	s_delay_alu instid0(VALU_DEP_1) | instskip(SKIP_3) | instid1(VALU_DEP_1)
	v_or_b32_e32 v7, 64, v4
	ds_bpermute_b32 v6, v7, v5
	ds_bpermute_b32 v5, v7, v2
	v_add_nc_u32_e32 v7, 16, v34
	v_cmpx_lt_u32_e64 v7, v3
	s_cbranch_execz .LBB52_49
; %bb.48:
	s_wait_dscnt 0x1
	v_add_co_u32 v1, vcc_lo, v1, v6
	s_wait_alu 0xfffd
	v_add_co_ci_u32_e64 v2, null, 0, v2, vcc_lo
	s_delay_alu instid0(VALU_DEP_2) | instskip(SKIP_2) | instid1(VALU_DEP_2)
	v_add_co_u32 v1, vcc_lo, v1, 0
	s_wait_dscnt 0x0
	s_wait_alu 0xfffd
	v_add_co_ci_u32_e64 v2, null, v2, v5, vcc_lo
.LBB52_49:
	s_wait_alu 0xfffe
	s_or_b32 exec_lo, exec_lo, s1
	s_delay_alu instid0(SALU_CYCLE_1)
	s_mov_b32 s1, exec_lo
	v_cmpx_eq_u32_e32 0, v34
; %bb.50:
	v_lshrrev_b32_e32 v3, 2, v0
	s_delay_alu instid0(VALU_DEP_1)
	v_and_b32_e32 v3, 56, v3
	ds_store_b64 v3, v[1:2] offset:64
; %bb.51:
	s_wait_alu 0xfffe
	s_or_b32 exec_lo, exec_lo, s1
	s_delay_alu instid0(SALU_CYCLE_1)
	s_mov_b32 s1, exec_lo
	s_wait_dscnt 0x0
	s_barrier_signal -1
	s_barrier_wait -1
	global_inv scope:SCOPE_SE
	v_cmpx_gt_u32_e32 8, v0
	s_cbranch_execz .LBB52_59
; %bb.52:
	v_lshlrev_b32_e32 v1, 3, v34
	v_and_b32_e32 v3, 7, v34
	s_add_co_i32 s0, s0, 31
	s_wait_alu 0xfffe
	s_lshr_b32 s0, s0, 5
	ds_load_b64 v[1:2], v1 offset:64
	v_cmp_ne_u32_e32 vcc_lo, 7, v3
	s_wait_alu 0xfffd
	v_add_co_ci_u32_e64 v5, null, 0, v34, vcc_lo
	s_delay_alu instid0(VALU_DEP_1)
	v_lshlrev_b32_e32 v5, 2, v5
	s_wait_dscnt 0x0
	ds_bpermute_b32 v7, v5, v1
	ds_bpermute_b32 v6, v5, v2
	v_add_nc_u32_e32 v5, 1, v3
	s_wait_alu 0xfffe
	s_delay_alu instid0(VALU_DEP_1)
	v_cmp_gt_u32_e32 vcc_lo, s0, v5
	v_mov_b32_e32 v5, v1
	s_and_saveexec_b32 s2, vcc_lo
	s_cbranch_execz .LBB52_54
; %bb.53:
	s_wait_dscnt 0x1
	v_add_co_u32 v5, vcc_lo, v1, v7
	s_wait_alu 0xfffd
	v_add_co_ci_u32_e64 v2, null, 0, v2, vcc_lo
	s_delay_alu instid0(VALU_DEP_2) | instskip(SKIP_2) | instid1(VALU_DEP_2)
	v_add_co_u32 v1, vcc_lo, 0, v5
	s_wait_dscnt 0x0
	s_wait_alu 0xfffd
	v_add_co_ci_u32_e64 v2, null, v6, v2, vcc_lo
.LBB52_54:
	s_wait_alu 0xfffe
	s_or_b32 exec_lo, exec_lo, s2
	v_cmp_gt_u32_e32 vcc_lo, 6, v3
	v_add_nc_u32_e32 v8, 2, v3
	s_mov_b32 s2, exec_lo
	s_wait_dscnt 0x0
	s_wait_alu 0xfffd
	v_cndmask_b32_e64 v6, 0, 2, vcc_lo
	s_delay_alu instid0(VALU_DEP_1)
	v_add_lshl_u32 v6, v6, v34, 2
	ds_bpermute_b32 v7, v6, v5
	ds_bpermute_b32 v6, v6, v2
	v_cmpx_gt_u32_e64 s0, v8
	s_cbranch_execz .LBB52_56
; %bb.55:
	s_wait_dscnt 0x1
	v_add_co_u32 v5, vcc_lo, v1, v7
	s_wait_alu 0xfffd
	v_add_co_ci_u32_e64 v2, null, 0, v2, vcc_lo
	s_delay_alu instid0(VALU_DEP_2) | instskip(SKIP_2) | instid1(VALU_DEP_2)
	v_add_co_u32 v1, vcc_lo, 0, v5
	s_wait_dscnt 0x0
	s_wait_alu 0xfffd
	v_add_co_ci_u32_e64 v2, null, v6, v2, vcc_lo
.LBB52_56:
	s_wait_alu 0xfffe
	s_or_b32 exec_lo, exec_lo, s2
	v_or_b32_e32 v4, 16, v4
	v_add_nc_u32_e32 v3, 4, v3
	ds_bpermute_b32 v5, v4, v5
	ds_bpermute_b32 v4, v4, v2
	v_cmp_gt_u32_e32 vcc_lo, s0, v3
	s_and_saveexec_b32 s0, vcc_lo
	s_cbranch_execz .LBB52_58
; %bb.57:
	s_wait_dscnt 0x1
	v_add_co_u32 v1, vcc_lo, v1, v5
	s_wait_alu 0xfffd
	v_add_co_ci_u32_e64 v2, null, 0, v2, vcc_lo
	s_delay_alu instid0(VALU_DEP_2) | instskip(SKIP_2) | instid1(VALU_DEP_2)
	v_add_co_u32 v1, vcc_lo, v1, 0
	s_wait_dscnt 0x0
	s_wait_alu 0xfffd
	v_add_co_ci_u32_e64 v2, null, v2, v4, vcc_lo
.LBB52_58:
	s_wait_alu 0xfffe
	s_or_b32 exec_lo, exec_lo, s0
.LBB52_59:
	s_wait_alu 0xfffe
	s_or_b32 exec_lo, exec_lo, s1
.LBB52_60:
	s_delay_alu instid0(SALU_CYCLE_1)
	s_mov_b32 s0, exec_lo
	v_cmpx_eq_u32_e32 0, v0
	s_cbranch_execz .LBB52_62
; %bb.61:
	s_mul_u64 s[0:1], s[22:23], s[20:21]
	v_mov_b32_e32 v0, 0
	s_wait_alu 0xfffe
	s_lshl_b64 s[0:1], s[0:1], 3
	s_cmp_eq_u64 s[16:17], 0
	s_wait_alu 0xfffe
	s_add_nc_u64 s[0:1], s[18:19], s[0:1]
	s_cselect_b32 s2, -1, 0
	s_wait_alu 0xfffe
	v_cndmask_b32_e64 v2, v2, s27, s2
	v_cndmask_b32_e64 v1, v1, s26, s2
	s_lshl_b64 s[2:3], s[24:25], 3
	s_wait_alu 0xfffe
	s_add_nc_u64 s[0:1], s[0:1], s[2:3]
	global_store_b64 v0, v[1:2], s[0:1]
.LBB52_62:
	s_endpgm
	.section	.rodata,"a",@progbits
	.p2align	6, 0x0
	.amdhsa_kernel _ZN7rocprim17ROCPRIM_400000_NS6detail17trampoline_kernelINS0_14default_configENS1_22reduce_config_selectorIlEEZNS1_11reduce_implILb1ES3_PlS7_lN6thrust23THRUST_200600_302600_NS4plusIlEEEE10hipError_tPvRmT1_T2_T3_mT4_P12ihipStream_tbEUlT_E0_NS1_11comp_targetILNS1_3genE10ELNS1_11target_archE1201ELNS1_3gpuE5ELNS1_3repE0EEENS1_30default_config_static_selectorELNS0_4arch9wavefront6targetE0EEEvSF_
		.amdhsa_group_segment_fixed_size 128
		.amdhsa_private_segment_fixed_size 0
		.amdhsa_kernarg_size 64
		.amdhsa_user_sgpr_count 2
		.amdhsa_user_sgpr_dispatch_ptr 0
		.amdhsa_user_sgpr_queue_ptr 0
		.amdhsa_user_sgpr_kernarg_segment_ptr 1
		.amdhsa_user_sgpr_dispatch_id 0
		.amdhsa_user_sgpr_private_segment_size 0
		.amdhsa_wavefront_size32 1
		.amdhsa_uses_dynamic_stack 0
		.amdhsa_enable_private_segment 0
		.amdhsa_system_sgpr_workgroup_id_x 1
		.amdhsa_system_sgpr_workgroup_id_y 0
		.amdhsa_system_sgpr_workgroup_id_z 0
		.amdhsa_system_sgpr_workgroup_info 0
		.amdhsa_system_vgpr_workitem_id 0
		.amdhsa_next_free_vgpr 36
		.amdhsa_next_free_sgpr 30
		.amdhsa_reserve_vcc 1
		.amdhsa_float_round_mode_32 0
		.amdhsa_float_round_mode_16_64 0
		.amdhsa_float_denorm_mode_32 3
		.amdhsa_float_denorm_mode_16_64 3
		.amdhsa_fp16_overflow 0
		.amdhsa_workgroup_processor_mode 1
		.amdhsa_memory_ordered 1
		.amdhsa_forward_progress 1
		.amdhsa_inst_pref_size 34
		.amdhsa_round_robin_scheduling 0
		.amdhsa_exception_fp_ieee_invalid_op 0
		.amdhsa_exception_fp_denorm_src 0
		.amdhsa_exception_fp_ieee_div_zero 0
		.amdhsa_exception_fp_ieee_overflow 0
		.amdhsa_exception_fp_ieee_underflow 0
		.amdhsa_exception_fp_ieee_inexact 0
		.amdhsa_exception_int_div_zero 0
	.end_amdhsa_kernel
	.section	.text._ZN7rocprim17ROCPRIM_400000_NS6detail17trampoline_kernelINS0_14default_configENS1_22reduce_config_selectorIlEEZNS1_11reduce_implILb1ES3_PlS7_lN6thrust23THRUST_200600_302600_NS4plusIlEEEE10hipError_tPvRmT1_T2_T3_mT4_P12ihipStream_tbEUlT_E0_NS1_11comp_targetILNS1_3genE10ELNS1_11target_archE1201ELNS1_3gpuE5ELNS1_3repE0EEENS1_30default_config_static_selectorELNS0_4arch9wavefront6targetE0EEEvSF_,"axG",@progbits,_ZN7rocprim17ROCPRIM_400000_NS6detail17trampoline_kernelINS0_14default_configENS1_22reduce_config_selectorIlEEZNS1_11reduce_implILb1ES3_PlS7_lN6thrust23THRUST_200600_302600_NS4plusIlEEEE10hipError_tPvRmT1_T2_T3_mT4_P12ihipStream_tbEUlT_E0_NS1_11comp_targetILNS1_3genE10ELNS1_11target_archE1201ELNS1_3gpuE5ELNS1_3repE0EEENS1_30default_config_static_selectorELNS0_4arch9wavefront6targetE0EEEvSF_,comdat
.Lfunc_end52:
	.size	_ZN7rocprim17ROCPRIM_400000_NS6detail17trampoline_kernelINS0_14default_configENS1_22reduce_config_selectorIlEEZNS1_11reduce_implILb1ES3_PlS7_lN6thrust23THRUST_200600_302600_NS4plusIlEEEE10hipError_tPvRmT1_T2_T3_mT4_P12ihipStream_tbEUlT_E0_NS1_11comp_targetILNS1_3genE10ELNS1_11target_archE1201ELNS1_3gpuE5ELNS1_3repE0EEENS1_30default_config_static_selectorELNS0_4arch9wavefront6targetE0EEEvSF_, .Lfunc_end52-_ZN7rocprim17ROCPRIM_400000_NS6detail17trampoline_kernelINS0_14default_configENS1_22reduce_config_selectorIlEEZNS1_11reduce_implILb1ES3_PlS7_lN6thrust23THRUST_200600_302600_NS4plusIlEEEE10hipError_tPvRmT1_T2_T3_mT4_P12ihipStream_tbEUlT_E0_NS1_11comp_targetILNS1_3genE10ELNS1_11target_archE1201ELNS1_3gpuE5ELNS1_3repE0EEENS1_30default_config_static_selectorELNS0_4arch9wavefront6targetE0EEEvSF_
                                        ; -- End function
	.set _ZN7rocprim17ROCPRIM_400000_NS6detail17trampoline_kernelINS0_14default_configENS1_22reduce_config_selectorIlEEZNS1_11reduce_implILb1ES3_PlS7_lN6thrust23THRUST_200600_302600_NS4plusIlEEEE10hipError_tPvRmT1_T2_T3_mT4_P12ihipStream_tbEUlT_E0_NS1_11comp_targetILNS1_3genE10ELNS1_11target_archE1201ELNS1_3gpuE5ELNS1_3repE0EEENS1_30default_config_static_selectorELNS0_4arch9wavefront6targetE0EEEvSF_.num_vgpr, 36
	.set _ZN7rocprim17ROCPRIM_400000_NS6detail17trampoline_kernelINS0_14default_configENS1_22reduce_config_selectorIlEEZNS1_11reduce_implILb1ES3_PlS7_lN6thrust23THRUST_200600_302600_NS4plusIlEEEE10hipError_tPvRmT1_T2_T3_mT4_P12ihipStream_tbEUlT_E0_NS1_11comp_targetILNS1_3genE10ELNS1_11target_archE1201ELNS1_3gpuE5ELNS1_3repE0EEENS1_30default_config_static_selectorELNS0_4arch9wavefront6targetE0EEEvSF_.num_agpr, 0
	.set _ZN7rocprim17ROCPRIM_400000_NS6detail17trampoline_kernelINS0_14default_configENS1_22reduce_config_selectorIlEEZNS1_11reduce_implILb1ES3_PlS7_lN6thrust23THRUST_200600_302600_NS4plusIlEEEE10hipError_tPvRmT1_T2_T3_mT4_P12ihipStream_tbEUlT_E0_NS1_11comp_targetILNS1_3genE10ELNS1_11target_archE1201ELNS1_3gpuE5ELNS1_3repE0EEENS1_30default_config_static_selectorELNS0_4arch9wavefront6targetE0EEEvSF_.numbered_sgpr, 30
	.set _ZN7rocprim17ROCPRIM_400000_NS6detail17trampoline_kernelINS0_14default_configENS1_22reduce_config_selectorIlEEZNS1_11reduce_implILb1ES3_PlS7_lN6thrust23THRUST_200600_302600_NS4plusIlEEEE10hipError_tPvRmT1_T2_T3_mT4_P12ihipStream_tbEUlT_E0_NS1_11comp_targetILNS1_3genE10ELNS1_11target_archE1201ELNS1_3gpuE5ELNS1_3repE0EEENS1_30default_config_static_selectorELNS0_4arch9wavefront6targetE0EEEvSF_.num_named_barrier, 0
	.set _ZN7rocprim17ROCPRIM_400000_NS6detail17trampoline_kernelINS0_14default_configENS1_22reduce_config_selectorIlEEZNS1_11reduce_implILb1ES3_PlS7_lN6thrust23THRUST_200600_302600_NS4plusIlEEEE10hipError_tPvRmT1_T2_T3_mT4_P12ihipStream_tbEUlT_E0_NS1_11comp_targetILNS1_3genE10ELNS1_11target_archE1201ELNS1_3gpuE5ELNS1_3repE0EEENS1_30default_config_static_selectorELNS0_4arch9wavefront6targetE0EEEvSF_.private_seg_size, 0
	.set _ZN7rocprim17ROCPRIM_400000_NS6detail17trampoline_kernelINS0_14default_configENS1_22reduce_config_selectorIlEEZNS1_11reduce_implILb1ES3_PlS7_lN6thrust23THRUST_200600_302600_NS4plusIlEEEE10hipError_tPvRmT1_T2_T3_mT4_P12ihipStream_tbEUlT_E0_NS1_11comp_targetILNS1_3genE10ELNS1_11target_archE1201ELNS1_3gpuE5ELNS1_3repE0EEENS1_30default_config_static_selectorELNS0_4arch9wavefront6targetE0EEEvSF_.uses_vcc, 1
	.set _ZN7rocprim17ROCPRIM_400000_NS6detail17trampoline_kernelINS0_14default_configENS1_22reduce_config_selectorIlEEZNS1_11reduce_implILb1ES3_PlS7_lN6thrust23THRUST_200600_302600_NS4plusIlEEEE10hipError_tPvRmT1_T2_T3_mT4_P12ihipStream_tbEUlT_E0_NS1_11comp_targetILNS1_3genE10ELNS1_11target_archE1201ELNS1_3gpuE5ELNS1_3repE0EEENS1_30default_config_static_selectorELNS0_4arch9wavefront6targetE0EEEvSF_.uses_flat_scratch, 0
	.set _ZN7rocprim17ROCPRIM_400000_NS6detail17trampoline_kernelINS0_14default_configENS1_22reduce_config_selectorIlEEZNS1_11reduce_implILb1ES3_PlS7_lN6thrust23THRUST_200600_302600_NS4plusIlEEEE10hipError_tPvRmT1_T2_T3_mT4_P12ihipStream_tbEUlT_E0_NS1_11comp_targetILNS1_3genE10ELNS1_11target_archE1201ELNS1_3gpuE5ELNS1_3repE0EEENS1_30default_config_static_selectorELNS0_4arch9wavefront6targetE0EEEvSF_.has_dyn_sized_stack, 0
	.set _ZN7rocprim17ROCPRIM_400000_NS6detail17trampoline_kernelINS0_14default_configENS1_22reduce_config_selectorIlEEZNS1_11reduce_implILb1ES3_PlS7_lN6thrust23THRUST_200600_302600_NS4plusIlEEEE10hipError_tPvRmT1_T2_T3_mT4_P12ihipStream_tbEUlT_E0_NS1_11comp_targetILNS1_3genE10ELNS1_11target_archE1201ELNS1_3gpuE5ELNS1_3repE0EEENS1_30default_config_static_selectorELNS0_4arch9wavefront6targetE0EEEvSF_.has_recursion, 0
	.set _ZN7rocprim17ROCPRIM_400000_NS6detail17trampoline_kernelINS0_14default_configENS1_22reduce_config_selectorIlEEZNS1_11reduce_implILb1ES3_PlS7_lN6thrust23THRUST_200600_302600_NS4plusIlEEEE10hipError_tPvRmT1_T2_T3_mT4_P12ihipStream_tbEUlT_E0_NS1_11comp_targetILNS1_3genE10ELNS1_11target_archE1201ELNS1_3gpuE5ELNS1_3repE0EEENS1_30default_config_static_selectorELNS0_4arch9wavefront6targetE0EEEvSF_.has_indirect_call, 0
	.section	.AMDGPU.csdata,"",@progbits
; Kernel info:
; codeLenInByte = 4248
; TotalNumSgprs: 32
; NumVgprs: 36
; ScratchSize: 0
; MemoryBound: 0
; FloatMode: 240
; IeeeMode: 1
; LDSByteSize: 128 bytes/workgroup (compile time only)
; SGPRBlocks: 0
; VGPRBlocks: 4
; NumSGPRsForWavesPerEU: 32
; NumVGPRsForWavesPerEU: 36
; Occupancy: 16
; WaveLimiterHint : 1
; COMPUTE_PGM_RSRC2:SCRATCH_EN: 0
; COMPUTE_PGM_RSRC2:USER_SGPR: 2
; COMPUTE_PGM_RSRC2:TRAP_HANDLER: 0
; COMPUTE_PGM_RSRC2:TGID_X_EN: 1
; COMPUTE_PGM_RSRC2:TGID_Y_EN: 0
; COMPUTE_PGM_RSRC2:TGID_Z_EN: 0
; COMPUTE_PGM_RSRC2:TIDIG_COMP_CNT: 0
	.section	.text._ZN7rocprim17ROCPRIM_400000_NS6detail17trampoline_kernelINS0_14default_configENS1_22reduce_config_selectorIlEEZNS1_11reduce_implILb1ES3_PlS7_lN6thrust23THRUST_200600_302600_NS4plusIlEEEE10hipError_tPvRmT1_T2_T3_mT4_P12ihipStream_tbEUlT_E0_NS1_11comp_targetILNS1_3genE10ELNS1_11target_archE1200ELNS1_3gpuE4ELNS1_3repE0EEENS1_30default_config_static_selectorELNS0_4arch9wavefront6targetE0EEEvSF_,"axG",@progbits,_ZN7rocprim17ROCPRIM_400000_NS6detail17trampoline_kernelINS0_14default_configENS1_22reduce_config_selectorIlEEZNS1_11reduce_implILb1ES3_PlS7_lN6thrust23THRUST_200600_302600_NS4plusIlEEEE10hipError_tPvRmT1_T2_T3_mT4_P12ihipStream_tbEUlT_E0_NS1_11comp_targetILNS1_3genE10ELNS1_11target_archE1200ELNS1_3gpuE4ELNS1_3repE0EEENS1_30default_config_static_selectorELNS0_4arch9wavefront6targetE0EEEvSF_,comdat
	.protected	_ZN7rocprim17ROCPRIM_400000_NS6detail17trampoline_kernelINS0_14default_configENS1_22reduce_config_selectorIlEEZNS1_11reduce_implILb1ES3_PlS7_lN6thrust23THRUST_200600_302600_NS4plusIlEEEE10hipError_tPvRmT1_T2_T3_mT4_P12ihipStream_tbEUlT_E0_NS1_11comp_targetILNS1_3genE10ELNS1_11target_archE1200ELNS1_3gpuE4ELNS1_3repE0EEENS1_30default_config_static_selectorELNS0_4arch9wavefront6targetE0EEEvSF_ ; -- Begin function _ZN7rocprim17ROCPRIM_400000_NS6detail17trampoline_kernelINS0_14default_configENS1_22reduce_config_selectorIlEEZNS1_11reduce_implILb1ES3_PlS7_lN6thrust23THRUST_200600_302600_NS4plusIlEEEE10hipError_tPvRmT1_T2_T3_mT4_P12ihipStream_tbEUlT_E0_NS1_11comp_targetILNS1_3genE10ELNS1_11target_archE1200ELNS1_3gpuE4ELNS1_3repE0EEENS1_30default_config_static_selectorELNS0_4arch9wavefront6targetE0EEEvSF_
	.globl	_ZN7rocprim17ROCPRIM_400000_NS6detail17trampoline_kernelINS0_14default_configENS1_22reduce_config_selectorIlEEZNS1_11reduce_implILb1ES3_PlS7_lN6thrust23THRUST_200600_302600_NS4plusIlEEEE10hipError_tPvRmT1_T2_T3_mT4_P12ihipStream_tbEUlT_E0_NS1_11comp_targetILNS1_3genE10ELNS1_11target_archE1200ELNS1_3gpuE4ELNS1_3repE0EEENS1_30default_config_static_selectorELNS0_4arch9wavefront6targetE0EEEvSF_
	.p2align	8
	.type	_ZN7rocprim17ROCPRIM_400000_NS6detail17trampoline_kernelINS0_14default_configENS1_22reduce_config_selectorIlEEZNS1_11reduce_implILb1ES3_PlS7_lN6thrust23THRUST_200600_302600_NS4plusIlEEEE10hipError_tPvRmT1_T2_T3_mT4_P12ihipStream_tbEUlT_E0_NS1_11comp_targetILNS1_3genE10ELNS1_11target_archE1200ELNS1_3gpuE4ELNS1_3repE0EEENS1_30default_config_static_selectorELNS0_4arch9wavefront6targetE0EEEvSF_,@function
_ZN7rocprim17ROCPRIM_400000_NS6detail17trampoline_kernelINS0_14default_configENS1_22reduce_config_selectorIlEEZNS1_11reduce_implILb1ES3_PlS7_lN6thrust23THRUST_200600_302600_NS4plusIlEEEE10hipError_tPvRmT1_T2_T3_mT4_P12ihipStream_tbEUlT_E0_NS1_11comp_targetILNS1_3genE10ELNS1_11target_archE1200ELNS1_3gpuE4ELNS1_3repE0EEENS1_30default_config_static_selectorELNS0_4arch9wavefront6targetE0EEEvSF_: ; @_ZN7rocprim17ROCPRIM_400000_NS6detail17trampoline_kernelINS0_14default_configENS1_22reduce_config_selectorIlEEZNS1_11reduce_implILb1ES3_PlS7_lN6thrust23THRUST_200600_302600_NS4plusIlEEEE10hipError_tPvRmT1_T2_T3_mT4_P12ihipStream_tbEUlT_E0_NS1_11comp_targetILNS1_3genE10ELNS1_11target_archE1200ELNS1_3gpuE4ELNS1_3repE0EEENS1_30default_config_static_selectorELNS0_4arch9wavefront6targetE0EEEvSF_
; %bb.0:
	.section	.rodata,"a",@progbits
	.p2align	6, 0x0
	.amdhsa_kernel _ZN7rocprim17ROCPRIM_400000_NS6detail17trampoline_kernelINS0_14default_configENS1_22reduce_config_selectorIlEEZNS1_11reduce_implILb1ES3_PlS7_lN6thrust23THRUST_200600_302600_NS4plusIlEEEE10hipError_tPvRmT1_T2_T3_mT4_P12ihipStream_tbEUlT_E0_NS1_11comp_targetILNS1_3genE10ELNS1_11target_archE1200ELNS1_3gpuE4ELNS1_3repE0EEENS1_30default_config_static_selectorELNS0_4arch9wavefront6targetE0EEEvSF_
		.amdhsa_group_segment_fixed_size 0
		.amdhsa_private_segment_fixed_size 0
		.amdhsa_kernarg_size 64
		.amdhsa_user_sgpr_count 2
		.amdhsa_user_sgpr_dispatch_ptr 0
		.amdhsa_user_sgpr_queue_ptr 0
		.amdhsa_user_sgpr_kernarg_segment_ptr 1
		.amdhsa_user_sgpr_dispatch_id 0
		.amdhsa_user_sgpr_private_segment_size 0
		.amdhsa_wavefront_size32 1
		.amdhsa_uses_dynamic_stack 0
		.amdhsa_enable_private_segment 0
		.amdhsa_system_sgpr_workgroup_id_x 1
		.amdhsa_system_sgpr_workgroup_id_y 0
		.amdhsa_system_sgpr_workgroup_id_z 0
		.amdhsa_system_sgpr_workgroup_info 0
		.amdhsa_system_vgpr_workitem_id 0
		.amdhsa_next_free_vgpr 1
		.amdhsa_next_free_sgpr 1
		.amdhsa_reserve_vcc 0
		.amdhsa_float_round_mode_32 0
		.amdhsa_float_round_mode_16_64 0
		.amdhsa_float_denorm_mode_32 3
		.amdhsa_float_denorm_mode_16_64 3
		.amdhsa_fp16_overflow 0
		.amdhsa_workgroup_processor_mode 1
		.amdhsa_memory_ordered 1
		.amdhsa_forward_progress 1
		.amdhsa_inst_pref_size 0
		.amdhsa_round_robin_scheduling 0
		.amdhsa_exception_fp_ieee_invalid_op 0
		.amdhsa_exception_fp_denorm_src 0
		.amdhsa_exception_fp_ieee_div_zero 0
		.amdhsa_exception_fp_ieee_overflow 0
		.amdhsa_exception_fp_ieee_underflow 0
		.amdhsa_exception_fp_ieee_inexact 0
		.amdhsa_exception_int_div_zero 0
	.end_amdhsa_kernel
	.section	.text._ZN7rocprim17ROCPRIM_400000_NS6detail17trampoline_kernelINS0_14default_configENS1_22reduce_config_selectorIlEEZNS1_11reduce_implILb1ES3_PlS7_lN6thrust23THRUST_200600_302600_NS4plusIlEEEE10hipError_tPvRmT1_T2_T3_mT4_P12ihipStream_tbEUlT_E0_NS1_11comp_targetILNS1_3genE10ELNS1_11target_archE1200ELNS1_3gpuE4ELNS1_3repE0EEENS1_30default_config_static_selectorELNS0_4arch9wavefront6targetE0EEEvSF_,"axG",@progbits,_ZN7rocprim17ROCPRIM_400000_NS6detail17trampoline_kernelINS0_14default_configENS1_22reduce_config_selectorIlEEZNS1_11reduce_implILb1ES3_PlS7_lN6thrust23THRUST_200600_302600_NS4plusIlEEEE10hipError_tPvRmT1_T2_T3_mT4_P12ihipStream_tbEUlT_E0_NS1_11comp_targetILNS1_3genE10ELNS1_11target_archE1200ELNS1_3gpuE4ELNS1_3repE0EEENS1_30default_config_static_selectorELNS0_4arch9wavefront6targetE0EEEvSF_,comdat
.Lfunc_end53:
	.size	_ZN7rocprim17ROCPRIM_400000_NS6detail17trampoline_kernelINS0_14default_configENS1_22reduce_config_selectorIlEEZNS1_11reduce_implILb1ES3_PlS7_lN6thrust23THRUST_200600_302600_NS4plusIlEEEE10hipError_tPvRmT1_T2_T3_mT4_P12ihipStream_tbEUlT_E0_NS1_11comp_targetILNS1_3genE10ELNS1_11target_archE1200ELNS1_3gpuE4ELNS1_3repE0EEENS1_30default_config_static_selectorELNS0_4arch9wavefront6targetE0EEEvSF_, .Lfunc_end53-_ZN7rocprim17ROCPRIM_400000_NS6detail17trampoline_kernelINS0_14default_configENS1_22reduce_config_selectorIlEEZNS1_11reduce_implILb1ES3_PlS7_lN6thrust23THRUST_200600_302600_NS4plusIlEEEE10hipError_tPvRmT1_T2_T3_mT4_P12ihipStream_tbEUlT_E0_NS1_11comp_targetILNS1_3genE10ELNS1_11target_archE1200ELNS1_3gpuE4ELNS1_3repE0EEENS1_30default_config_static_selectorELNS0_4arch9wavefront6targetE0EEEvSF_
                                        ; -- End function
	.set _ZN7rocprim17ROCPRIM_400000_NS6detail17trampoline_kernelINS0_14default_configENS1_22reduce_config_selectorIlEEZNS1_11reduce_implILb1ES3_PlS7_lN6thrust23THRUST_200600_302600_NS4plusIlEEEE10hipError_tPvRmT1_T2_T3_mT4_P12ihipStream_tbEUlT_E0_NS1_11comp_targetILNS1_3genE10ELNS1_11target_archE1200ELNS1_3gpuE4ELNS1_3repE0EEENS1_30default_config_static_selectorELNS0_4arch9wavefront6targetE0EEEvSF_.num_vgpr, 0
	.set _ZN7rocprim17ROCPRIM_400000_NS6detail17trampoline_kernelINS0_14default_configENS1_22reduce_config_selectorIlEEZNS1_11reduce_implILb1ES3_PlS7_lN6thrust23THRUST_200600_302600_NS4plusIlEEEE10hipError_tPvRmT1_T2_T3_mT4_P12ihipStream_tbEUlT_E0_NS1_11comp_targetILNS1_3genE10ELNS1_11target_archE1200ELNS1_3gpuE4ELNS1_3repE0EEENS1_30default_config_static_selectorELNS0_4arch9wavefront6targetE0EEEvSF_.num_agpr, 0
	.set _ZN7rocprim17ROCPRIM_400000_NS6detail17trampoline_kernelINS0_14default_configENS1_22reduce_config_selectorIlEEZNS1_11reduce_implILb1ES3_PlS7_lN6thrust23THRUST_200600_302600_NS4plusIlEEEE10hipError_tPvRmT1_T2_T3_mT4_P12ihipStream_tbEUlT_E0_NS1_11comp_targetILNS1_3genE10ELNS1_11target_archE1200ELNS1_3gpuE4ELNS1_3repE0EEENS1_30default_config_static_selectorELNS0_4arch9wavefront6targetE0EEEvSF_.numbered_sgpr, 0
	.set _ZN7rocprim17ROCPRIM_400000_NS6detail17trampoline_kernelINS0_14default_configENS1_22reduce_config_selectorIlEEZNS1_11reduce_implILb1ES3_PlS7_lN6thrust23THRUST_200600_302600_NS4plusIlEEEE10hipError_tPvRmT1_T2_T3_mT4_P12ihipStream_tbEUlT_E0_NS1_11comp_targetILNS1_3genE10ELNS1_11target_archE1200ELNS1_3gpuE4ELNS1_3repE0EEENS1_30default_config_static_selectorELNS0_4arch9wavefront6targetE0EEEvSF_.num_named_barrier, 0
	.set _ZN7rocprim17ROCPRIM_400000_NS6detail17trampoline_kernelINS0_14default_configENS1_22reduce_config_selectorIlEEZNS1_11reduce_implILb1ES3_PlS7_lN6thrust23THRUST_200600_302600_NS4plusIlEEEE10hipError_tPvRmT1_T2_T3_mT4_P12ihipStream_tbEUlT_E0_NS1_11comp_targetILNS1_3genE10ELNS1_11target_archE1200ELNS1_3gpuE4ELNS1_3repE0EEENS1_30default_config_static_selectorELNS0_4arch9wavefront6targetE0EEEvSF_.private_seg_size, 0
	.set _ZN7rocprim17ROCPRIM_400000_NS6detail17trampoline_kernelINS0_14default_configENS1_22reduce_config_selectorIlEEZNS1_11reduce_implILb1ES3_PlS7_lN6thrust23THRUST_200600_302600_NS4plusIlEEEE10hipError_tPvRmT1_T2_T3_mT4_P12ihipStream_tbEUlT_E0_NS1_11comp_targetILNS1_3genE10ELNS1_11target_archE1200ELNS1_3gpuE4ELNS1_3repE0EEENS1_30default_config_static_selectorELNS0_4arch9wavefront6targetE0EEEvSF_.uses_vcc, 0
	.set _ZN7rocprim17ROCPRIM_400000_NS6detail17trampoline_kernelINS0_14default_configENS1_22reduce_config_selectorIlEEZNS1_11reduce_implILb1ES3_PlS7_lN6thrust23THRUST_200600_302600_NS4plusIlEEEE10hipError_tPvRmT1_T2_T3_mT4_P12ihipStream_tbEUlT_E0_NS1_11comp_targetILNS1_3genE10ELNS1_11target_archE1200ELNS1_3gpuE4ELNS1_3repE0EEENS1_30default_config_static_selectorELNS0_4arch9wavefront6targetE0EEEvSF_.uses_flat_scratch, 0
	.set _ZN7rocprim17ROCPRIM_400000_NS6detail17trampoline_kernelINS0_14default_configENS1_22reduce_config_selectorIlEEZNS1_11reduce_implILb1ES3_PlS7_lN6thrust23THRUST_200600_302600_NS4plusIlEEEE10hipError_tPvRmT1_T2_T3_mT4_P12ihipStream_tbEUlT_E0_NS1_11comp_targetILNS1_3genE10ELNS1_11target_archE1200ELNS1_3gpuE4ELNS1_3repE0EEENS1_30default_config_static_selectorELNS0_4arch9wavefront6targetE0EEEvSF_.has_dyn_sized_stack, 0
	.set _ZN7rocprim17ROCPRIM_400000_NS6detail17trampoline_kernelINS0_14default_configENS1_22reduce_config_selectorIlEEZNS1_11reduce_implILb1ES3_PlS7_lN6thrust23THRUST_200600_302600_NS4plusIlEEEE10hipError_tPvRmT1_T2_T3_mT4_P12ihipStream_tbEUlT_E0_NS1_11comp_targetILNS1_3genE10ELNS1_11target_archE1200ELNS1_3gpuE4ELNS1_3repE0EEENS1_30default_config_static_selectorELNS0_4arch9wavefront6targetE0EEEvSF_.has_recursion, 0
	.set _ZN7rocprim17ROCPRIM_400000_NS6detail17trampoline_kernelINS0_14default_configENS1_22reduce_config_selectorIlEEZNS1_11reduce_implILb1ES3_PlS7_lN6thrust23THRUST_200600_302600_NS4plusIlEEEE10hipError_tPvRmT1_T2_T3_mT4_P12ihipStream_tbEUlT_E0_NS1_11comp_targetILNS1_3genE10ELNS1_11target_archE1200ELNS1_3gpuE4ELNS1_3repE0EEENS1_30default_config_static_selectorELNS0_4arch9wavefront6targetE0EEEvSF_.has_indirect_call, 0
	.section	.AMDGPU.csdata,"",@progbits
; Kernel info:
; codeLenInByte = 0
; TotalNumSgprs: 0
; NumVgprs: 0
; ScratchSize: 0
; MemoryBound: 0
; FloatMode: 240
; IeeeMode: 1
; LDSByteSize: 0 bytes/workgroup (compile time only)
; SGPRBlocks: 0
; VGPRBlocks: 0
; NumSGPRsForWavesPerEU: 1
; NumVGPRsForWavesPerEU: 1
; Occupancy: 16
; WaveLimiterHint : 0
; COMPUTE_PGM_RSRC2:SCRATCH_EN: 0
; COMPUTE_PGM_RSRC2:USER_SGPR: 2
; COMPUTE_PGM_RSRC2:TRAP_HANDLER: 0
; COMPUTE_PGM_RSRC2:TGID_X_EN: 1
; COMPUTE_PGM_RSRC2:TGID_Y_EN: 0
; COMPUTE_PGM_RSRC2:TGID_Z_EN: 0
; COMPUTE_PGM_RSRC2:TIDIG_COMP_CNT: 0
	.section	.text._ZN7rocprim17ROCPRIM_400000_NS6detail17trampoline_kernelINS0_14default_configENS1_22reduce_config_selectorIlEEZNS1_11reduce_implILb1ES3_PlS7_lN6thrust23THRUST_200600_302600_NS4plusIlEEEE10hipError_tPvRmT1_T2_T3_mT4_P12ihipStream_tbEUlT_E0_NS1_11comp_targetILNS1_3genE9ELNS1_11target_archE1100ELNS1_3gpuE3ELNS1_3repE0EEENS1_30default_config_static_selectorELNS0_4arch9wavefront6targetE0EEEvSF_,"axG",@progbits,_ZN7rocprim17ROCPRIM_400000_NS6detail17trampoline_kernelINS0_14default_configENS1_22reduce_config_selectorIlEEZNS1_11reduce_implILb1ES3_PlS7_lN6thrust23THRUST_200600_302600_NS4plusIlEEEE10hipError_tPvRmT1_T2_T3_mT4_P12ihipStream_tbEUlT_E0_NS1_11comp_targetILNS1_3genE9ELNS1_11target_archE1100ELNS1_3gpuE3ELNS1_3repE0EEENS1_30default_config_static_selectorELNS0_4arch9wavefront6targetE0EEEvSF_,comdat
	.protected	_ZN7rocprim17ROCPRIM_400000_NS6detail17trampoline_kernelINS0_14default_configENS1_22reduce_config_selectorIlEEZNS1_11reduce_implILb1ES3_PlS7_lN6thrust23THRUST_200600_302600_NS4plusIlEEEE10hipError_tPvRmT1_T2_T3_mT4_P12ihipStream_tbEUlT_E0_NS1_11comp_targetILNS1_3genE9ELNS1_11target_archE1100ELNS1_3gpuE3ELNS1_3repE0EEENS1_30default_config_static_selectorELNS0_4arch9wavefront6targetE0EEEvSF_ ; -- Begin function _ZN7rocprim17ROCPRIM_400000_NS6detail17trampoline_kernelINS0_14default_configENS1_22reduce_config_selectorIlEEZNS1_11reduce_implILb1ES3_PlS7_lN6thrust23THRUST_200600_302600_NS4plusIlEEEE10hipError_tPvRmT1_T2_T3_mT4_P12ihipStream_tbEUlT_E0_NS1_11comp_targetILNS1_3genE9ELNS1_11target_archE1100ELNS1_3gpuE3ELNS1_3repE0EEENS1_30default_config_static_selectorELNS0_4arch9wavefront6targetE0EEEvSF_
	.globl	_ZN7rocprim17ROCPRIM_400000_NS6detail17trampoline_kernelINS0_14default_configENS1_22reduce_config_selectorIlEEZNS1_11reduce_implILb1ES3_PlS7_lN6thrust23THRUST_200600_302600_NS4plusIlEEEE10hipError_tPvRmT1_T2_T3_mT4_P12ihipStream_tbEUlT_E0_NS1_11comp_targetILNS1_3genE9ELNS1_11target_archE1100ELNS1_3gpuE3ELNS1_3repE0EEENS1_30default_config_static_selectorELNS0_4arch9wavefront6targetE0EEEvSF_
	.p2align	8
	.type	_ZN7rocprim17ROCPRIM_400000_NS6detail17trampoline_kernelINS0_14default_configENS1_22reduce_config_selectorIlEEZNS1_11reduce_implILb1ES3_PlS7_lN6thrust23THRUST_200600_302600_NS4plusIlEEEE10hipError_tPvRmT1_T2_T3_mT4_P12ihipStream_tbEUlT_E0_NS1_11comp_targetILNS1_3genE9ELNS1_11target_archE1100ELNS1_3gpuE3ELNS1_3repE0EEENS1_30default_config_static_selectorELNS0_4arch9wavefront6targetE0EEEvSF_,@function
_ZN7rocprim17ROCPRIM_400000_NS6detail17trampoline_kernelINS0_14default_configENS1_22reduce_config_selectorIlEEZNS1_11reduce_implILb1ES3_PlS7_lN6thrust23THRUST_200600_302600_NS4plusIlEEEE10hipError_tPvRmT1_T2_T3_mT4_P12ihipStream_tbEUlT_E0_NS1_11comp_targetILNS1_3genE9ELNS1_11target_archE1100ELNS1_3gpuE3ELNS1_3repE0EEENS1_30default_config_static_selectorELNS0_4arch9wavefront6targetE0EEEvSF_: ; @_ZN7rocprim17ROCPRIM_400000_NS6detail17trampoline_kernelINS0_14default_configENS1_22reduce_config_selectorIlEEZNS1_11reduce_implILb1ES3_PlS7_lN6thrust23THRUST_200600_302600_NS4plusIlEEEE10hipError_tPvRmT1_T2_T3_mT4_P12ihipStream_tbEUlT_E0_NS1_11comp_targetILNS1_3genE9ELNS1_11target_archE1100ELNS1_3gpuE3ELNS1_3repE0EEENS1_30default_config_static_selectorELNS0_4arch9wavefront6targetE0EEEvSF_
; %bb.0:
	.section	.rodata,"a",@progbits
	.p2align	6, 0x0
	.amdhsa_kernel _ZN7rocprim17ROCPRIM_400000_NS6detail17trampoline_kernelINS0_14default_configENS1_22reduce_config_selectorIlEEZNS1_11reduce_implILb1ES3_PlS7_lN6thrust23THRUST_200600_302600_NS4plusIlEEEE10hipError_tPvRmT1_T2_T3_mT4_P12ihipStream_tbEUlT_E0_NS1_11comp_targetILNS1_3genE9ELNS1_11target_archE1100ELNS1_3gpuE3ELNS1_3repE0EEENS1_30default_config_static_selectorELNS0_4arch9wavefront6targetE0EEEvSF_
		.amdhsa_group_segment_fixed_size 0
		.amdhsa_private_segment_fixed_size 0
		.amdhsa_kernarg_size 64
		.amdhsa_user_sgpr_count 2
		.amdhsa_user_sgpr_dispatch_ptr 0
		.amdhsa_user_sgpr_queue_ptr 0
		.amdhsa_user_sgpr_kernarg_segment_ptr 1
		.amdhsa_user_sgpr_dispatch_id 0
		.amdhsa_user_sgpr_private_segment_size 0
		.amdhsa_wavefront_size32 1
		.amdhsa_uses_dynamic_stack 0
		.amdhsa_enable_private_segment 0
		.amdhsa_system_sgpr_workgroup_id_x 1
		.amdhsa_system_sgpr_workgroup_id_y 0
		.amdhsa_system_sgpr_workgroup_id_z 0
		.amdhsa_system_sgpr_workgroup_info 0
		.amdhsa_system_vgpr_workitem_id 0
		.amdhsa_next_free_vgpr 1
		.amdhsa_next_free_sgpr 1
		.amdhsa_reserve_vcc 0
		.amdhsa_float_round_mode_32 0
		.amdhsa_float_round_mode_16_64 0
		.amdhsa_float_denorm_mode_32 3
		.amdhsa_float_denorm_mode_16_64 3
		.amdhsa_fp16_overflow 0
		.amdhsa_workgroup_processor_mode 1
		.amdhsa_memory_ordered 1
		.amdhsa_forward_progress 1
		.amdhsa_inst_pref_size 0
		.amdhsa_round_robin_scheduling 0
		.amdhsa_exception_fp_ieee_invalid_op 0
		.amdhsa_exception_fp_denorm_src 0
		.amdhsa_exception_fp_ieee_div_zero 0
		.amdhsa_exception_fp_ieee_overflow 0
		.amdhsa_exception_fp_ieee_underflow 0
		.amdhsa_exception_fp_ieee_inexact 0
		.amdhsa_exception_int_div_zero 0
	.end_amdhsa_kernel
	.section	.text._ZN7rocprim17ROCPRIM_400000_NS6detail17trampoline_kernelINS0_14default_configENS1_22reduce_config_selectorIlEEZNS1_11reduce_implILb1ES3_PlS7_lN6thrust23THRUST_200600_302600_NS4plusIlEEEE10hipError_tPvRmT1_T2_T3_mT4_P12ihipStream_tbEUlT_E0_NS1_11comp_targetILNS1_3genE9ELNS1_11target_archE1100ELNS1_3gpuE3ELNS1_3repE0EEENS1_30default_config_static_selectorELNS0_4arch9wavefront6targetE0EEEvSF_,"axG",@progbits,_ZN7rocprim17ROCPRIM_400000_NS6detail17trampoline_kernelINS0_14default_configENS1_22reduce_config_selectorIlEEZNS1_11reduce_implILb1ES3_PlS7_lN6thrust23THRUST_200600_302600_NS4plusIlEEEE10hipError_tPvRmT1_T2_T3_mT4_P12ihipStream_tbEUlT_E0_NS1_11comp_targetILNS1_3genE9ELNS1_11target_archE1100ELNS1_3gpuE3ELNS1_3repE0EEENS1_30default_config_static_selectorELNS0_4arch9wavefront6targetE0EEEvSF_,comdat
.Lfunc_end54:
	.size	_ZN7rocprim17ROCPRIM_400000_NS6detail17trampoline_kernelINS0_14default_configENS1_22reduce_config_selectorIlEEZNS1_11reduce_implILb1ES3_PlS7_lN6thrust23THRUST_200600_302600_NS4plusIlEEEE10hipError_tPvRmT1_T2_T3_mT4_P12ihipStream_tbEUlT_E0_NS1_11comp_targetILNS1_3genE9ELNS1_11target_archE1100ELNS1_3gpuE3ELNS1_3repE0EEENS1_30default_config_static_selectorELNS0_4arch9wavefront6targetE0EEEvSF_, .Lfunc_end54-_ZN7rocprim17ROCPRIM_400000_NS6detail17trampoline_kernelINS0_14default_configENS1_22reduce_config_selectorIlEEZNS1_11reduce_implILb1ES3_PlS7_lN6thrust23THRUST_200600_302600_NS4plusIlEEEE10hipError_tPvRmT1_T2_T3_mT4_P12ihipStream_tbEUlT_E0_NS1_11comp_targetILNS1_3genE9ELNS1_11target_archE1100ELNS1_3gpuE3ELNS1_3repE0EEENS1_30default_config_static_selectorELNS0_4arch9wavefront6targetE0EEEvSF_
                                        ; -- End function
	.set _ZN7rocprim17ROCPRIM_400000_NS6detail17trampoline_kernelINS0_14default_configENS1_22reduce_config_selectorIlEEZNS1_11reduce_implILb1ES3_PlS7_lN6thrust23THRUST_200600_302600_NS4plusIlEEEE10hipError_tPvRmT1_T2_T3_mT4_P12ihipStream_tbEUlT_E0_NS1_11comp_targetILNS1_3genE9ELNS1_11target_archE1100ELNS1_3gpuE3ELNS1_3repE0EEENS1_30default_config_static_selectorELNS0_4arch9wavefront6targetE0EEEvSF_.num_vgpr, 0
	.set _ZN7rocprim17ROCPRIM_400000_NS6detail17trampoline_kernelINS0_14default_configENS1_22reduce_config_selectorIlEEZNS1_11reduce_implILb1ES3_PlS7_lN6thrust23THRUST_200600_302600_NS4plusIlEEEE10hipError_tPvRmT1_T2_T3_mT4_P12ihipStream_tbEUlT_E0_NS1_11comp_targetILNS1_3genE9ELNS1_11target_archE1100ELNS1_3gpuE3ELNS1_3repE0EEENS1_30default_config_static_selectorELNS0_4arch9wavefront6targetE0EEEvSF_.num_agpr, 0
	.set _ZN7rocprim17ROCPRIM_400000_NS6detail17trampoline_kernelINS0_14default_configENS1_22reduce_config_selectorIlEEZNS1_11reduce_implILb1ES3_PlS7_lN6thrust23THRUST_200600_302600_NS4plusIlEEEE10hipError_tPvRmT1_T2_T3_mT4_P12ihipStream_tbEUlT_E0_NS1_11comp_targetILNS1_3genE9ELNS1_11target_archE1100ELNS1_3gpuE3ELNS1_3repE0EEENS1_30default_config_static_selectorELNS0_4arch9wavefront6targetE0EEEvSF_.numbered_sgpr, 0
	.set _ZN7rocprim17ROCPRIM_400000_NS6detail17trampoline_kernelINS0_14default_configENS1_22reduce_config_selectorIlEEZNS1_11reduce_implILb1ES3_PlS7_lN6thrust23THRUST_200600_302600_NS4plusIlEEEE10hipError_tPvRmT1_T2_T3_mT4_P12ihipStream_tbEUlT_E0_NS1_11comp_targetILNS1_3genE9ELNS1_11target_archE1100ELNS1_3gpuE3ELNS1_3repE0EEENS1_30default_config_static_selectorELNS0_4arch9wavefront6targetE0EEEvSF_.num_named_barrier, 0
	.set _ZN7rocprim17ROCPRIM_400000_NS6detail17trampoline_kernelINS0_14default_configENS1_22reduce_config_selectorIlEEZNS1_11reduce_implILb1ES3_PlS7_lN6thrust23THRUST_200600_302600_NS4plusIlEEEE10hipError_tPvRmT1_T2_T3_mT4_P12ihipStream_tbEUlT_E0_NS1_11comp_targetILNS1_3genE9ELNS1_11target_archE1100ELNS1_3gpuE3ELNS1_3repE0EEENS1_30default_config_static_selectorELNS0_4arch9wavefront6targetE0EEEvSF_.private_seg_size, 0
	.set _ZN7rocprim17ROCPRIM_400000_NS6detail17trampoline_kernelINS0_14default_configENS1_22reduce_config_selectorIlEEZNS1_11reduce_implILb1ES3_PlS7_lN6thrust23THRUST_200600_302600_NS4plusIlEEEE10hipError_tPvRmT1_T2_T3_mT4_P12ihipStream_tbEUlT_E0_NS1_11comp_targetILNS1_3genE9ELNS1_11target_archE1100ELNS1_3gpuE3ELNS1_3repE0EEENS1_30default_config_static_selectorELNS0_4arch9wavefront6targetE0EEEvSF_.uses_vcc, 0
	.set _ZN7rocprim17ROCPRIM_400000_NS6detail17trampoline_kernelINS0_14default_configENS1_22reduce_config_selectorIlEEZNS1_11reduce_implILb1ES3_PlS7_lN6thrust23THRUST_200600_302600_NS4plusIlEEEE10hipError_tPvRmT1_T2_T3_mT4_P12ihipStream_tbEUlT_E0_NS1_11comp_targetILNS1_3genE9ELNS1_11target_archE1100ELNS1_3gpuE3ELNS1_3repE0EEENS1_30default_config_static_selectorELNS0_4arch9wavefront6targetE0EEEvSF_.uses_flat_scratch, 0
	.set _ZN7rocprim17ROCPRIM_400000_NS6detail17trampoline_kernelINS0_14default_configENS1_22reduce_config_selectorIlEEZNS1_11reduce_implILb1ES3_PlS7_lN6thrust23THRUST_200600_302600_NS4plusIlEEEE10hipError_tPvRmT1_T2_T3_mT4_P12ihipStream_tbEUlT_E0_NS1_11comp_targetILNS1_3genE9ELNS1_11target_archE1100ELNS1_3gpuE3ELNS1_3repE0EEENS1_30default_config_static_selectorELNS0_4arch9wavefront6targetE0EEEvSF_.has_dyn_sized_stack, 0
	.set _ZN7rocprim17ROCPRIM_400000_NS6detail17trampoline_kernelINS0_14default_configENS1_22reduce_config_selectorIlEEZNS1_11reduce_implILb1ES3_PlS7_lN6thrust23THRUST_200600_302600_NS4plusIlEEEE10hipError_tPvRmT1_T2_T3_mT4_P12ihipStream_tbEUlT_E0_NS1_11comp_targetILNS1_3genE9ELNS1_11target_archE1100ELNS1_3gpuE3ELNS1_3repE0EEENS1_30default_config_static_selectorELNS0_4arch9wavefront6targetE0EEEvSF_.has_recursion, 0
	.set _ZN7rocprim17ROCPRIM_400000_NS6detail17trampoline_kernelINS0_14default_configENS1_22reduce_config_selectorIlEEZNS1_11reduce_implILb1ES3_PlS7_lN6thrust23THRUST_200600_302600_NS4plusIlEEEE10hipError_tPvRmT1_T2_T3_mT4_P12ihipStream_tbEUlT_E0_NS1_11comp_targetILNS1_3genE9ELNS1_11target_archE1100ELNS1_3gpuE3ELNS1_3repE0EEENS1_30default_config_static_selectorELNS0_4arch9wavefront6targetE0EEEvSF_.has_indirect_call, 0
	.section	.AMDGPU.csdata,"",@progbits
; Kernel info:
; codeLenInByte = 0
; TotalNumSgprs: 0
; NumVgprs: 0
; ScratchSize: 0
; MemoryBound: 0
; FloatMode: 240
; IeeeMode: 1
; LDSByteSize: 0 bytes/workgroup (compile time only)
; SGPRBlocks: 0
; VGPRBlocks: 0
; NumSGPRsForWavesPerEU: 1
; NumVGPRsForWavesPerEU: 1
; Occupancy: 16
; WaveLimiterHint : 0
; COMPUTE_PGM_RSRC2:SCRATCH_EN: 0
; COMPUTE_PGM_RSRC2:USER_SGPR: 2
; COMPUTE_PGM_RSRC2:TRAP_HANDLER: 0
; COMPUTE_PGM_RSRC2:TGID_X_EN: 1
; COMPUTE_PGM_RSRC2:TGID_Y_EN: 0
; COMPUTE_PGM_RSRC2:TGID_Z_EN: 0
; COMPUTE_PGM_RSRC2:TIDIG_COMP_CNT: 0
	.section	.text._ZN7rocprim17ROCPRIM_400000_NS6detail17trampoline_kernelINS0_14default_configENS1_22reduce_config_selectorIlEEZNS1_11reduce_implILb1ES3_PlS7_lN6thrust23THRUST_200600_302600_NS4plusIlEEEE10hipError_tPvRmT1_T2_T3_mT4_P12ihipStream_tbEUlT_E0_NS1_11comp_targetILNS1_3genE8ELNS1_11target_archE1030ELNS1_3gpuE2ELNS1_3repE0EEENS1_30default_config_static_selectorELNS0_4arch9wavefront6targetE0EEEvSF_,"axG",@progbits,_ZN7rocprim17ROCPRIM_400000_NS6detail17trampoline_kernelINS0_14default_configENS1_22reduce_config_selectorIlEEZNS1_11reduce_implILb1ES3_PlS7_lN6thrust23THRUST_200600_302600_NS4plusIlEEEE10hipError_tPvRmT1_T2_T3_mT4_P12ihipStream_tbEUlT_E0_NS1_11comp_targetILNS1_3genE8ELNS1_11target_archE1030ELNS1_3gpuE2ELNS1_3repE0EEENS1_30default_config_static_selectorELNS0_4arch9wavefront6targetE0EEEvSF_,comdat
	.protected	_ZN7rocprim17ROCPRIM_400000_NS6detail17trampoline_kernelINS0_14default_configENS1_22reduce_config_selectorIlEEZNS1_11reduce_implILb1ES3_PlS7_lN6thrust23THRUST_200600_302600_NS4plusIlEEEE10hipError_tPvRmT1_T2_T3_mT4_P12ihipStream_tbEUlT_E0_NS1_11comp_targetILNS1_3genE8ELNS1_11target_archE1030ELNS1_3gpuE2ELNS1_3repE0EEENS1_30default_config_static_selectorELNS0_4arch9wavefront6targetE0EEEvSF_ ; -- Begin function _ZN7rocprim17ROCPRIM_400000_NS6detail17trampoline_kernelINS0_14default_configENS1_22reduce_config_selectorIlEEZNS1_11reduce_implILb1ES3_PlS7_lN6thrust23THRUST_200600_302600_NS4plusIlEEEE10hipError_tPvRmT1_T2_T3_mT4_P12ihipStream_tbEUlT_E0_NS1_11comp_targetILNS1_3genE8ELNS1_11target_archE1030ELNS1_3gpuE2ELNS1_3repE0EEENS1_30default_config_static_selectorELNS0_4arch9wavefront6targetE0EEEvSF_
	.globl	_ZN7rocprim17ROCPRIM_400000_NS6detail17trampoline_kernelINS0_14default_configENS1_22reduce_config_selectorIlEEZNS1_11reduce_implILb1ES3_PlS7_lN6thrust23THRUST_200600_302600_NS4plusIlEEEE10hipError_tPvRmT1_T2_T3_mT4_P12ihipStream_tbEUlT_E0_NS1_11comp_targetILNS1_3genE8ELNS1_11target_archE1030ELNS1_3gpuE2ELNS1_3repE0EEENS1_30default_config_static_selectorELNS0_4arch9wavefront6targetE0EEEvSF_
	.p2align	8
	.type	_ZN7rocprim17ROCPRIM_400000_NS6detail17trampoline_kernelINS0_14default_configENS1_22reduce_config_selectorIlEEZNS1_11reduce_implILb1ES3_PlS7_lN6thrust23THRUST_200600_302600_NS4plusIlEEEE10hipError_tPvRmT1_T2_T3_mT4_P12ihipStream_tbEUlT_E0_NS1_11comp_targetILNS1_3genE8ELNS1_11target_archE1030ELNS1_3gpuE2ELNS1_3repE0EEENS1_30default_config_static_selectorELNS0_4arch9wavefront6targetE0EEEvSF_,@function
_ZN7rocprim17ROCPRIM_400000_NS6detail17trampoline_kernelINS0_14default_configENS1_22reduce_config_selectorIlEEZNS1_11reduce_implILb1ES3_PlS7_lN6thrust23THRUST_200600_302600_NS4plusIlEEEE10hipError_tPvRmT1_T2_T3_mT4_P12ihipStream_tbEUlT_E0_NS1_11comp_targetILNS1_3genE8ELNS1_11target_archE1030ELNS1_3gpuE2ELNS1_3repE0EEENS1_30default_config_static_selectorELNS0_4arch9wavefront6targetE0EEEvSF_: ; @_ZN7rocprim17ROCPRIM_400000_NS6detail17trampoline_kernelINS0_14default_configENS1_22reduce_config_selectorIlEEZNS1_11reduce_implILb1ES3_PlS7_lN6thrust23THRUST_200600_302600_NS4plusIlEEEE10hipError_tPvRmT1_T2_T3_mT4_P12ihipStream_tbEUlT_E0_NS1_11comp_targetILNS1_3genE8ELNS1_11target_archE1030ELNS1_3gpuE2ELNS1_3repE0EEENS1_30default_config_static_selectorELNS0_4arch9wavefront6targetE0EEEvSF_
; %bb.0:
	.section	.rodata,"a",@progbits
	.p2align	6, 0x0
	.amdhsa_kernel _ZN7rocprim17ROCPRIM_400000_NS6detail17trampoline_kernelINS0_14default_configENS1_22reduce_config_selectorIlEEZNS1_11reduce_implILb1ES3_PlS7_lN6thrust23THRUST_200600_302600_NS4plusIlEEEE10hipError_tPvRmT1_T2_T3_mT4_P12ihipStream_tbEUlT_E0_NS1_11comp_targetILNS1_3genE8ELNS1_11target_archE1030ELNS1_3gpuE2ELNS1_3repE0EEENS1_30default_config_static_selectorELNS0_4arch9wavefront6targetE0EEEvSF_
		.amdhsa_group_segment_fixed_size 0
		.amdhsa_private_segment_fixed_size 0
		.amdhsa_kernarg_size 64
		.amdhsa_user_sgpr_count 2
		.amdhsa_user_sgpr_dispatch_ptr 0
		.amdhsa_user_sgpr_queue_ptr 0
		.amdhsa_user_sgpr_kernarg_segment_ptr 1
		.amdhsa_user_sgpr_dispatch_id 0
		.amdhsa_user_sgpr_private_segment_size 0
		.amdhsa_wavefront_size32 1
		.amdhsa_uses_dynamic_stack 0
		.amdhsa_enable_private_segment 0
		.amdhsa_system_sgpr_workgroup_id_x 1
		.amdhsa_system_sgpr_workgroup_id_y 0
		.amdhsa_system_sgpr_workgroup_id_z 0
		.amdhsa_system_sgpr_workgroup_info 0
		.amdhsa_system_vgpr_workitem_id 0
		.amdhsa_next_free_vgpr 1
		.amdhsa_next_free_sgpr 1
		.amdhsa_reserve_vcc 0
		.amdhsa_float_round_mode_32 0
		.amdhsa_float_round_mode_16_64 0
		.amdhsa_float_denorm_mode_32 3
		.amdhsa_float_denorm_mode_16_64 3
		.amdhsa_fp16_overflow 0
		.amdhsa_workgroup_processor_mode 1
		.amdhsa_memory_ordered 1
		.amdhsa_forward_progress 1
		.amdhsa_inst_pref_size 0
		.amdhsa_round_robin_scheduling 0
		.amdhsa_exception_fp_ieee_invalid_op 0
		.amdhsa_exception_fp_denorm_src 0
		.amdhsa_exception_fp_ieee_div_zero 0
		.amdhsa_exception_fp_ieee_overflow 0
		.amdhsa_exception_fp_ieee_underflow 0
		.amdhsa_exception_fp_ieee_inexact 0
		.amdhsa_exception_int_div_zero 0
	.end_amdhsa_kernel
	.section	.text._ZN7rocprim17ROCPRIM_400000_NS6detail17trampoline_kernelINS0_14default_configENS1_22reduce_config_selectorIlEEZNS1_11reduce_implILb1ES3_PlS7_lN6thrust23THRUST_200600_302600_NS4plusIlEEEE10hipError_tPvRmT1_T2_T3_mT4_P12ihipStream_tbEUlT_E0_NS1_11comp_targetILNS1_3genE8ELNS1_11target_archE1030ELNS1_3gpuE2ELNS1_3repE0EEENS1_30default_config_static_selectorELNS0_4arch9wavefront6targetE0EEEvSF_,"axG",@progbits,_ZN7rocprim17ROCPRIM_400000_NS6detail17trampoline_kernelINS0_14default_configENS1_22reduce_config_selectorIlEEZNS1_11reduce_implILb1ES3_PlS7_lN6thrust23THRUST_200600_302600_NS4plusIlEEEE10hipError_tPvRmT1_T2_T3_mT4_P12ihipStream_tbEUlT_E0_NS1_11comp_targetILNS1_3genE8ELNS1_11target_archE1030ELNS1_3gpuE2ELNS1_3repE0EEENS1_30default_config_static_selectorELNS0_4arch9wavefront6targetE0EEEvSF_,comdat
.Lfunc_end55:
	.size	_ZN7rocprim17ROCPRIM_400000_NS6detail17trampoline_kernelINS0_14default_configENS1_22reduce_config_selectorIlEEZNS1_11reduce_implILb1ES3_PlS7_lN6thrust23THRUST_200600_302600_NS4plusIlEEEE10hipError_tPvRmT1_T2_T3_mT4_P12ihipStream_tbEUlT_E0_NS1_11comp_targetILNS1_3genE8ELNS1_11target_archE1030ELNS1_3gpuE2ELNS1_3repE0EEENS1_30default_config_static_selectorELNS0_4arch9wavefront6targetE0EEEvSF_, .Lfunc_end55-_ZN7rocprim17ROCPRIM_400000_NS6detail17trampoline_kernelINS0_14default_configENS1_22reduce_config_selectorIlEEZNS1_11reduce_implILb1ES3_PlS7_lN6thrust23THRUST_200600_302600_NS4plusIlEEEE10hipError_tPvRmT1_T2_T3_mT4_P12ihipStream_tbEUlT_E0_NS1_11comp_targetILNS1_3genE8ELNS1_11target_archE1030ELNS1_3gpuE2ELNS1_3repE0EEENS1_30default_config_static_selectorELNS0_4arch9wavefront6targetE0EEEvSF_
                                        ; -- End function
	.set _ZN7rocprim17ROCPRIM_400000_NS6detail17trampoline_kernelINS0_14default_configENS1_22reduce_config_selectorIlEEZNS1_11reduce_implILb1ES3_PlS7_lN6thrust23THRUST_200600_302600_NS4plusIlEEEE10hipError_tPvRmT1_T2_T3_mT4_P12ihipStream_tbEUlT_E0_NS1_11comp_targetILNS1_3genE8ELNS1_11target_archE1030ELNS1_3gpuE2ELNS1_3repE0EEENS1_30default_config_static_selectorELNS0_4arch9wavefront6targetE0EEEvSF_.num_vgpr, 0
	.set _ZN7rocprim17ROCPRIM_400000_NS6detail17trampoline_kernelINS0_14default_configENS1_22reduce_config_selectorIlEEZNS1_11reduce_implILb1ES3_PlS7_lN6thrust23THRUST_200600_302600_NS4plusIlEEEE10hipError_tPvRmT1_T2_T3_mT4_P12ihipStream_tbEUlT_E0_NS1_11comp_targetILNS1_3genE8ELNS1_11target_archE1030ELNS1_3gpuE2ELNS1_3repE0EEENS1_30default_config_static_selectorELNS0_4arch9wavefront6targetE0EEEvSF_.num_agpr, 0
	.set _ZN7rocprim17ROCPRIM_400000_NS6detail17trampoline_kernelINS0_14default_configENS1_22reduce_config_selectorIlEEZNS1_11reduce_implILb1ES3_PlS7_lN6thrust23THRUST_200600_302600_NS4plusIlEEEE10hipError_tPvRmT1_T2_T3_mT4_P12ihipStream_tbEUlT_E0_NS1_11comp_targetILNS1_3genE8ELNS1_11target_archE1030ELNS1_3gpuE2ELNS1_3repE0EEENS1_30default_config_static_selectorELNS0_4arch9wavefront6targetE0EEEvSF_.numbered_sgpr, 0
	.set _ZN7rocprim17ROCPRIM_400000_NS6detail17trampoline_kernelINS0_14default_configENS1_22reduce_config_selectorIlEEZNS1_11reduce_implILb1ES3_PlS7_lN6thrust23THRUST_200600_302600_NS4plusIlEEEE10hipError_tPvRmT1_T2_T3_mT4_P12ihipStream_tbEUlT_E0_NS1_11comp_targetILNS1_3genE8ELNS1_11target_archE1030ELNS1_3gpuE2ELNS1_3repE0EEENS1_30default_config_static_selectorELNS0_4arch9wavefront6targetE0EEEvSF_.num_named_barrier, 0
	.set _ZN7rocprim17ROCPRIM_400000_NS6detail17trampoline_kernelINS0_14default_configENS1_22reduce_config_selectorIlEEZNS1_11reduce_implILb1ES3_PlS7_lN6thrust23THRUST_200600_302600_NS4plusIlEEEE10hipError_tPvRmT1_T2_T3_mT4_P12ihipStream_tbEUlT_E0_NS1_11comp_targetILNS1_3genE8ELNS1_11target_archE1030ELNS1_3gpuE2ELNS1_3repE0EEENS1_30default_config_static_selectorELNS0_4arch9wavefront6targetE0EEEvSF_.private_seg_size, 0
	.set _ZN7rocprim17ROCPRIM_400000_NS6detail17trampoline_kernelINS0_14default_configENS1_22reduce_config_selectorIlEEZNS1_11reduce_implILb1ES3_PlS7_lN6thrust23THRUST_200600_302600_NS4plusIlEEEE10hipError_tPvRmT1_T2_T3_mT4_P12ihipStream_tbEUlT_E0_NS1_11comp_targetILNS1_3genE8ELNS1_11target_archE1030ELNS1_3gpuE2ELNS1_3repE0EEENS1_30default_config_static_selectorELNS0_4arch9wavefront6targetE0EEEvSF_.uses_vcc, 0
	.set _ZN7rocprim17ROCPRIM_400000_NS6detail17trampoline_kernelINS0_14default_configENS1_22reduce_config_selectorIlEEZNS1_11reduce_implILb1ES3_PlS7_lN6thrust23THRUST_200600_302600_NS4plusIlEEEE10hipError_tPvRmT1_T2_T3_mT4_P12ihipStream_tbEUlT_E0_NS1_11comp_targetILNS1_3genE8ELNS1_11target_archE1030ELNS1_3gpuE2ELNS1_3repE0EEENS1_30default_config_static_selectorELNS0_4arch9wavefront6targetE0EEEvSF_.uses_flat_scratch, 0
	.set _ZN7rocprim17ROCPRIM_400000_NS6detail17trampoline_kernelINS0_14default_configENS1_22reduce_config_selectorIlEEZNS1_11reduce_implILb1ES3_PlS7_lN6thrust23THRUST_200600_302600_NS4plusIlEEEE10hipError_tPvRmT1_T2_T3_mT4_P12ihipStream_tbEUlT_E0_NS1_11comp_targetILNS1_3genE8ELNS1_11target_archE1030ELNS1_3gpuE2ELNS1_3repE0EEENS1_30default_config_static_selectorELNS0_4arch9wavefront6targetE0EEEvSF_.has_dyn_sized_stack, 0
	.set _ZN7rocprim17ROCPRIM_400000_NS6detail17trampoline_kernelINS0_14default_configENS1_22reduce_config_selectorIlEEZNS1_11reduce_implILb1ES3_PlS7_lN6thrust23THRUST_200600_302600_NS4plusIlEEEE10hipError_tPvRmT1_T2_T3_mT4_P12ihipStream_tbEUlT_E0_NS1_11comp_targetILNS1_3genE8ELNS1_11target_archE1030ELNS1_3gpuE2ELNS1_3repE0EEENS1_30default_config_static_selectorELNS0_4arch9wavefront6targetE0EEEvSF_.has_recursion, 0
	.set _ZN7rocprim17ROCPRIM_400000_NS6detail17trampoline_kernelINS0_14default_configENS1_22reduce_config_selectorIlEEZNS1_11reduce_implILb1ES3_PlS7_lN6thrust23THRUST_200600_302600_NS4plusIlEEEE10hipError_tPvRmT1_T2_T3_mT4_P12ihipStream_tbEUlT_E0_NS1_11comp_targetILNS1_3genE8ELNS1_11target_archE1030ELNS1_3gpuE2ELNS1_3repE0EEENS1_30default_config_static_selectorELNS0_4arch9wavefront6targetE0EEEvSF_.has_indirect_call, 0
	.section	.AMDGPU.csdata,"",@progbits
; Kernel info:
; codeLenInByte = 0
; TotalNumSgprs: 0
; NumVgprs: 0
; ScratchSize: 0
; MemoryBound: 0
; FloatMode: 240
; IeeeMode: 1
; LDSByteSize: 0 bytes/workgroup (compile time only)
; SGPRBlocks: 0
; VGPRBlocks: 0
; NumSGPRsForWavesPerEU: 1
; NumVGPRsForWavesPerEU: 1
; Occupancy: 16
; WaveLimiterHint : 0
; COMPUTE_PGM_RSRC2:SCRATCH_EN: 0
; COMPUTE_PGM_RSRC2:USER_SGPR: 2
; COMPUTE_PGM_RSRC2:TRAP_HANDLER: 0
; COMPUTE_PGM_RSRC2:TGID_X_EN: 1
; COMPUTE_PGM_RSRC2:TGID_Y_EN: 0
; COMPUTE_PGM_RSRC2:TGID_Z_EN: 0
; COMPUTE_PGM_RSRC2:TIDIG_COMP_CNT: 0
	.section	.text._ZN7rocprim17ROCPRIM_400000_NS6detail17trampoline_kernelINS0_14default_configENS1_22reduce_config_selectorIlEEZNS1_11reduce_implILb1ES3_PlS7_lN6thrust23THRUST_200600_302600_NS4plusIlEEEE10hipError_tPvRmT1_T2_T3_mT4_P12ihipStream_tbEUlT_E1_NS1_11comp_targetILNS1_3genE0ELNS1_11target_archE4294967295ELNS1_3gpuE0ELNS1_3repE0EEENS1_30default_config_static_selectorELNS0_4arch9wavefront6targetE0EEEvSF_,"axG",@progbits,_ZN7rocprim17ROCPRIM_400000_NS6detail17trampoline_kernelINS0_14default_configENS1_22reduce_config_selectorIlEEZNS1_11reduce_implILb1ES3_PlS7_lN6thrust23THRUST_200600_302600_NS4plusIlEEEE10hipError_tPvRmT1_T2_T3_mT4_P12ihipStream_tbEUlT_E1_NS1_11comp_targetILNS1_3genE0ELNS1_11target_archE4294967295ELNS1_3gpuE0ELNS1_3repE0EEENS1_30default_config_static_selectorELNS0_4arch9wavefront6targetE0EEEvSF_,comdat
	.protected	_ZN7rocprim17ROCPRIM_400000_NS6detail17trampoline_kernelINS0_14default_configENS1_22reduce_config_selectorIlEEZNS1_11reduce_implILb1ES3_PlS7_lN6thrust23THRUST_200600_302600_NS4plusIlEEEE10hipError_tPvRmT1_T2_T3_mT4_P12ihipStream_tbEUlT_E1_NS1_11comp_targetILNS1_3genE0ELNS1_11target_archE4294967295ELNS1_3gpuE0ELNS1_3repE0EEENS1_30default_config_static_selectorELNS0_4arch9wavefront6targetE0EEEvSF_ ; -- Begin function _ZN7rocprim17ROCPRIM_400000_NS6detail17trampoline_kernelINS0_14default_configENS1_22reduce_config_selectorIlEEZNS1_11reduce_implILb1ES3_PlS7_lN6thrust23THRUST_200600_302600_NS4plusIlEEEE10hipError_tPvRmT1_T2_T3_mT4_P12ihipStream_tbEUlT_E1_NS1_11comp_targetILNS1_3genE0ELNS1_11target_archE4294967295ELNS1_3gpuE0ELNS1_3repE0EEENS1_30default_config_static_selectorELNS0_4arch9wavefront6targetE0EEEvSF_
	.globl	_ZN7rocprim17ROCPRIM_400000_NS6detail17trampoline_kernelINS0_14default_configENS1_22reduce_config_selectorIlEEZNS1_11reduce_implILb1ES3_PlS7_lN6thrust23THRUST_200600_302600_NS4plusIlEEEE10hipError_tPvRmT1_T2_T3_mT4_P12ihipStream_tbEUlT_E1_NS1_11comp_targetILNS1_3genE0ELNS1_11target_archE4294967295ELNS1_3gpuE0ELNS1_3repE0EEENS1_30default_config_static_selectorELNS0_4arch9wavefront6targetE0EEEvSF_
	.p2align	8
	.type	_ZN7rocprim17ROCPRIM_400000_NS6detail17trampoline_kernelINS0_14default_configENS1_22reduce_config_selectorIlEEZNS1_11reduce_implILb1ES3_PlS7_lN6thrust23THRUST_200600_302600_NS4plusIlEEEE10hipError_tPvRmT1_T2_T3_mT4_P12ihipStream_tbEUlT_E1_NS1_11comp_targetILNS1_3genE0ELNS1_11target_archE4294967295ELNS1_3gpuE0ELNS1_3repE0EEENS1_30default_config_static_selectorELNS0_4arch9wavefront6targetE0EEEvSF_,@function
_ZN7rocprim17ROCPRIM_400000_NS6detail17trampoline_kernelINS0_14default_configENS1_22reduce_config_selectorIlEEZNS1_11reduce_implILb1ES3_PlS7_lN6thrust23THRUST_200600_302600_NS4plusIlEEEE10hipError_tPvRmT1_T2_T3_mT4_P12ihipStream_tbEUlT_E1_NS1_11comp_targetILNS1_3genE0ELNS1_11target_archE4294967295ELNS1_3gpuE0ELNS1_3repE0EEENS1_30default_config_static_selectorELNS0_4arch9wavefront6targetE0EEEvSF_: ; @_ZN7rocprim17ROCPRIM_400000_NS6detail17trampoline_kernelINS0_14default_configENS1_22reduce_config_selectorIlEEZNS1_11reduce_implILb1ES3_PlS7_lN6thrust23THRUST_200600_302600_NS4plusIlEEEE10hipError_tPvRmT1_T2_T3_mT4_P12ihipStream_tbEUlT_E1_NS1_11comp_targetILNS1_3genE0ELNS1_11target_archE4294967295ELNS1_3gpuE0ELNS1_3repE0EEENS1_30default_config_static_selectorELNS0_4arch9wavefront6targetE0EEEvSF_
; %bb.0:
	.section	.rodata,"a",@progbits
	.p2align	6, 0x0
	.amdhsa_kernel _ZN7rocprim17ROCPRIM_400000_NS6detail17trampoline_kernelINS0_14default_configENS1_22reduce_config_selectorIlEEZNS1_11reduce_implILb1ES3_PlS7_lN6thrust23THRUST_200600_302600_NS4plusIlEEEE10hipError_tPvRmT1_T2_T3_mT4_P12ihipStream_tbEUlT_E1_NS1_11comp_targetILNS1_3genE0ELNS1_11target_archE4294967295ELNS1_3gpuE0ELNS1_3repE0EEENS1_30default_config_static_selectorELNS0_4arch9wavefront6targetE0EEEvSF_
		.amdhsa_group_segment_fixed_size 0
		.amdhsa_private_segment_fixed_size 0
		.amdhsa_kernarg_size 48
		.amdhsa_user_sgpr_count 2
		.amdhsa_user_sgpr_dispatch_ptr 0
		.amdhsa_user_sgpr_queue_ptr 0
		.amdhsa_user_sgpr_kernarg_segment_ptr 1
		.amdhsa_user_sgpr_dispatch_id 0
		.amdhsa_user_sgpr_private_segment_size 0
		.amdhsa_wavefront_size32 1
		.amdhsa_uses_dynamic_stack 0
		.amdhsa_enable_private_segment 0
		.amdhsa_system_sgpr_workgroup_id_x 1
		.amdhsa_system_sgpr_workgroup_id_y 0
		.amdhsa_system_sgpr_workgroup_id_z 0
		.amdhsa_system_sgpr_workgroup_info 0
		.amdhsa_system_vgpr_workitem_id 0
		.amdhsa_next_free_vgpr 1
		.amdhsa_next_free_sgpr 1
		.amdhsa_reserve_vcc 0
		.amdhsa_float_round_mode_32 0
		.amdhsa_float_round_mode_16_64 0
		.amdhsa_float_denorm_mode_32 3
		.amdhsa_float_denorm_mode_16_64 3
		.amdhsa_fp16_overflow 0
		.amdhsa_workgroup_processor_mode 1
		.amdhsa_memory_ordered 1
		.amdhsa_forward_progress 1
		.amdhsa_inst_pref_size 0
		.amdhsa_round_robin_scheduling 0
		.amdhsa_exception_fp_ieee_invalid_op 0
		.amdhsa_exception_fp_denorm_src 0
		.amdhsa_exception_fp_ieee_div_zero 0
		.amdhsa_exception_fp_ieee_overflow 0
		.amdhsa_exception_fp_ieee_underflow 0
		.amdhsa_exception_fp_ieee_inexact 0
		.amdhsa_exception_int_div_zero 0
	.end_amdhsa_kernel
	.section	.text._ZN7rocprim17ROCPRIM_400000_NS6detail17trampoline_kernelINS0_14default_configENS1_22reduce_config_selectorIlEEZNS1_11reduce_implILb1ES3_PlS7_lN6thrust23THRUST_200600_302600_NS4plusIlEEEE10hipError_tPvRmT1_T2_T3_mT4_P12ihipStream_tbEUlT_E1_NS1_11comp_targetILNS1_3genE0ELNS1_11target_archE4294967295ELNS1_3gpuE0ELNS1_3repE0EEENS1_30default_config_static_selectorELNS0_4arch9wavefront6targetE0EEEvSF_,"axG",@progbits,_ZN7rocprim17ROCPRIM_400000_NS6detail17trampoline_kernelINS0_14default_configENS1_22reduce_config_selectorIlEEZNS1_11reduce_implILb1ES3_PlS7_lN6thrust23THRUST_200600_302600_NS4plusIlEEEE10hipError_tPvRmT1_T2_T3_mT4_P12ihipStream_tbEUlT_E1_NS1_11comp_targetILNS1_3genE0ELNS1_11target_archE4294967295ELNS1_3gpuE0ELNS1_3repE0EEENS1_30default_config_static_selectorELNS0_4arch9wavefront6targetE0EEEvSF_,comdat
.Lfunc_end56:
	.size	_ZN7rocprim17ROCPRIM_400000_NS6detail17trampoline_kernelINS0_14default_configENS1_22reduce_config_selectorIlEEZNS1_11reduce_implILb1ES3_PlS7_lN6thrust23THRUST_200600_302600_NS4plusIlEEEE10hipError_tPvRmT1_T2_T3_mT4_P12ihipStream_tbEUlT_E1_NS1_11comp_targetILNS1_3genE0ELNS1_11target_archE4294967295ELNS1_3gpuE0ELNS1_3repE0EEENS1_30default_config_static_selectorELNS0_4arch9wavefront6targetE0EEEvSF_, .Lfunc_end56-_ZN7rocprim17ROCPRIM_400000_NS6detail17trampoline_kernelINS0_14default_configENS1_22reduce_config_selectorIlEEZNS1_11reduce_implILb1ES3_PlS7_lN6thrust23THRUST_200600_302600_NS4plusIlEEEE10hipError_tPvRmT1_T2_T3_mT4_P12ihipStream_tbEUlT_E1_NS1_11comp_targetILNS1_3genE0ELNS1_11target_archE4294967295ELNS1_3gpuE0ELNS1_3repE0EEENS1_30default_config_static_selectorELNS0_4arch9wavefront6targetE0EEEvSF_
                                        ; -- End function
	.set _ZN7rocprim17ROCPRIM_400000_NS6detail17trampoline_kernelINS0_14default_configENS1_22reduce_config_selectorIlEEZNS1_11reduce_implILb1ES3_PlS7_lN6thrust23THRUST_200600_302600_NS4plusIlEEEE10hipError_tPvRmT1_T2_T3_mT4_P12ihipStream_tbEUlT_E1_NS1_11comp_targetILNS1_3genE0ELNS1_11target_archE4294967295ELNS1_3gpuE0ELNS1_3repE0EEENS1_30default_config_static_selectorELNS0_4arch9wavefront6targetE0EEEvSF_.num_vgpr, 0
	.set _ZN7rocprim17ROCPRIM_400000_NS6detail17trampoline_kernelINS0_14default_configENS1_22reduce_config_selectorIlEEZNS1_11reduce_implILb1ES3_PlS7_lN6thrust23THRUST_200600_302600_NS4plusIlEEEE10hipError_tPvRmT1_T2_T3_mT4_P12ihipStream_tbEUlT_E1_NS1_11comp_targetILNS1_3genE0ELNS1_11target_archE4294967295ELNS1_3gpuE0ELNS1_3repE0EEENS1_30default_config_static_selectorELNS0_4arch9wavefront6targetE0EEEvSF_.num_agpr, 0
	.set _ZN7rocprim17ROCPRIM_400000_NS6detail17trampoline_kernelINS0_14default_configENS1_22reduce_config_selectorIlEEZNS1_11reduce_implILb1ES3_PlS7_lN6thrust23THRUST_200600_302600_NS4plusIlEEEE10hipError_tPvRmT1_T2_T3_mT4_P12ihipStream_tbEUlT_E1_NS1_11comp_targetILNS1_3genE0ELNS1_11target_archE4294967295ELNS1_3gpuE0ELNS1_3repE0EEENS1_30default_config_static_selectorELNS0_4arch9wavefront6targetE0EEEvSF_.numbered_sgpr, 0
	.set _ZN7rocprim17ROCPRIM_400000_NS6detail17trampoline_kernelINS0_14default_configENS1_22reduce_config_selectorIlEEZNS1_11reduce_implILb1ES3_PlS7_lN6thrust23THRUST_200600_302600_NS4plusIlEEEE10hipError_tPvRmT1_T2_T3_mT4_P12ihipStream_tbEUlT_E1_NS1_11comp_targetILNS1_3genE0ELNS1_11target_archE4294967295ELNS1_3gpuE0ELNS1_3repE0EEENS1_30default_config_static_selectorELNS0_4arch9wavefront6targetE0EEEvSF_.num_named_barrier, 0
	.set _ZN7rocprim17ROCPRIM_400000_NS6detail17trampoline_kernelINS0_14default_configENS1_22reduce_config_selectorIlEEZNS1_11reduce_implILb1ES3_PlS7_lN6thrust23THRUST_200600_302600_NS4plusIlEEEE10hipError_tPvRmT1_T2_T3_mT4_P12ihipStream_tbEUlT_E1_NS1_11comp_targetILNS1_3genE0ELNS1_11target_archE4294967295ELNS1_3gpuE0ELNS1_3repE0EEENS1_30default_config_static_selectorELNS0_4arch9wavefront6targetE0EEEvSF_.private_seg_size, 0
	.set _ZN7rocprim17ROCPRIM_400000_NS6detail17trampoline_kernelINS0_14default_configENS1_22reduce_config_selectorIlEEZNS1_11reduce_implILb1ES3_PlS7_lN6thrust23THRUST_200600_302600_NS4plusIlEEEE10hipError_tPvRmT1_T2_T3_mT4_P12ihipStream_tbEUlT_E1_NS1_11comp_targetILNS1_3genE0ELNS1_11target_archE4294967295ELNS1_3gpuE0ELNS1_3repE0EEENS1_30default_config_static_selectorELNS0_4arch9wavefront6targetE0EEEvSF_.uses_vcc, 0
	.set _ZN7rocprim17ROCPRIM_400000_NS6detail17trampoline_kernelINS0_14default_configENS1_22reduce_config_selectorIlEEZNS1_11reduce_implILb1ES3_PlS7_lN6thrust23THRUST_200600_302600_NS4plusIlEEEE10hipError_tPvRmT1_T2_T3_mT4_P12ihipStream_tbEUlT_E1_NS1_11comp_targetILNS1_3genE0ELNS1_11target_archE4294967295ELNS1_3gpuE0ELNS1_3repE0EEENS1_30default_config_static_selectorELNS0_4arch9wavefront6targetE0EEEvSF_.uses_flat_scratch, 0
	.set _ZN7rocprim17ROCPRIM_400000_NS6detail17trampoline_kernelINS0_14default_configENS1_22reduce_config_selectorIlEEZNS1_11reduce_implILb1ES3_PlS7_lN6thrust23THRUST_200600_302600_NS4plusIlEEEE10hipError_tPvRmT1_T2_T3_mT4_P12ihipStream_tbEUlT_E1_NS1_11comp_targetILNS1_3genE0ELNS1_11target_archE4294967295ELNS1_3gpuE0ELNS1_3repE0EEENS1_30default_config_static_selectorELNS0_4arch9wavefront6targetE0EEEvSF_.has_dyn_sized_stack, 0
	.set _ZN7rocprim17ROCPRIM_400000_NS6detail17trampoline_kernelINS0_14default_configENS1_22reduce_config_selectorIlEEZNS1_11reduce_implILb1ES3_PlS7_lN6thrust23THRUST_200600_302600_NS4plusIlEEEE10hipError_tPvRmT1_T2_T3_mT4_P12ihipStream_tbEUlT_E1_NS1_11comp_targetILNS1_3genE0ELNS1_11target_archE4294967295ELNS1_3gpuE0ELNS1_3repE0EEENS1_30default_config_static_selectorELNS0_4arch9wavefront6targetE0EEEvSF_.has_recursion, 0
	.set _ZN7rocprim17ROCPRIM_400000_NS6detail17trampoline_kernelINS0_14default_configENS1_22reduce_config_selectorIlEEZNS1_11reduce_implILb1ES3_PlS7_lN6thrust23THRUST_200600_302600_NS4plusIlEEEE10hipError_tPvRmT1_T2_T3_mT4_P12ihipStream_tbEUlT_E1_NS1_11comp_targetILNS1_3genE0ELNS1_11target_archE4294967295ELNS1_3gpuE0ELNS1_3repE0EEENS1_30default_config_static_selectorELNS0_4arch9wavefront6targetE0EEEvSF_.has_indirect_call, 0
	.section	.AMDGPU.csdata,"",@progbits
; Kernel info:
; codeLenInByte = 0
; TotalNumSgprs: 0
; NumVgprs: 0
; ScratchSize: 0
; MemoryBound: 0
; FloatMode: 240
; IeeeMode: 1
; LDSByteSize: 0 bytes/workgroup (compile time only)
; SGPRBlocks: 0
; VGPRBlocks: 0
; NumSGPRsForWavesPerEU: 1
; NumVGPRsForWavesPerEU: 1
; Occupancy: 16
; WaveLimiterHint : 0
; COMPUTE_PGM_RSRC2:SCRATCH_EN: 0
; COMPUTE_PGM_RSRC2:USER_SGPR: 2
; COMPUTE_PGM_RSRC2:TRAP_HANDLER: 0
; COMPUTE_PGM_RSRC2:TGID_X_EN: 1
; COMPUTE_PGM_RSRC2:TGID_Y_EN: 0
; COMPUTE_PGM_RSRC2:TGID_Z_EN: 0
; COMPUTE_PGM_RSRC2:TIDIG_COMP_CNT: 0
	.section	.text._ZN7rocprim17ROCPRIM_400000_NS6detail17trampoline_kernelINS0_14default_configENS1_22reduce_config_selectorIlEEZNS1_11reduce_implILb1ES3_PlS7_lN6thrust23THRUST_200600_302600_NS4plusIlEEEE10hipError_tPvRmT1_T2_T3_mT4_P12ihipStream_tbEUlT_E1_NS1_11comp_targetILNS1_3genE5ELNS1_11target_archE942ELNS1_3gpuE9ELNS1_3repE0EEENS1_30default_config_static_selectorELNS0_4arch9wavefront6targetE0EEEvSF_,"axG",@progbits,_ZN7rocprim17ROCPRIM_400000_NS6detail17trampoline_kernelINS0_14default_configENS1_22reduce_config_selectorIlEEZNS1_11reduce_implILb1ES3_PlS7_lN6thrust23THRUST_200600_302600_NS4plusIlEEEE10hipError_tPvRmT1_T2_T3_mT4_P12ihipStream_tbEUlT_E1_NS1_11comp_targetILNS1_3genE5ELNS1_11target_archE942ELNS1_3gpuE9ELNS1_3repE0EEENS1_30default_config_static_selectorELNS0_4arch9wavefront6targetE0EEEvSF_,comdat
	.protected	_ZN7rocprim17ROCPRIM_400000_NS6detail17trampoline_kernelINS0_14default_configENS1_22reduce_config_selectorIlEEZNS1_11reduce_implILb1ES3_PlS7_lN6thrust23THRUST_200600_302600_NS4plusIlEEEE10hipError_tPvRmT1_T2_T3_mT4_P12ihipStream_tbEUlT_E1_NS1_11comp_targetILNS1_3genE5ELNS1_11target_archE942ELNS1_3gpuE9ELNS1_3repE0EEENS1_30default_config_static_selectorELNS0_4arch9wavefront6targetE0EEEvSF_ ; -- Begin function _ZN7rocprim17ROCPRIM_400000_NS6detail17trampoline_kernelINS0_14default_configENS1_22reduce_config_selectorIlEEZNS1_11reduce_implILb1ES3_PlS7_lN6thrust23THRUST_200600_302600_NS4plusIlEEEE10hipError_tPvRmT1_T2_T3_mT4_P12ihipStream_tbEUlT_E1_NS1_11comp_targetILNS1_3genE5ELNS1_11target_archE942ELNS1_3gpuE9ELNS1_3repE0EEENS1_30default_config_static_selectorELNS0_4arch9wavefront6targetE0EEEvSF_
	.globl	_ZN7rocprim17ROCPRIM_400000_NS6detail17trampoline_kernelINS0_14default_configENS1_22reduce_config_selectorIlEEZNS1_11reduce_implILb1ES3_PlS7_lN6thrust23THRUST_200600_302600_NS4plusIlEEEE10hipError_tPvRmT1_T2_T3_mT4_P12ihipStream_tbEUlT_E1_NS1_11comp_targetILNS1_3genE5ELNS1_11target_archE942ELNS1_3gpuE9ELNS1_3repE0EEENS1_30default_config_static_selectorELNS0_4arch9wavefront6targetE0EEEvSF_
	.p2align	8
	.type	_ZN7rocprim17ROCPRIM_400000_NS6detail17trampoline_kernelINS0_14default_configENS1_22reduce_config_selectorIlEEZNS1_11reduce_implILb1ES3_PlS7_lN6thrust23THRUST_200600_302600_NS4plusIlEEEE10hipError_tPvRmT1_T2_T3_mT4_P12ihipStream_tbEUlT_E1_NS1_11comp_targetILNS1_3genE5ELNS1_11target_archE942ELNS1_3gpuE9ELNS1_3repE0EEENS1_30default_config_static_selectorELNS0_4arch9wavefront6targetE0EEEvSF_,@function
_ZN7rocprim17ROCPRIM_400000_NS6detail17trampoline_kernelINS0_14default_configENS1_22reduce_config_selectorIlEEZNS1_11reduce_implILb1ES3_PlS7_lN6thrust23THRUST_200600_302600_NS4plusIlEEEE10hipError_tPvRmT1_T2_T3_mT4_P12ihipStream_tbEUlT_E1_NS1_11comp_targetILNS1_3genE5ELNS1_11target_archE942ELNS1_3gpuE9ELNS1_3repE0EEENS1_30default_config_static_selectorELNS0_4arch9wavefront6targetE0EEEvSF_: ; @_ZN7rocprim17ROCPRIM_400000_NS6detail17trampoline_kernelINS0_14default_configENS1_22reduce_config_selectorIlEEZNS1_11reduce_implILb1ES3_PlS7_lN6thrust23THRUST_200600_302600_NS4plusIlEEEE10hipError_tPvRmT1_T2_T3_mT4_P12ihipStream_tbEUlT_E1_NS1_11comp_targetILNS1_3genE5ELNS1_11target_archE942ELNS1_3gpuE9ELNS1_3repE0EEENS1_30default_config_static_selectorELNS0_4arch9wavefront6targetE0EEEvSF_
; %bb.0:
	.section	.rodata,"a",@progbits
	.p2align	6, 0x0
	.amdhsa_kernel _ZN7rocprim17ROCPRIM_400000_NS6detail17trampoline_kernelINS0_14default_configENS1_22reduce_config_selectorIlEEZNS1_11reduce_implILb1ES3_PlS7_lN6thrust23THRUST_200600_302600_NS4plusIlEEEE10hipError_tPvRmT1_T2_T3_mT4_P12ihipStream_tbEUlT_E1_NS1_11comp_targetILNS1_3genE5ELNS1_11target_archE942ELNS1_3gpuE9ELNS1_3repE0EEENS1_30default_config_static_selectorELNS0_4arch9wavefront6targetE0EEEvSF_
		.amdhsa_group_segment_fixed_size 0
		.amdhsa_private_segment_fixed_size 0
		.amdhsa_kernarg_size 48
		.amdhsa_user_sgpr_count 2
		.amdhsa_user_sgpr_dispatch_ptr 0
		.amdhsa_user_sgpr_queue_ptr 0
		.amdhsa_user_sgpr_kernarg_segment_ptr 1
		.amdhsa_user_sgpr_dispatch_id 0
		.amdhsa_user_sgpr_private_segment_size 0
		.amdhsa_wavefront_size32 1
		.amdhsa_uses_dynamic_stack 0
		.amdhsa_enable_private_segment 0
		.amdhsa_system_sgpr_workgroup_id_x 1
		.amdhsa_system_sgpr_workgroup_id_y 0
		.amdhsa_system_sgpr_workgroup_id_z 0
		.amdhsa_system_sgpr_workgroup_info 0
		.amdhsa_system_vgpr_workitem_id 0
		.amdhsa_next_free_vgpr 1
		.amdhsa_next_free_sgpr 1
		.amdhsa_reserve_vcc 0
		.amdhsa_float_round_mode_32 0
		.amdhsa_float_round_mode_16_64 0
		.amdhsa_float_denorm_mode_32 3
		.amdhsa_float_denorm_mode_16_64 3
		.amdhsa_fp16_overflow 0
		.amdhsa_workgroup_processor_mode 1
		.amdhsa_memory_ordered 1
		.amdhsa_forward_progress 1
		.amdhsa_inst_pref_size 0
		.amdhsa_round_robin_scheduling 0
		.amdhsa_exception_fp_ieee_invalid_op 0
		.amdhsa_exception_fp_denorm_src 0
		.amdhsa_exception_fp_ieee_div_zero 0
		.amdhsa_exception_fp_ieee_overflow 0
		.amdhsa_exception_fp_ieee_underflow 0
		.amdhsa_exception_fp_ieee_inexact 0
		.amdhsa_exception_int_div_zero 0
	.end_amdhsa_kernel
	.section	.text._ZN7rocprim17ROCPRIM_400000_NS6detail17trampoline_kernelINS0_14default_configENS1_22reduce_config_selectorIlEEZNS1_11reduce_implILb1ES3_PlS7_lN6thrust23THRUST_200600_302600_NS4plusIlEEEE10hipError_tPvRmT1_T2_T3_mT4_P12ihipStream_tbEUlT_E1_NS1_11comp_targetILNS1_3genE5ELNS1_11target_archE942ELNS1_3gpuE9ELNS1_3repE0EEENS1_30default_config_static_selectorELNS0_4arch9wavefront6targetE0EEEvSF_,"axG",@progbits,_ZN7rocprim17ROCPRIM_400000_NS6detail17trampoline_kernelINS0_14default_configENS1_22reduce_config_selectorIlEEZNS1_11reduce_implILb1ES3_PlS7_lN6thrust23THRUST_200600_302600_NS4plusIlEEEE10hipError_tPvRmT1_T2_T3_mT4_P12ihipStream_tbEUlT_E1_NS1_11comp_targetILNS1_3genE5ELNS1_11target_archE942ELNS1_3gpuE9ELNS1_3repE0EEENS1_30default_config_static_selectorELNS0_4arch9wavefront6targetE0EEEvSF_,comdat
.Lfunc_end57:
	.size	_ZN7rocprim17ROCPRIM_400000_NS6detail17trampoline_kernelINS0_14default_configENS1_22reduce_config_selectorIlEEZNS1_11reduce_implILb1ES3_PlS7_lN6thrust23THRUST_200600_302600_NS4plusIlEEEE10hipError_tPvRmT1_T2_T3_mT4_P12ihipStream_tbEUlT_E1_NS1_11comp_targetILNS1_3genE5ELNS1_11target_archE942ELNS1_3gpuE9ELNS1_3repE0EEENS1_30default_config_static_selectorELNS0_4arch9wavefront6targetE0EEEvSF_, .Lfunc_end57-_ZN7rocprim17ROCPRIM_400000_NS6detail17trampoline_kernelINS0_14default_configENS1_22reduce_config_selectorIlEEZNS1_11reduce_implILb1ES3_PlS7_lN6thrust23THRUST_200600_302600_NS4plusIlEEEE10hipError_tPvRmT1_T2_T3_mT4_P12ihipStream_tbEUlT_E1_NS1_11comp_targetILNS1_3genE5ELNS1_11target_archE942ELNS1_3gpuE9ELNS1_3repE0EEENS1_30default_config_static_selectorELNS0_4arch9wavefront6targetE0EEEvSF_
                                        ; -- End function
	.set _ZN7rocprim17ROCPRIM_400000_NS6detail17trampoline_kernelINS0_14default_configENS1_22reduce_config_selectorIlEEZNS1_11reduce_implILb1ES3_PlS7_lN6thrust23THRUST_200600_302600_NS4plusIlEEEE10hipError_tPvRmT1_T2_T3_mT4_P12ihipStream_tbEUlT_E1_NS1_11comp_targetILNS1_3genE5ELNS1_11target_archE942ELNS1_3gpuE9ELNS1_3repE0EEENS1_30default_config_static_selectorELNS0_4arch9wavefront6targetE0EEEvSF_.num_vgpr, 0
	.set _ZN7rocprim17ROCPRIM_400000_NS6detail17trampoline_kernelINS0_14default_configENS1_22reduce_config_selectorIlEEZNS1_11reduce_implILb1ES3_PlS7_lN6thrust23THRUST_200600_302600_NS4plusIlEEEE10hipError_tPvRmT1_T2_T3_mT4_P12ihipStream_tbEUlT_E1_NS1_11comp_targetILNS1_3genE5ELNS1_11target_archE942ELNS1_3gpuE9ELNS1_3repE0EEENS1_30default_config_static_selectorELNS0_4arch9wavefront6targetE0EEEvSF_.num_agpr, 0
	.set _ZN7rocprim17ROCPRIM_400000_NS6detail17trampoline_kernelINS0_14default_configENS1_22reduce_config_selectorIlEEZNS1_11reduce_implILb1ES3_PlS7_lN6thrust23THRUST_200600_302600_NS4plusIlEEEE10hipError_tPvRmT1_T2_T3_mT4_P12ihipStream_tbEUlT_E1_NS1_11comp_targetILNS1_3genE5ELNS1_11target_archE942ELNS1_3gpuE9ELNS1_3repE0EEENS1_30default_config_static_selectorELNS0_4arch9wavefront6targetE0EEEvSF_.numbered_sgpr, 0
	.set _ZN7rocprim17ROCPRIM_400000_NS6detail17trampoline_kernelINS0_14default_configENS1_22reduce_config_selectorIlEEZNS1_11reduce_implILb1ES3_PlS7_lN6thrust23THRUST_200600_302600_NS4plusIlEEEE10hipError_tPvRmT1_T2_T3_mT4_P12ihipStream_tbEUlT_E1_NS1_11comp_targetILNS1_3genE5ELNS1_11target_archE942ELNS1_3gpuE9ELNS1_3repE0EEENS1_30default_config_static_selectorELNS0_4arch9wavefront6targetE0EEEvSF_.num_named_barrier, 0
	.set _ZN7rocprim17ROCPRIM_400000_NS6detail17trampoline_kernelINS0_14default_configENS1_22reduce_config_selectorIlEEZNS1_11reduce_implILb1ES3_PlS7_lN6thrust23THRUST_200600_302600_NS4plusIlEEEE10hipError_tPvRmT1_T2_T3_mT4_P12ihipStream_tbEUlT_E1_NS1_11comp_targetILNS1_3genE5ELNS1_11target_archE942ELNS1_3gpuE9ELNS1_3repE0EEENS1_30default_config_static_selectorELNS0_4arch9wavefront6targetE0EEEvSF_.private_seg_size, 0
	.set _ZN7rocprim17ROCPRIM_400000_NS6detail17trampoline_kernelINS0_14default_configENS1_22reduce_config_selectorIlEEZNS1_11reduce_implILb1ES3_PlS7_lN6thrust23THRUST_200600_302600_NS4plusIlEEEE10hipError_tPvRmT1_T2_T3_mT4_P12ihipStream_tbEUlT_E1_NS1_11comp_targetILNS1_3genE5ELNS1_11target_archE942ELNS1_3gpuE9ELNS1_3repE0EEENS1_30default_config_static_selectorELNS0_4arch9wavefront6targetE0EEEvSF_.uses_vcc, 0
	.set _ZN7rocprim17ROCPRIM_400000_NS6detail17trampoline_kernelINS0_14default_configENS1_22reduce_config_selectorIlEEZNS1_11reduce_implILb1ES3_PlS7_lN6thrust23THRUST_200600_302600_NS4plusIlEEEE10hipError_tPvRmT1_T2_T3_mT4_P12ihipStream_tbEUlT_E1_NS1_11comp_targetILNS1_3genE5ELNS1_11target_archE942ELNS1_3gpuE9ELNS1_3repE0EEENS1_30default_config_static_selectorELNS0_4arch9wavefront6targetE0EEEvSF_.uses_flat_scratch, 0
	.set _ZN7rocprim17ROCPRIM_400000_NS6detail17trampoline_kernelINS0_14default_configENS1_22reduce_config_selectorIlEEZNS1_11reduce_implILb1ES3_PlS7_lN6thrust23THRUST_200600_302600_NS4plusIlEEEE10hipError_tPvRmT1_T2_T3_mT4_P12ihipStream_tbEUlT_E1_NS1_11comp_targetILNS1_3genE5ELNS1_11target_archE942ELNS1_3gpuE9ELNS1_3repE0EEENS1_30default_config_static_selectorELNS0_4arch9wavefront6targetE0EEEvSF_.has_dyn_sized_stack, 0
	.set _ZN7rocprim17ROCPRIM_400000_NS6detail17trampoline_kernelINS0_14default_configENS1_22reduce_config_selectorIlEEZNS1_11reduce_implILb1ES3_PlS7_lN6thrust23THRUST_200600_302600_NS4plusIlEEEE10hipError_tPvRmT1_T2_T3_mT4_P12ihipStream_tbEUlT_E1_NS1_11comp_targetILNS1_3genE5ELNS1_11target_archE942ELNS1_3gpuE9ELNS1_3repE0EEENS1_30default_config_static_selectorELNS0_4arch9wavefront6targetE0EEEvSF_.has_recursion, 0
	.set _ZN7rocprim17ROCPRIM_400000_NS6detail17trampoline_kernelINS0_14default_configENS1_22reduce_config_selectorIlEEZNS1_11reduce_implILb1ES3_PlS7_lN6thrust23THRUST_200600_302600_NS4plusIlEEEE10hipError_tPvRmT1_T2_T3_mT4_P12ihipStream_tbEUlT_E1_NS1_11comp_targetILNS1_3genE5ELNS1_11target_archE942ELNS1_3gpuE9ELNS1_3repE0EEENS1_30default_config_static_selectorELNS0_4arch9wavefront6targetE0EEEvSF_.has_indirect_call, 0
	.section	.AMDGPU.csdata,"",@progbits
; Kernel info:
; codeLenInByte = 0
; TotalNumSgprs: 0
; NumVgprs: 0
; ScratchSize: 0
; MemoryBound: 0
; FloatMode: 240
; IeeeMode: 1
; LDSByteSize: 0 bytes/workgroup (compile time only)
; SGPRBlocks: 0
; VGPRBlocks: 0
; NumSGPRsForWavesPerEU: 1
; NumVGPRsForWavesPerEU: 1
; Occupancy: 16
; WaveLimiterHint : 0
; COMPUTE_PGM_RSRC2:SCRATCH_EN: 0
; COMPUTE_PGM_RSRC2:USER_SGPR: 2
; COMPUTE_PGM_RSRC2:TRAP_HANDLER: 0
; COMPUTE_PGM_RSRC2:TGID_X_EN: 1
; COMPUTE_PGM_RSRC2:TGID_Y_EN: 0
; COMPUTE_PGM_RSRC2:TGID_Z_EN: 0
; COMPUTE_PGM_RSRC2:TIDIG_COMP_CNT: 0
	.section	.text._ZN7rocprim17ROCPRIM_400000_NS6detail17trampoline_kernelINS0_14default_configENS1_22reduce_config_selectorIlEEZNS1_11reduce_implILb1ES3_PlS7_lN6thrust23THRUST_200600_302600_NS4plusIlEEEE10hipError_tPvRmT1_T2_T3_mT4_P12ihipStream_tbEUlT_E1_NS1_11comp_targetILNS1_3genE4ELNS1_11target_archE910ELNS1_3gpuE8ELNS1_3repE0EEENS1_30default_config_static_selectorELNS0_4arch9wavefront6targetE0EEEvSF_,"axG",@progbits,_ZN7rocprim17ROCPRIM_400000_NS6detail17trampoline_kernelINS0_14default_configENS1_22reduce_config_selectorIlEEZNS1_11reduce_implILb1ES3_PlS7_lN6thrust23THRUST_200600_302600_NS4plusIlEEEE10hipError_tPvRmT1_T2_T3_mT4_P12ihipStream_tbEUlT_E1_NS1_11comp_targetILNS1_3genE4ELNS1_11target_archE910ELNS1_3gpuE8ELNS1_3repE0EEENS1_30default_config_static_selectorELNS0_4arch9wavefront6targetE0EEEvSF_,comdat
	.protected	_ZN7rocprim17ROCPRIM_400000_NS6detail17trampoline_kernelINS0_14default_configENS1_22reduce_config_selectorIlEEZNS1_11reduce_implILb1ES3_PlS7_lN6thrust23THRUST_200600_302600_NS4plusIlEEEE10hipError_tPvRmT1_T2_T3_mT4_P12ihipStream_tbEUlT_E1_NS1_11comp_targetILNS1_3genE4ELNS1_11target_archE910ELNS1_3gpuE8ELNS1_3repE0EEENS1_30default_config_static_selectorELNS0_4arch9wavefront6targetE0EEEvSF_ ; -- Begin function _ZN7rocprim17ROCPRIM_400000_NS6detail17trampoline_kernelINS0_14default_configENS1_22reduce_config_selectorIlEEZNS1_11reduce_implILb1ES3_PlS7_lN6thrust23THRUST_200600_302600_NS4plusIlEEEE10hipError_tPvRmT1_T2_T3_mT4_P12ihipStream_tbEUlT_E1_NS1_11comp_targetILNS1_3genE4ELNS1_11target_archE910ELNS1_3gpuE8ELNS1_3repE0EEENS1_30default_config_static_selectorELNS0_4arch9wavefront6targetE0EEEvSF_
	.globl	_ZN7rocprim17ROCPRIM_400000_NS6detail17trampoline_kernelINS0_14default_configENS1_22reduce_config_selectorIlEEZNS1_11reduce_implILb1ES3_PlS7_lN6thrust23THRUST_200600_302600_NS4plusIlEEEE10hipError_tPvRmT1_T2_T3_mT4_P12ihipStream_tbEUlT_E1_NS1_11comp_targetILNS1_3genE4ELNS1_11target_archE910ELNS1_3gpuE8ELNS1_3repE0EEENS1_30default_config_static_selectorELNS0_4arch9wavefront6targetE0EEEvSF_
	.p2align	8
	.type	_ZN7rocprim17ROCPRIM_400000_NS6detail17trampoline_kernelINS0_14default_configENS1_22reduce_config_selectorIlEEZNS1_11reduce_implILb1ES3_PlS7_lN6thrust23THRUST_200600_302600_NS4plusIlEEEE10hipError_tPvRmT1_T2_T3_mT4_P12ihipStream_tbEUlT_E1_NS1_11comp_targetILNS1_3genE4ELNS1_11target_archE910ELNS1_3gpuE8ELNS1_3repE0EEENS1_30default_config_static_selectorELNS0_4arch9wavefront6targetE0EEEvSF_,@function
_ZN7rocprim17ROCPRIM_400000_NS6detail17trampoline_kernelINS0_14default_configENS1_22reduce_config_selectorIlEEZNS1_11reduce_implILb1ES3_PlS7_lN6thrust23THRUST_200600_302600_NS4plusIlEEEE10hipError_tPvRmT1_T2_T3_mT4_P12ihipStream_tbEUlT_E1_NS1_11comp_targetILNS1_3genE4ELNS1_11target_archE910ELNS1_3gpuE8ELNS1_3repE0EEENS1_30default_config_static_selectorELNS0_4arch9wavefront6targetE0EEEvSF_: ; @_ZN7rocprim17ROCPRIM_400000_NS6detail17trampoline_kernelINS0_14default_configENS1_22reduce_config_selectorIlEEZNS1_11reduce_implILb1ES3_PlS7_lN6thrust23THRUST_200600_302600_NS4plusIlEEEE10hipError_tPvRmT1_T2_T3_mT4_P12ihipStream_tbEUlT_E1_NS1_11comp_targetILNS1_3genE4ELNS1_11target_archE910ELNS1_3gpuE8ELNS1_3repE0EEENS1_30default_config_static_selectorELNS0_4arch9wavefront6targetE0EEEvSF_
; %bb.0:
	.section	.rodata,"a",@progbits
	.p2align	6, 0x0
	.amdhsa_kernel _ZN7rocprim17ROCPRIM_400000_NS6detail17trampoline_kernelINS0_14default_configENS1_22reduce_config_selectorIlEEZNS1_11reduce_implILb1ES3_PlS7_lN6thrust23THRUST_200600_302600_NS4plusIlEEEE10hipError_tPvRmT1_T2_T3_mT4_P12ihipStream_tbEUlT_E1_NS1_11comp_targetILNS1_3genE4ELNS1_11target_archE910ELNS1_3gpuE8ELNS1_3repE0EEENS1_30default_config_static_selectorELNS0_4arch9wavefront6targetE0EEEvSF_
		.amdhsa_group_segment_fixed_size 0
		.amdhsa_private_segment_fixed_size 0
		.amdhsa_kernarg_size 48
		.amdhsa_user_sgpr_count 2
		.amdhsa_user_sgpr_dispatch_ptr 0
		.amdhsa_user_sgpr_queue_ptr 0
		.amdhsa_user_sgpr_kernarg_segment_ptr 1
		.amdhsa_user_sgpr_dispatch_id 0
		.amdhsa_user_sgpr_private_segment_size 0
		.amdhsa_wavefront_size32 1
		.amdhsa_uses_dynamic_stack 0
		.amdhsa_enable_private_segment 0
		.amdhsa_system_sgpr_workgroup_id_x 1
		.amdhsa_system_sgpr_workgroup_id_y 0
		.amdhsa_system_sgpr_workgroup_id_z 0
		.amdhsa_system_sgpr_workgroup_info 0
		.amdhsa_system_vgpr_workitem_id 0
		.amdhsa_next_free_vgpr 1
		.amdhsa_next_free_sgpr 1
		.amdhsa_reserve_vcc 0
		.amdhsa_float_round_mode_32 0
		.amdhsa_float_round_mode_16_64 0
		.amdhsa_float_denorm_mode_32 3
		.amdhsa_float_denorm_mode_16_64 3
		.amdhsa_fp16_overflow 0
		.amdhsa_workgroup_processor_mode 1
		.amdhsa_memory_ordered 1
		.amdhsa_forward_progress 1
		.amdhsa_inst_pref_size 0
		.amdhsa_round_robin_scheduling 0
		.amdhsa_exception_fp_ieee_invalid_op 0
		.amdhsa_exception_fp_denorm_src 0
		.amdhsa_exception_fp_ieee_div_zero 0
		.amdhsa_exception_fp_ieee_overflow 0
		.amdhsa_exception_fp_ieee_underflow 0
		.amdhsa_exception_fp_ieee_inexact 0
		.amdhsa_exception_int_div_zero 0
	.end_amdhsa_kernel
	.section	.text._ZN7rocprim17ROCPRIM_400000_NS6detail17trampoline_kernelINS0_14default_configENS1_22reduce_config_selectorIlEEZNS1_11reduce_implILb1ES3_PlS7_lN6thrust23THRUST_200600_302600_NS4plusIlEEEE10hipError_tPvRmT1_T2_T3_mT4_P12ihipStream_tbEUlT_E1_NS1_11comp_targetILNS1_3genE4ELNS1_11target_archE910ELNS1_3gpuE8ELNS1_3repE0EEENS1_30default_config_static_selectorELNS0_4arch9wavefront6targetE0EEEvSF_,"axG",@progbits,_ZN7rocprim17ROCPRIM_400000_NS6detail17trampoline_kernelINS0_14default_configENS1_22reduce_config_selectorIlEEZNS1_11reduce_implILb1ES3_PlS7_lN6thrust23THRUST_200600_302600_NS4plusIlEEEE10hipError_tPvRmT1_T2_T3_mT4_P12ihipStream_tbEUlT_E1_NS1_11comp_targetILNS1_3genE4ELNS1_11target_archE910ELNS1_3gpuE8ELNS1_3repE0EEENS1_30default_config_static_selectorELNS0_4arch9wavefront6targetE0EEEvSF_,comdat
.Lfunc_end58:
	.size	_ZN7rocprim17ROCPRIM_400000_NS6detail17trampoline_kernelINS0_14default_configENS1_22reduce_config_selectorIlEEZNS1_11reduce_implILb1ES3_PlS7_lN6thrust23THRUST_200600_302600_NS4plusIlEEEE10hipError_tPvRmT1_T2_T3_mT4_P12ihipStream_tbEUlT_E1_NS1_11comp_targetILNS1_3genE4ELNS1_11target_archE910ELNS1_3gpuE8ELNS1_3repE0EEENS1_30default_config_static_selectorELNS0_4arch9wavefront6targetE0EEEvSF_, .Lfunc_end58-_ZN7rocprim17ROCPRIM_400000_NS6detail17trampoline_kernelINS0_14default_configENS1_22reduce_config_selectorIlEEZNS1_11reduce_implILb1ES3_PlS7_lN6thrust23THRUST_200600_302600_NS4plusIlEEEE10hipError_tPvRmT1_T2_T3_mT4_P12ihipStream_tbEUlT_E1_NS1_11comp_targetILNS1_3genE4ELNS1_11target_archE910ELNS1_3gpuE8ELNS1_3repE0EEENS1_30default_config_static_selectorELNS0_4arch9wavefront6targetE0EEEvSF_
                                        ; -- End function
	.set _ZN7rocprim17ROCPRIM_400000_NS6detail17trampoline_kernelINS0_14default_configENS1_22reduce_config_selectorIlEEZNS1_11reduce_implILb1ES3_PlS7_lN6thrust23THRUST_200600_302600_NS4plusIlEEEE10hipError_tPvRmT1_T2_T3_mT4_P12ihipStream_tbEUlT_E1_NS1_11comp_targetILNS1_3genE4ELNS1_11target_archE910ELNS1_3gpuE8ELNS1_3repE0EEENS1_30default_config_static_selectorELNS0_4arch9wavefront6targetE0EEEvSF_.num_vgpr, 0
	.set _ZN7rocprim17ROCPRIM_400000_NS6detail17trampoline_kernelINS0_14default_configENS1_22reduce_config_selectorIlEEZNS1_11reduce_implILb1ES3_PlS7_lN6thrust23THRUST_200600_302600_NS4plusIlEEEE10hipError_tPvRmT1_T2_T3_mT4_P12ihipStream_tbEUlT_E1_NS1_11comp_targetILNS1_3genE4ELNS1_11target_archE910ELNS1_3gpuE8ELNS1_3repE0EEENS1_30default_config_static_selectorELNS0_4arch9wavefront6targetE0EEEvSF_.num_agpr, 0
	.set _ZN7rocprim17ROCPRIM_400000_NS6detail17trampoline_kernelINS0_14default_configENS1_22reduce_config_selectorIlEEZNS1_11reduce_implILb1ES3_PlS7_lN6thrust23THRUST_200600_302600_NS4plusIlEEEE10hipError_tPvRmT1_T2_T3_mT4_P12ihipStream_tbEUlT_E1_NS1_11comp_targetILNS1_3genE4ELNS1_11target_archE910ELNS1_3gpuE8ELNS1_3repE0EEENS1_30default_config_static_selectorELNS0_4arch9wavefront6targetE0EEEvSF_.numbered_sgpr, 0
	.set _ZN7rocprim17ROCPRIM_400000_NS6detail17trampoline_kernelINS0_14default_configENS1_22reduce_config_selectorIlEEZNS1_11reduce_implILb1ES3_PlS7_lN6thrust23THRUST_200600_302600_NS4plusIlEEEE10hipError_tPvRmT1_T2_T3_mT4_P12ihipStream_tbEUlT_E1_NS1_11comp_targetILNS1_3genE4ELNS1_11target_archE910ELNS1_3gpuE8ELNS1_3repE0EEENS1_30default_config_static_selectorELNS0_4arch9wavefront6targetE0EEEvSF_.num_named_barrier, 0
	.set _ZN7rocprim17ROCPRIM_400000_NS6detail17trampoline_kernelINS0_14default_configENS1_22reduce_config_selectorIlEEZNS1_11reduce_implILb1ES3_PlS7_lN6thrust23THRUST_200600_302600_NS4plusIlEEEE10hipError_tPvRmT1_T2_T3_mT4_P12ihipStream_tbEUlT_E1_NS1_11comp_targetILNS1_3genE4ELNS1_11target_archE910ELNS1_3gpuE8ELNS1_3repE0EEENS1_30default_config_static_selectorELNS0_4arch9wavefront6targetE0EEEvSF_.private_seg_size, 0
	.set _ZN7rocprim17ROCPRIM_400000_NS6detail17trampoline_kernelINS0_14default_configENS1_22reduce_config_selectorIlEEZNS1_11reduce_implILb1ES3_PlS7_lN6thrust23THRUST_200600_302600_NS4plusIlEEEE10hipError_tPvRmT1_T2_T3_mT4_P12ihipStream_tbEUlT_E1_NS1_11comp_targetILNS1_3genE4ELNS1_11target_archE910ELNS1_3gpuE8ELNS1_3repE0EEENS1_30default_config_static_selectorELNS0_4arch9wavefront6targetE0EEEvSF_.uses_vcc, 0
	.set _ZN7rocprim17ROCPRIM_400000_NS6detail17trampoline_kernelINS0_14default_configENS1_22reduce_config_selectorIlEEZNS1_11reduce_implILb1ES3_PlS7_lN6thrust23THRUST_200600_302600_NS4plusIlEEEE10hipError_tPvRmT1_T2_T3_mT4_P12ihipStream_tbEUlT_E1_NS1_11comp_targetILNS1_3genE4ELNS1_11target_archE910ELNS1_3gpuE8ELNS1_3repE0EEENS1_30default_config_static_selectorELNS0_4arch9wavefront6targetE0EEEvSF_.uses_flat_scratch, 0
	.set _ZN7rocprim17ROCPRIM_400000_NS6detail17trampoline_kernelINS0_14default_configENS1_22reduce_config_selectorIlEEZNS1_11reduce_implILb1ES3_PlS7_lN6thrust23THRUST_200600_302600_NS4plusIlEEEE10hipError_tPvRmT1_T2_T3_mT4_P12ihipStream_tbEUlT_E1_NS1_11comp_targetILNS1_3genE4ELNS1_11target_archE910ELNS1_3gpuE8ELNS1_3repE0EEENS1_30default_config_static_selectorELNS0_4arch9wavefront6targetE0EEEvSF_.has_dyn_sized_stack, 0
	.set _ZN7rocprim17ROCPRIM_400000_NS6detail17trampoline_kernelINS0_14default_configENS1_22reduce_config_selectorIlEEZNS1_11reduce_implILb1ES3_PlS7_lN6thrust23THRUST_200600_302600_NS4plusIlEEEE10hipError_tPvRmT1_T2_T3_mT4_P12ihipStream_tbEUlT_E1_NS1_11comp_targetILNS1_3genE4ELNS1_11target_archE910ELNS1_3gpuE8ELNS1_3repE0EEENS1_30default_config_static_selectorELNS0_4arch9wavefront6targetE0EEEvSF_.has_recursion, 0
	.set _ZN7rocprim17ROCPRIM_400000_NS6detail17trampoline_kernelINS0_14default_configENS1_22reduce_config_selectorIlEEZNS1_11reduce_implILb1ES3_PlS7_lN6thrust23THRUST_200600_302600_NS4plusIlEEEE10hipError_tPvRmT1_T2_T3_mT4_P12ihipStream_tbEUlT_E1_NS1_11comp_targetILNS1_3genE4ELNS1_11target_archE910ELNS1_3gpuE8ELNS1_3repE0EEENS1_30default_config_static_selectorELNS0_4arch9wavefront6targetE0EEEvSF_.has_indirect_call, 0
	.section	.AMDGPU.csdata,"",@progbits
; Kernel info:
; codeLenInByte = 0
; TotalNumSgprs: 0
; NumVgprs: 0
; ScratchSize: 0
; MemoryBound: 0
; FloatMode: 240
; IeeeMode: 1
; LDSByteSize: 0 bytes/workgroup (compile time only)
; SGPRBlocks: 0
; VGPRBlocks: 0
; NumSGPRsForWavesPerEU: 1
; NumVGPRsForWavesPerEU: 1
; Occupancy: 16
; WaveLimiterHint : 0
; COMPUTE_PGM_RSRC2:SCRATCH_EN: 0
; COMPUTE_PGM_RSRC2:USER_SGPR: 2
; COMPUTE_PGM_RSRC2:TRAP_HANDLER: 0
; COMPUTE_PGM_RSRC2:TGID_X_EN: 1
; COMPUTE_PGM_RSRC2:TGID_Y_EN: 0
; COMPUTE_PGM_RSRC2:TGID_Z_EN: 0
; COMPUTE_PGM_RSRC2:TIDIG_COMP_CNT: 0
	.section	.text._ZN7rocprim17ROCPRIM_400000_NS6detail17trampoline_kernelINS0_14default_configENS1_22reduce_config_selectorIlEEZNS1_11reduce_implILb1ES3_PlS7_lN6thrust23THRUST_200600_302600_NS4plusIlEEEE10hipError_tPvRmT1_T2_T3_mT4_P12ihipStream_tbEUlT_E1_NS1_11comp_targetILNS1_3genE3ELNS1_11target_archE908ELNS1_3gpuE7ELNS1_3repE0EEENS1_30default_config_static_selectorELNS0_4arch9wavefront6targetE0EEEvSF_,"axG",@progbits,_ZN7rocprim17ROCPRIM_400000_NS6detail17trampoline_kernelINS0_14default_configENS1_22reduce_config_selectorIlEEZNS1_11reduce_implILb1ES3_PlS7_lN6thrust23THRUST_200600_302600_NS4plusIlEEEE10hipError_tPvRmT1_T2_T3_mT4_P12ihipStream_tbEUlT_E1_NS1_11comp_targetILNS1_3genE3ELNS1_11target_archE908ELNS1_3gpuE7ELNS1_3repE0EEENS1_30default_config_static_selectorELNS0_4arch9wavefront6targetE0EEEvSF_,comdat
	.protected	_ZN7rocprim17ROCPRIM_400000_NS6detail17trampoline_kernelINS0_14default_configENS1_22reduce_config_selectorIlEEZNS1_11reduce_implILb1ES3_PlS7_lN6thrust23THRUST_200600_302600_NS4plusIlEEEE10hipError_tPvRmT1_T2_T3_mT4_P12ihipStream_tbEUlT_E1_NS1_11comp_targetILNS1_3genE3ELNS1_11target_archE908ELNS1_3gpuE7ELNS1_3repE0EEENS1_30default_config_static_selectorELNS0_4arch9wavefront6targetE0EEEvSF_ ; -- Begin function _ZN7rocprim17ROCPRIM_400000_NS6detail17trampoline_kernelINS0_14default_configENS1_22reduce_config_selectorIlEEZNS1_11reduce_implILb1ES3_PlS7_lN6thrust23THRUST_200600_302600_NS4plusIlEEEE10hipError_tPvRmT1_T2_T3_mT4_P12ihipStream_tbEUlT_E1_NS1_11comp_targetILNS1_3genE3ELNS1_11target_archE908ELNS1_3gpuE7ELNS1_3repE0EEENS1_30default_config_static_selectorELNS0_4arch9wavefront6targetE0EEEvSF_
	.globl	_ZN7rocprim17ROCPRIM_400000_NS6detail17trampoline_kernelINS0_14default_configENS1_22reduce_config_selectorIlEEZNS1_11reduce_implILb1ES3_PlS7_lN6thrust23THRUST_200600_302600_NS4plusIlEEEE10hipError_tPvRmT1_T2_T3_mT4_P12ihipStream_tbEUlT_E1_NS1_11comp_targetILNS1_3genE3ELNS1_11target_archE908ELNS1_3gpuE7ELNS1_3repE0EEENS1_30default_config_static_selectorELNS0_4arch9wavefront6targetE0EEEvSF_
	.p2align	8
	.type	_ZN7rocprim17ROCPRIM_400000_NS6detail17trampoline_kernelINS0_14default_configENS1_22reduce_config_selectorIlEEZNS1_11reduce_implILb1ES3_PlS7_lN6thrust23THRUST_200600_302600_NS4plusIlEEEE10hipError_tPvRmT1_T2_T3_mT4_P12ihipStream_tbEUlT_E1_NS1_11comp_targetILNS1_3genE3ELNS1_11target_archE908ELNS1_3gpuE7ELNS1_3repE0EEENS1_30default_config_static_selectorELNS0_4arch9wavefront6targetE0EEEvSF_,@function
_ZN7rocprim17ROCPRIM_400000_NS6detail17trampoline_kernelINS0_14default_configENS1_22reduce_config_selectorIlEEZNS1_11reduce_implILb1ES3_PlS7_lN6thrust23THRUST_200600_302600_NS4plusIlEEEE10hipError_tPvRmT1_T2_T3_mT4_P12ihipStream_tbEUlT_E1_NS1_11comp_targetILNS1_3genE3ELNS1_11target_archE908ELNS1_3gpuE7ELNS1_3repE0EEENS1_30default_config_static_selectorELNS0_4arch9wavefront6targetE0EEEvSF_: ; @_ZN7rocprim17ROCPRIM_400000_NS6detail17trampoline_kernelINS0_14default_configENS1_22reduce_config_selectorIlEEZNS1_11reduce_implILb1ES3_PlS7_lN6thrust23THRUST_200600_302600_NS4plusIlEEEE10hipError_tPvRmT1_T2_T3_mT4_P12ihipStream_tbEUlT_E1_NS1_11comp_targetILNS1_3genE3ELNS1_11target_archE908ELNS1_3gpuE7ELNS1_3repE0EEENS1_30default_config_static_selectorELNS0_4arch9wavefront6targetE0EEEvSF_
; %bb.0:
	.section	.rodata,"a",@progbits
	.p2align	6, 0x0
	.amdhsa_kernel _ZN7rocprim17ROCPRIM_400000_NS6detail17trampoline_kernelINS0_14default_configENS1_22reduce_config_selectorIlEEZNS1_11reduce_implILb1ES3_PlS7_lN6thrust23THRUST_200600_302600_NS4plusIlEEEE10hipError_tPvRmT1_T2_T3_mT4_P12ihipStream_tbEUlT_E1_NS1_11comp_targetILNS1_3genE3ELNS1_11target_archE908ELNS1_3gpuE7ELNS1_3repE0EEENS1_30default_config_static_selectorELNS0_4arch9wavefront6targetE0EEEvSF_
		.amdhsa_group_segment_fixed_size 0
		.amdhsa_private_segment_fixed_size 0
		.amdhsa_kernarg_size 48
		.amdhsa_user_sgpr_count 2
		.amdhsa_user_sgpr_dispatch_ptr 0
		.amdhsa_user_sgpr_queue_ptr 0
		.amdhsa_user_sgpr_kernarg_segment_ptr 1
		.amdhsa_user_sgpr_dispatch_id 0
		.amdhsa_user_sgpr_private_segment_size 0
		.amdhsa_wavefront_size32 1
		.amdhsa_uses_dynamic_stack 0
		.amdhsa_enable_private_segment 0
		.amdhsa_system_sgpr_workgroup_id_x 1
		.amdhsa_system_sgpr_workgroup_id_y 0
		.amdhsa_system_sgpr_workgroup_id_z 0
		.amdhsa_system_sgpr_workgroup_info 0
		.amdhsa_system_vgpr_workitem_id 0
		.amdhsa_next_free_vgpr 1
		.amdhsa_next_free_sgpr 1
		.amdhsa_reserve_vcc 0
		.amdhsa_float_round_mode_32 0
		.amdhsa_float_round_mode_16_64 0
		.amdhsa_float_denorm_mode_32 3
		.amdhsa_float_denorm_mode_16_64 3
		.amdhsa_fp16_overflow 0
		.amdhsa_workgroup_processor_mode 1
		.amdhsa_memory_ordered 1
		.amdhsa_forward_progress 1
		.amdhsa_inst_pref_size 0
		.amdhsa_round_robin_scheduling 0
		.amdhsa_exception_fp_ieee_invalid_op 0
		.amdhsa_exception_fp_denorm_src 0
		.amdhsa_exception_fp_ieee_div_zero 0
		.amdhsa_exception_fp_ieee_overflow 0
		.amdhsa_exception_fp_ieee_underflow 0
		.amdhsa_exception_fp_ieee_inexact 0
		.amdhsa_exception_int_div_zero 0
	.end_amdhsa_kernel
	.section	.text._ZN7rocprim17ROCPRIM_400000_NS6detail17trampoline_kernelINS0_14default_configENS1_22reduce_config_selectorIlEEZNS1_11reduce_implILb1ES3_PlS7_lN6thrust23THRUST_200600_302600_NS4plusIlEEEE10hipError_tPvRmT1_T2_T3_mT4_P12ihipStream_tbEUlT_E1_NS1_11comp_targetILNS1_3genE3ELNS1_11target_archE908ELNS1_3gpuE7ELNS1_3repE0EEENS1_30default_config_static_selectorELNS0_4arch9wavefront6targetE0EEEvSF_,"axG",@progbits,_ZN7rocprim17ROCPRIM_400000_NS6detail17trampoline_kernelINS0_14default_configENS1_22reduce_config_selectorIlEEZNS1_11reduce_implILb1ES3_PlS7_lN6thrust23THRUST_200600_302600_NS4plusIlEEEE10hipError_tPvRmT1_T2_T3_mT4_P12ihipStream_tbEUlT_E1_NS1_11comp_targetILNS1_3genE3ELNS1_11target_archE908ELNS1_3gpuE7ELNS1_3repE0EEENS1_30default_config_static_selectorELNS0_4arch9wavefront6targetE0EEEvSF_,comdat
.Lfunc_end59:
	.size	_ZN7rocprim17ROCPRIM_400000_NS6detail17trampoline_kernelINS0_14default_configENS1_22reduce_config_selectorIlEEZNS1_11reduce_implILb1ES3_PlS7_lN6thrust23THRUST_200600_302600_NS4plusIlEEEE10hipError_tPvRmT1_T2_T3_mT4_P12ihipStream_tbEUlT_E1_NS1_11comp_targetILNS1_3genE3ELNS1_11target_archE908ELNS1_3gpuE7ELNS1_3repE0EEENS1_30default_config_static_selectorELNS0_4arch9wavefront6targetE0EEEvSF_, .Lfunc_end59-_ZN7rocprim17ROCPRIM_400000_NS6detail17trampoline_kernelINS0_14default_configENS1_22reduce_config_selectorIlEEZNS1_11reduce_implILb1ES3_PlS7_lN6thrust23THRUST_200600_302600_NS4plusIlEEEE10hipError_tPvRmT1_T2_T3_mT4_P12ihipStream_tbEUlT_E1_NS1_11comp_targetILNS1_3genE3ELNS1_11target_archE908ELNS1_3gpuE7ELNS1_3repE0EEENS1_30default_config_static_selectorELNS0_4arch9wavefront6targetE0EEEvSF_
                                        ; -- End function
	.set _ZN7rocprim17ROCPRIM_400000_NS6detail17trampoline_kernelINS0_14default_configENS1_22reduce_config_selectorIlEEZNS1_11reduce_implILb1ES3_PlS7_lN6thrust23THRUST_200600_302600_NS4plusIlEEEE10hipError_tPvRmT1_T2_T3_mT4_P12ihipStream_tbEUlT_E1_NS1_11comp_targetILNS1_3genE3ELNS1_11target_archE908ELNS1_3gpuE7ELNS1_3repE0EEENS1_30default_config_static_selectorELNS0_4arch9wavefront6targetE0EEEvSF_.num_vgpr, 0
	.set _ZN7rocprim17ROCPRIM_400000_NS6detail17trampoline_kernelINS0_14default_configENS1_22reduce_config_selectorIlEEZNS1_11reduce_implILb1ES3_PlS7_lN6thrust23THRUST_200600_302600_NS4plusIlEEEE10hipError_tPvRmT1_T2_T3_mT4_P12ihipStream_tbEUlT_E1_NS1_11comp_targetILNS1_3genE3ELNS1_11target_archE908ELNS1_3gpuE7ELNS1_3repE0EEENS1_30default_config_static_selectorELNS0_4arch9wavefront6targetE0EEEvSF_.num_agpr, 0
	.set _ZN7rocprim17ROCPRIM_400000_NS6detail17trampoline_kernelINS0_14default_configENS1_22reduce_config_selectorIlEEZNS1_11reduce_implILb1ES3_PlS7_lN6thrust23THRUST_200600_302600_NS4plusIlEEEE10hipError_tPvRmT1_T2_T3_mT4_P12ihipStream_tbEUlT_E1_NS1_11comp_targetILNS1_3genE3ELNS1_11target_archE908ELNS1_3gpuE7ELNS1_3repE0EEENS1_30default_config_static_selectorELNS0_4arch9wavefront6targetE0EEEvSF_.numbered_sgpr, 0
	.set _ZN7rocprim17ROCPRIM_400000_NS6detail17trampoline_kernelINS0_14default_configENS1_22reduce_config_selectorIlEEZNS1_11reduce_implILb1ES3_PlS7_lN6thrust23THRUST_200600_302600_NS4plusIlEEEE10hipError_tPvRmT1_T2_T3_mT4_P12ihipStream_tbEUlT_E1_NS1_11comp_targetILNS1_3genE3ELNS1_11target_archE908ELNS1_3gpuE7ELNS1_3repE0EEENS1_30default_config_static_selectorELNS0_4arch9wavefront6targetE0EEEvSF_.num_named_barrier, 0
	.set _ZN7rocprim17ROCPRIM_400000_NS6detail17trampoline_kernelINS0_14default_configENS1_22reduce_config_selectorIlEEZNS1_11reduce_implILb1ES3_PlS7_lN6thrust23THRUST_200600_302600_NS4plusIlEEEE10hipError_tPvRmT1_T2_T3_mT4_P12ihipStream_tbEUlT_E1_NS1_11comp_targetILNS1_3genE3ELNS1_11target_archE908ELNS1_3gpuE7ELNS1_3repE0EEENS1_30default_config_static_selectorELNS0_4arch9wavefront6targetE0EEEvSF_.private_seg_size, 0
	.set _ZN7rocprim17ROCPRIM_400000_NS6detail17trampoline_kernelINS0_14default_configENS1_22reduce_config_selectorIlEEZNS1_11reduce_implILb1ES3_PlS7_lN6thrust23THRUST_200600_302600_NS4plusIlEEEE10hipError_tPvRmT1_T2_T3_mT4_P12ihipStream_tbEUlT_E1_NS1_11comp_targetILNS1_3genE3ELNS1_11target_archE908ELNS1_3gpuE7ELNS1_3repE0EEENS1_30default_config_static_selectorELNS0_4arch9wavefront6targetE0EEEvSF_.uses_vcc, 0
	.set _ZN7rocprim17ROCPRIM_400000_NS6detail17trampoline_kernelINS0_14default_configENS1_22reduce_config_selectorIlEEZNS1_11reduce_implILb1ES3_PlS7_lN6thrust23THRUST_200600_302600_NS4plusIlEEEE10hipError_tPvRmT1_T2_T3_mT4_P12ihipStream_tbEUlT_E1_NS1_11comp_targetILNS1_3genE3ELNS1_11target_archE908ELNS1_3gpuE7ELNS1_3repE0EEENS1_30default_config_static_selectorELNS0_4arch9wavefront6targetE0EEEvSF_.uses_flat_scratch, 0
	.set _ZN7rocprim17ROCPRIM_400000_NS6detail17trampoline_kernelINS0_14default_configENS1_22reduce_config_selectorIlEEZNS1_11reduce_implILb1ES3_PlS7_lN6thrust23THRUST_200600_302600_NS4plusIlEEEE10hipError_tPvRmT1_T2_T3_mT4_P12ihipStream_tbEUlT_E1_NS1_11comp_targetILNS1_3genE3ELNS1_11target_archE908ELNS1_3gpuE7ELNS1_3repE0EEENS1_30default_config_static_selectorELNS0_4arch9wavefront6targetE0EEEvSF_.has_dyn_sized_stack, 0
	.set _ZN7rocprim17ROCPRIM_400000_NS6detail17trampoline_kernelINS0_14default_configENS1_22reduce_config_selectorIlEEZNS1_11reduce_implILb1ES3_PlS7_lN6thrust23THRUST_200600_302600_NS4plusIlEEEE10hipError_tPvRmT1_T2_T3_mT4_P12ihipStream_tbEUlT_E1_NS1_11comp_targetILNS1_3genE3ELNS1_11target_archE908ELNS1_3gpuE7ELNS1_3repE0EEENS1_30default_config_static_selectorELNS0_4arch9wavefront6targetE0EEEvSF_.has_recursion, 0
	.set _ZN7rocprim17ROCPRIM_400000_NS6detail17trampoline_kernelINS0_14default_configENS1_22reduce_config_selectorIlEEZNS1_11reduce_implILb1ES3_PlS7_lN6thrust23THRUST_200600_302600_NS4plusIlEEEE10hipError_tPvRmT1_T2_T3_mT4_P12ihipStream_tbEUlT_E1_NS1_11comp_targetILNS1_3genE3ELNS1_11target_archE908ELNS1_3gpuE7ELNS1_3repE0EEENS1_30default_config_static_selectorELNS0_4arch9wavefront6targetE0EEEvSF_.has_indirect_call, 0
	.section	.AMDGPU.csdata,"",@progbits
; Kernel info:
; codeLenInByte = 0
; TotalNumSgprs: 0
; NumVgprs: 0
; ScratchSize: 0
; MemoryBound: 0
; FloatMode: 240
; IeeeMode: 1
; LDSByteSize: 0 bytes/workgroup (compile time only)
; SGPRBlocks: 0
; VGPRBlocks: 0
; NumSGPRsForWavesPerEU: 1
; NumVGPRsForWavesPerEU: 1
; Occupancy: 16
; WaveLimiterHint : 0
; COMPUTE_PGM_RSRC2:SCRATCH_EN: 0
; COMPUTE_PGM_RSRC2:USER_SGPR: 2
; COMPUTE_PGM_RSRC2:TRAP_HANDLER: 0
; COMPUTE_PGM_RSRC2:TGID_X_EN: 1
; COMPUTE_PGM_RSRC2:TGID_Y_EN: 0
; COMPUTE_PGM_RSRC2:TGID_Z_EN: 0
; COMPUTE_PGM_RSRC2:TIDIG_COMP_CNT: 0
	.section	.text._ZN7rocprim17ROCPRIM_400000_NS6detail17trampoline_kernelINS0_14default_configENS1_22reduce_config_selectorIlEEZNS1_11reduce_implILb1ES3_PlS7_lN6thrust23THRUST_200600_302600_NS4plusIlEEEE10hipError_tPvRmT1_T2_T3_mT4_P12ihipStream_tbEUlT_E1_NS1_11comp_targetILNS1_3genE2ELNS1_11target_archE906ELNS1_3gpuE6ELNS1_3repE0EEENS1_30default_config_static_selectorELNS0_4arch9wavefront6targetE0EEEvSF_,"axG",@progbits,_ZN7rocprim17ROCPRIM_400000_NS6detail17trampoline_kernelINS0_14default_configENS1_22reduce_config_selectorIlEEZNS1_11reduce_implILb1ES3_PlS7_lN6thrust23THRUST_200600_302600_NS4plusIlEEEE10hipError_tPvRmT1_T2_T3_mT4_P12ihipStream_tbEUlT_E1_NS1_11comp_targetILNS1_3genE2ELNS1_11target_archE906ELNS1_3gpuE6ELNS1_3repE0EEENS1_30default_config_static_selectorELNS0_4arch9wavefront6targetE0EEEvSF_,comdat
	.protected	_ZN7rocprim17ROCPRIM_400000_NS6detail17trampoline_kernelINS0_14default_configENS1_22reduce_config_selectorIlEEZNS1_11reduce_implILb1ES3_PlS7_lN6thrust23THRUST_200600_302600_NS4plusIlEEEE10hipError_tPvRmT1_T2_T3_mT4_P12ihipStream_tbEUlT_E1_NS1_11comp_targetILNS1_3genE2ELNS1_11target_archE906ELNS1_3gpuE6ELNS1_3repE0EEENS1_30default_config_static_selectorELNS0_4arch9wavefront6targetE0EEEvSF_ ; -- Begin function _ZN7rocprim17ROCPRIM_400000_NS6detail17trampoline_kernelINS0_14default_configENS1_22reduce_config_selectorIlEEZNS1_11reduce_implILb1ES3_PlS7_lN6thrust23THRUST_200600_302600_NS4plusIlEEEE10hipError_tPvRmT1_T2_T3_mT4_P12ihipStream_tbEUlT_E1_NS1_11comp_targetILNS1_3genE2ELNS1_11target_archE906ELNS1_3gpuE6ELNS1_3repE0EEENS1_30default_config_static_selectorELNS0_4arch9wavefront6targetE0EEEvSF_
	.globl	_ZN7rocprim17ROCPRIM_400000_NS6detail17trampoline_kernelINS0_14default_configENS1_22reduce_config_selectorIlEEZNS1_11reduce_implILb1ES3_PlS7_lN6thrust23THRUST_200600_302600_NS4plusIlEEEE10hipError_tPvRmT1_T2_T3_mT4_P12ihipStream_tbEUlT_E1_NS1_11comp_targetILNS1_3genE2ELNS1_11target_archE906ELNS1_3gpuE6ELNS1_3repE0EEENS1_30default_config_static_selectorELNS0_4arch9wavefront6targetE0EEEvSF_
	.p2align	8
	.type	_ZN7rocprim17ROCPRIM_400000_NS6detail17trampoline_kernelINS0_14default_configENS1_22reduce_config_selectorIlEEZNS1_11reduce_implILb1ES3_PlS7_lN6thrust23THRUST_200600_302600_NS4plusIlEEEE10hipError_tPvRmT1_T2_T3_mT4_P12ihipStream_tbEUlT_E1_NS1_11comp_targetILNS1_3genE2ELNS1_11target_archE906ELNS1_3gpuE6ELNS1_3repE0EEENS1_30default_config_static_selectorELNS0_4arch9wavefront6targetE0EEEvSF_,@function
_ZN7rocprim17ROCPRIM_400000_NS6detail17trampoline_kernelINS0_14default_configENS1_22reduce_config_selectorIlEEZNS1_11reduce_implILb1ES3_PlS7_lN6thrust23THRUST_200600_302600_NS4plusIlEEEE10hipError_tPvRmT1_T2_T3_mT4_P12ihipStream_tbEUlT_E1_NS1_11comp_targetILNS1_3genE2ELNS1_11target_archE906ELNS1_3gpuE6ELNS1_3repE0EEENS1_30default_config_static_selectorELNS0_4arch9wavefront6targetE0EEEvSF_: ; @_ZN7rocprim17ROCPRIM_400000_NS6detail17trampoline_kernelINS0_14default_configENS1_22reduce_config_selectorIlEEZNS1_11reduce_implILb1ES3_PlS7_lN6thrust23THRUST_200600_302600_NS4plusIlEEEE10hipError_tPvRmT1_T2_T3_mT4_P12ihipStream_tbEUlT_E1_NS1_11comp_targetILNS1_3genE2ELNS1_11target_archE906ELNS1_3gpuE6ELNS1_3repE0EEENS1_30default_config_static_selectorELNS0_4arch9wavefront6targetE0EEEvSF_
; %bb.0:
	.section	.rodata,"a",@progbits
	.p2align	6, 0x0
	.amdhsa_kernel _ZN7rocprim17ROCPRIM_400000_NS6detail17trampoline_kernelINS0_14default_configENS1_22reduce_config_selectorIlEEZNS1_11reduce_implILb1ES3_PlS7_lN6thrust23THRUST_200600_302600_NS4plusIlEEEE10hipError_tPvRmT1_T2_T3_mT4_P12ihipStream_tbEUlT_E1_NS1_11comp_targetILNS1_3genE2ELNS1_11target_archE906ELNS1_3gpuE6ELNS1_3repE0EEENS1_30default_config_static_selectorELNS0_4arch9wavefront6targetE0EEEvSF_
		.amdhsa_group_segment_fixed_size 0
		.amdhsa_private_segment_fixed_size 0
		.amdhsa_kernarg_size 48
		.amdhsa_user_sgpr_count 2
		.amdhsa_user_sgpr_dispatch_ptr 0
		.amdhsa_user_sgpr_queue_ptr 0
		.amdhsa_user_sgpr_kernarg_segment_ptr 1
		.amdhsa_user_sgpr_dispatch_id 0
		.amdhsa_user_sgpr_private_segment_size 0
		.amdhsa_wavefront_size32 1
		.amdhsa_uses_dynamic_stack 0
		.amdhsa_enable_private_segment 0
		.amdhsa_system_sgpr_workgroup_id_x 1
		.amdhsa_system_sgpr_workgroup_id_y 0
		.amdhsa_system_sgpr_workgroup_id_z 0
		.amdhsa_system_sgpr_workgroup_info 0
		.amdhsa_system_vgpr_workitem_id 0
		.amdhsa_next_free_vgpr 1
		.amdhsa_next_free_sgpr 1
		.amdhsa_reserve_vcc 0
		.amdhsa_float_round_mode_32 0
		.amdhsa_float_round_mode_16_64 0
		.amdhsa_float_denorm_mode_32 3
		.amdhsa_float_denorm_mode_16_64 3
		.amdhsa_fp16_overflow 0
		.amdhsa_workgroup_processor_mode 1
		.amdhsa_memory_ordered 1
		.amdhsa_forward_progress 1
		.amdhsa_inst_pref_size 0
		.amdhsa_round_robin_scheduling 0
		.amdhsa_exception_fp_ieee_invalid_op 0
		.amdhsa_exception_fp_denorm_src 0
		.amdhsa_exception_fp_ieee_div_zero 0
		.amdhsa_exception_fp_ieee_overflow 0
		.amdhsa_exception_fp_ieee_underflow 0
		.amdhsa_exception_fp_ieee_inexact 0
		.amdhsa_exception_int_div_zero 0
	.end_amdhsa_kernel
	.section	.text._ZN7rocprim17ROCPRIM_400000_NS6detail17trampoline_kernelINS0_14default_configENS1_22reduce_config_selectorIlEEZNS1_11reduce_implILb1ES3_PlS7_lN6thrust23THRUST_200600_302600_NS4plusIlEEEE10hipError_tPvRmT1_T2_T3_mT4_P12ihipStream_tbEUlT_E1_NS1_11comp_targetILNS1_3genE2ELNS1_11target_archE906ELNS1_3gpuE6ELNS1_3repE0EEENS1_30default_config_static_selectorELNS0_4arch9wavefront6targetE0EEEvSF_,"axG",@progbits,_ZN7rocprim17ROCPRIM_400000_NS6detail17trampoline_kernelINS0_14default_configENS1_22reduce_config_selectorIlEEZNS1_11reduce_implILb1ES3_PlS7_lN6thrust23THRUST_200600_302600_NS4plusIlEEEE10hipError_tPvRmT1_T2_T3_mT4_P12ihipStream_tbEUlT_E1_NS1_11comp_targetILNS1_3genE2ELNS1_11target_archE906ELNS1_3gpuE6ELNS1_3repE0EEENS1_30default_config_static_selectorELNS0_4arch9wavefront6targetE0EEEvSF_,comdat
.Lfunc_end60:
	.size	_ZN7rocprim17ROCPRIM_400000_NS6detail17trampoline_kernelINS0_14default_configENS1_22reduce_config_selectorIlEEZNS1_11reduce_implILb1ES3_PlS7_lN6thrust23THRUST_200600_302600_NS4plusIlEEEE10hipError_tPvRmT1_T2_T3_mT4_P12ihipStream_tbEUlT_E1_NS1_11comp_targetILNS1_3genE2ELNS1_11target_archE906ELNS1_3gpuE6ELNS1_3repE0EEENS1_30default_config_static_selectorELNS0_4arch9wavefront6targetE0EEEvSF_, .Lfunc_end60-_ZN7rocprim17ROCPRIM_400000_NS6detail17trampoline_kernelINS0_14default_configENS1_22reduce_config_selectorIlEEZNS1_11reduce_implILb1ES3_PlS7_lN6thrust23THRUST_200600_302600_NS4plusIlEEEE10hipError_tPvRmT1_T2_T3_mT4_P12ihipStream_tbEUlT_E1_NS1_11comp_targetILNS1_3genE2ELNS1_11target_archE906ELNS1_3gpuE6ELNS1_3repE0EEENS1_30default_config_static_selectorELNS0_4arch9wavefront6targetE0EEEvSF_
                                        ; -- End function
	.set _ZN7rocprim17ROCPRIM_400000_NS6detail17trampoline_kernelINS0_14default_configENS1_22reduce_config_selectorIlEEZNS1_11reduce_implILb1ES3_PlS7_lN6thrust23THRUST_200600_302600_NS4plusIlEEEE10hipError_tPvRmT1_T2_T3_mT4_P12ihipStream_tbEUlT_E1_NS1_11comp_targetILNS1_3genE2ELNS1_11target_archE906ELNS1_3gpuE6ELNS1_3repE0EEENS1_30default_config_static_selectorELNS0_4arch9wavefront6targetE0EEEvSF_.num_vgpr, 0
	.set _ZN7rocprim17ROCPRIM_400000_NS6detail17trampoline_kernelINS0_14default_configENS1_22reduce_config_selectorIlEEZNS1_11reduce_implILb1ES3_PlS7_lN6thrust23THRUST_200600_302600_NS4plusIlEEEE10hipError_tPvRmT1_T2_T3_mT4_P12ihipStream_tbEUlT_E1_NS1_11comp_targetILNS1_3genE2ELNS1_11target_archE906ELNS1_3gpuE6ELNS1_3repE0EEENS1_30default_config_static_selectorELNS0_4arch9wavefront6targetE0EEEvSF_.num_agpr, 0
	.set _ZN7rocprim17ROCPRIM_400000_NS6detail17trampoline_kernelINS0_14default_configENS1_22reduce_config_selectorIlEEZNS1_11reduce_implILb1ES3_PlS7_lN6thrust23THRUST_200600_302600_NS4plusIlEEEE10hipError_tPvRmT1_T2_T3_mT4_P12ihipStream_tbEUlT_E1_NS1_11comp_targetILNS1_3genE2ELNS1_11target_archE906ELNS1_3gpuE6ELNS1_3repE0EEENS1_30default_config_static_selectorELNS0_4arch9wavefront6targetE0EEEvSF_.numbered_sgpr, 0
	.set _ZN7rocprim17ROCPRIM_400000_NS6detail17trampoline_kernelINS0_14default_configENS1_22reduce_config_selectorIlEEZNS1_11reduce_implILb1ES3_PlS7_lN6thrust23THRUST_200600_302600_NS4plusIlEEEE10hipError_tPvRmT1_T2_T3_mT4_P12ihipStream_tbEUlT_E1_NS1_11comp_targetILNS1_3genE2ELNS1_11target_archE906ELNS1_3gpuE6ELNS1_3repE0EEENS1_30default_config_static_selectorELNS0_4arch9wavefront6targetE0EEEvSF_.num_named_barrier, 0
	.set _ZN7rocprim17ROCPRIM_400000_NS6detail17trampoline_kernelINS0_14default_configENS1_22reduce_config_selectorIlEEZNS1_11reduce_implILb1ES3_PlS7_lN6thrust23THRUST_200600_302600_NS4plusIlEEEE10hipError_tPvRmT1_T2_T3_mT4_P12ihipStream_tbEUlT_E1_NS1_11comp_targetILNS1_3genE2ELNS1_11target_archE906ELNS1_3gpuE6ELNS1_3repE0EEENS1_30default_config_static_selectorELNS0_4arch9wavefront6targetE0EEEvSF_.private_seg_size, 0
	.set _ZN7rocprim17ROCPRIM_400000_NS6detail17trampoline_kernelINS0_14default_configENS1_22reduce_config_selectorIlEEZNS1_11reduce_implILb1ES3_PlS7_lN6thrust23THRUST_200600_302600_NS4plusIlEEEE10hipError_tPvRmT1_T2_T3_mT4_P12ihipStream_tbEUlT_E1_NS1_11comp_targetILNS1_3genE2ELNS1_11target_archE906ELNS1_3gpuE6ELNS1_3repE0EEENS1_30default_config_static_selectorELNS0_4arch9wavefront6targetE0EEEvSF_.uses_vcc, 0
	.set _ZN7rocprim17ROCPRIM_400000_NS6detail17trampoline_kernelINS0_14default_configENS1_22reduce_config_selectorIlEEZNS1_11reduce_implILb1ES3_PlS7_lN6thrust23THRUST_200600_302600_NS4plusIlEEEE10hipError_tPvRmT1_T2_T3_mT4_P12ihipStream_tbEUlT_E1_NS1_11comp_targetILNS1_3genE2ELNS1_11target_archE906ELNS1_3gpuE6ELNS1_3repE0EEENS1_30default_config_static_selectorELNS0_4arch9wavefront6targetE0EEEvSF_.uses_flat_scratch, 0
	.set _ZN7rocprim17ROCPRIM_400000_NS6detail17trampoline_kernelINS0_14default_configENS1_22reduce_config_selectorIlEEZNS1_11reduce_implILb1ES3_PlS7_lN6thrust23THRUST_200600_302600_NS4plusIlEEEE10hipError_tPvRmT1_T2_T3_mT4_P12ihipStream_tbEUlT_E1_NS1_11comp_targetILNS1_3genE2ELNS1_11target_archE906ELNS1_3gpuE6ELNS1_3repE0EEENS1_30default_config_static_selectorELNS0_4arch9wavefront6targetE0EEEvSF_.has_dyn_sized_stack, 0
	.set _ZN7rocprim17ROCPRIM_400000_NS6detail17trampoline_kernelINS0_14default_configENS1_22reduce_config_selectorIlEEZNS1_11reduce_implILb1ES3_PlS7_lN6thrust23THRUST_200600_302600_NS4plusIlEEEE10hipError_tPvRmT1_T2_T3_mT4_P12ihipStream_tbEUlT_E1_NS1_11comp_targetILNS1_3genE2ELNS1_11target_archE906ELNS1_3gpuE6ELNS1_3repE0EEENS1_30default_config_static_selectorELNS0_4arch9wavefront6targetE0EEEvSF_.has_recursion, 0
	.set _ZN7rocprim17ROCPRIM_400000_NS6detail17trampoline_kernelINS0_14default_configENS1_22reduce_config_selectorIlEEZNS1_11reduce_implILb1ES3_PlS7_lN6thrust23THRUST_200600_302600_NS4plusIlEEEE10hipError_tPvRmT1_T2_T3_mT4_P12ihipStream_tbEUlT_E1_NS1_11comp_targetILNS1_3genE2ELNS1_11target_archE906ELNS1_3gpuE6ELNS1_3repE0EEENS1_30default_config_static_selectorELNS0_4arch9wavefront6targetE0EEEvSF_.has_indirect_call, 0
	.section	.AMDGPU.csdata,"",@progbits
; Kernel info:
; codeLenInByte = 0
; TotalNumSgprs: 0
; NumVgprs: 0
; ScratchSize: 0
; MemoryBound: 0
; FloatMode: 240
; IeeeMode: 1
; LDSByteSize: 0 bytes/workgroup (compile time only)
; SGPRBlocks: 0
; VGPRBlocks: 0
; NumSGPRsForWavesPerEU: 1
; NumVGPRsForWavesPerEU: 1
; Occupancy: 16
; WaveLimiterHint : 0
; COMPUTE_PGM_RSRC2:SCRATCH_EN: 0
; COMPUTE_PGM_RSRC2:USER_SGPR: 2
; COMPUTE_PGM_RSRC2:TRAP_HANDLER: 0
; COMPUTE_PGM_RSRC2:TGID_X_EN: 1
; COMPUTE_PGM_RSRC2:TGID_Y_EN: 0
; COMPUTE_PGM_RSRC2:TGID_Z_EN: 0
; COMPUTE_PGM_RSRC2:TIDIG_COMP_CNT: 0
	.section	.text._ZN7rocprim17ROCPRIM_400000_NS6detail17trampoline_kernelINS0_14default_configENS1_22reduce_config_selectorIlEEZNS1_11reduce_implILb1ES3_PlS7_lN6thrust23THRUST_200600_302600_NS4plusIlEEEE10hipError_tPvRmT1_T2_T3_mT4_P12ihipStream_tbEUlT_E1_NS1_11comp_targetILNS1_3genE10ELNS1_11target_archE1201ELNS1_3gpuE5ELNS1_3repE0EEENS1_30default_config_static_selectorELNS0_4arch9wavefront6targetE0EEEvSF_,"axG",@progbits,_ZN7rocprim17ROCPRIM_400000_NS6detail17trampoline_kernelINS0_14default_configENS1_22reduce_config_selectorIlEEZNS1_11reduce_implILb1ES3_PlS7_lN6thrust23THRUST_200600_302600_NS4plusIlEEEE10hipError_tPvRmT1_T2_T3_mT4_P12ihipStream_tbEUlT_E1_NS1_11comp_targetILNS1_3genE10ELNS1_11target_archE1201ELNS1_3gpuE5ELNS1_3repE0EEENS1_30default_config_static_selectorELNS0_4arch9wavefront6targetE0EEEvSF_,comdat
	.protected	_ZN7rocprim17ROCPRIM_400000_NS6detail17trampoline_kernelINS0_14default_configENS1_22reduce_config_selectorIlEEZNS1_11reduce_implILb1ES3_PlS7_lN6thrust23THRUST_200600_302600_NS4plusIlEEEE10hipError_tPvRmT1_T2_T3_mT4_P12ihipStream_tbEUlT_E1_NS1_11comp_targetILNS1_3genE10ELNS1_11target_archE1201ELNS1_3gpuE5ELNS1_3repE0EEENS1_30default_config_static_selectorELNS0_4arch9wavefront6targetE0EEEvSF_ ; -- Begin function _ZN7rocprim17ROCPRIM_400000_NS6detail17trampoline_kernelINS0_14default_configENS1_22reduce_config_selectorIlEEZNS1_11reduce_implILb1ES3_PlS7_lN6thrust23THRUST_200600_302600_NS4plusIlEEEE10hipError_tPvRmT1_T2_T3_mT4_P12ihipStream_tbEUlT_E1_NS1_11comp_targetILNS1_3genE10ELNS1_11target_archE1201ELNS1_3gpuE5ELNS1_3repE0EEENS1_30default_config_static_selectorELNS0_4arch9wavefront6targetE0EEEvSF_
	.globl	_ZN7rocprim17ROCPRIM_400000_NS6detail17trampoline_kernelINS0_14default_configENS1_22reduce_config_selectorIlEEZNS1_11reduce_implILb1ES3_PlS7_lN6thrust23THRUST_200600_302600_NS4plusIlEEEE10hipError_tPvRmT1_T2_T3_mT4_P12ihipStream_tbEUlT_E1_NS1_11comp_targetILNS1_3genE10ELNS1_11target_archE1201ELNS1_3gpuE5ELNS1_3repE0EEENS1_30default_config_static_selectorELNS0_4arch9wavefront6targetE0EEEvSF_
	.p2align	8
	.type	_ZN7rocprim17ROCPRIM_400000_NS6detail17trampoline_kernelINS0_14default_configENS1_22reduce_config_selectorIlEEZNS1_11reduce_implILb1ES3_PlS7_lN6thrust23THRUST_200600_302600_NS4plusIlEEEE10hipError_tPvRmT1_T2_T3_mT4_P12ihipStream_tbEUlT_E1_NS1_11comp_targetILNS1_3genE10ELNS1_11target_archE1201ELNS1_3gpuE5ELNS1_3repE0EEENS1_30default_config_static_selectorELNS0_4arch9wavefront6targetE0EEEvSF_,@function
_ZN7rocprim17ROCPRIM_400000_NS6detail17trampoline_kernelINS0_14default_configENS1_22reduce_config_selectorIlEEZNS1_11reduce_implILb1ES3_PlS7_lN6thrust23THRUST_200600_302600_NS4plusIlEEEE10hipError_tPvRmT1_T2_T3_mT4_P12ihipStream_tbEUlT_E1_NS1_11comp_targetILNS1_3genE10ELNS1_11target_archE1201ELNS1_3gpuE5ELNS1_3repE0EEENS1_30default_config_static_selectorELNS0_4arch9wavefront6targetE0EEEvSF_: ; @_ZN7rocprim17ROCPRIM_400000_NS6detail17trampoline_kernelINS0_14default_configENS1_22reduce_config_selectorIlEEZNS1_11reduce_implILb1ES3_PlS7_lN6thrust23THRUST_200600_302600_NS4plusIlEEEE10hipError_tPvRmT1_T2_T3_mT4_P12ihipStream_tbEUlT_E1_NS1_11comp_targetILNS1_3genE10ELNS1_11target_archE1201ELNS1_3gpuE5ELNS1_3repE0EEENS1_30default_config_static_selectorELNS0_4arch9wavefront6targetE0EEEvSF_
; %bb.0:
	s_clause 0x1
	s_load_b32 s26, s[0:1], 0x4
	s_load_b256 s[16:23], s[0:1], 0x8
	s_mov_b32 s14, ttmp9
	s_wait_kmcnt 0x0
	s_cmp_lt_i32 s26, 4
	s_cbranch_scc1 .LBB61_10
; %bb.1:
	s_cmp_gt_i32 s26, 7
	s_cbranch_scc0 .LBB61_11
; %bb.2:
	s_cmp_gt_i32 s26, 15
	s_cbranch_scc0 .LBB61_12
; %bb.3:
	s_mov_b32 s27, 0
	s_cmp_eq_u32 s26, 16
	s_mov_b32 s0, 0
                                        ; implicit-def: $vgpr1_vgpr2
                                        ; implicit-def: $vgpr3_vgpr4
	s_cbranch_scc0 .LBB61_13
; %bb.4:
	s_mov_b32 s15, 0
	s_lshl_b32 s0, s14, 12
	s_mov_b32 s1, s15
	s_lshr_b64 s[2:3], s[18:19], 12
	s_lshl_b64 s[4:5], s[0:1], 3
	s_cmp_lg_u64 s[2:3], s[14:15]
	s_add_nc_u64 s[24:25], s[16:17], s[4:5]
	s_cbranch_scc0 .LBB61_21
; %bb.5:
	v_lshlrev_b32_e32 v31, 3, v0
	s_mov_b32 s1, exec_lo
	s_clause 0xf
	global_load_b64 v[1:2], v31, s[24:25]
	global_load_b64 v[3:4], v31, s[24:25] offset:2048
	global_load_b64 v[5:6], v31, s[24:25] offset:4096
	;; [unrolled: 1-line block ×15, first 2 shown]
	s_wait_loadcnt 0xe
	v_add_co_u32 v1, vcc_lo, v3, v1
	s_delay_alu instid0(VALU_DEP_1) | instskip(SKIP_1) | instid1(VALU_DEP_2)
	v_add_co_ci_u32_e64 v2, null, v4, v2, vcc_lo
	s_wait_loadcnt 0xd
	v_add_co_u32 v1, vcc_lo, v1, v5
	s_wait_alu 0xfffd
	s_delay_alu instid0(VALU_DEP_2) | instskip(SKIP_1) | instid1(VALU_DEP_2)
	v_add_co_ci_u32_e64 v2, null, v2, v6, vcc_lo
	s_wait_loadcnt 0xc
	v_add_co_u32 v1, vcc_lo, v1, v7
	s_wait_alu 0xfffd
	s_delay_alu instid0(VALU_DEP_2) | instskip(SKIP_1) | instid1(VALU_DEP_2)
	v_add_co_ci_u32_e64 v2, null, v2, v8, vcc_lo
	s_wait_loadcnt 0xb
	v_add_co_u32 v1, vcc_lo, v1, v9
	s_wait_alu 0xfffd
	s_delay_alu instid0(VALU_DEP_2) | instskip(SKIP_1) | instid1(VALU_DEP_2)
	v_add_co_ci_u32_e64 v2, null, v2, v10, vcc_lo
	s_wait_loadcnt 0xa
	v_add_co_u32 v1, vcc_lo, v1, v11
	s_wait_alu 0xfffd
	s_delay_alu instid0(VALU_DEP_2) | instskip(SKIP_1) | instid1(VALU_DEP_2)
	v_add_co_ci_u32_e64 v2, null, v2, v12, vcc_lo
	s_wait_loadcnt 0x9
	v_add_co_u32 v1, vcc_lo, v1, v13
	s_wait_alu 0xfffd
	s_delay_alu instid0(VALU_DEP_2) | instskip(SKIP_1) | instid1(VALU_DEP_2)
	v_add_co_ci_u32_e64 v2, null, v2, v14, vcc_lo
	s_wait_loadcnt 0x8
	v_add_co_u32 v1, vcc_lo, v1, v15
	s_wait_alu 0xfffd
	s_delay_alu instid0(VALU_DEP_2) | instskip(SKIP_1) | instid1(VALU_DEP_2)
	v_add_co_ci_u32_e64 v2, null, v2, v16, vcc_lo
	s_wait_loadcnt 0x7
	v_add_co_u32 v1, vcc_lo, v1, v17
	s_wait_alu 0xfffd
	s_delay_alu instid0(VALU_DEP_2) | instskip(SKIP_1) | instid1(VALU_DEP_2)
	v_add_co_ci_u32_e64 v2, null, v2, v18, vcc_lo
	s_wait_loadcnt 0x6
	v_add_co_u32 v1, vcc_lo, v1, v19
	s_wait_alu 0xfffd
	s_delay_alu instid0(VALU_DEP_2) | instskip(SKIP_1) | instid1(VALU_DEP_2)
	v_add_co_ci_u32_e64 v2, null, v2, v20, vcc_lo
	s_wait_loadcnt 0x5
	v_add_co_u32 v1, vcc_lo, v1, v21
	s_wait_alu 0xfffd
	s_delay_alu instid0(VALU_DEP_2) | instskip(SKIP_1) | instid1(VALU_DEP_2)
	v_add_co_ci_u32_e64 v2, null, v2, v22, vcc_lo
	s_wait_loadcnt 0x4
	v_add_co_u32 v1, vcc_lo, v1, v23
	s_wait_alu 0xfffd
	s_delay_alu instid0(VALU_DEP_2) | instskip(SKIP_1) | instid1(VALU_DEP_2)
	v_add_co_ci_u32_e64 v2, null, v2, v24, vcc_lo
	s_wait_loadcnt 0x3
	v_add_co_u32 v1, vcc_lo, v1, v25
	s_wait_alu 0xfffd
	s_delay_alu instid0(VALU_DEP_2) | instskip(SKIP_1) | instid1(VALU_DEP_2)
	v_add_co_ci_u32_e64 v2, null, v2, v26, vcc_lo
	s_wait_loadcnt 0x2
	v_add_co_u32 v1, vcc_lo, v1, v27
	s_wait_alu 0xfffd
	s_delay_alu instid0(VALU_DEP_2) | instskip(SKIP_1) | instid1(VALU_DEP_2)
	v_add_co_ci_u32_e64 v2, null, v2, v28, vcc_lo
	s_wait_loadcnt 0x1
	v_add_co_u32 v1, vcc_lo, v1, v29
	s_wait_alu 0xfffd
	s_delay_alu instid0(VALU_DEP_2) | instskip(SKIP_1) | instid1(VALU_DEP_2)
	v_add_co_ci_u32_e64 v2, null, v2, v30, vcc_lo
	s_wait_loadcnt 0x0
	v_add_co_u32 v1, vcc_lo, v1, v31
	s_wait_alu 0xfffd
	s_delay_alu instid0(VALU_DEP_2) | instskip(NEXT) | instid1(VALU_DEP_2)
	v_add_co_ci_u32_e64 v2, null, v2, v32, vcc_lo
	v_mov_b32_dpp v3, v1 quad_perm:[1,0,3,2] row_mask:0xf bank_mask:0xf
	s_delay_alu instid0(VALU_DEP_1) | instskip(NEXT) | instid1(VALU_DEP_3)
	v_add_co_u32 v1, vcc_lo, v1, v3
	v_mov_b32_dpp v3, v2 quad_perm:[1,0,3,2] row_mask:0xf bank_mask:0xf
	s_wait_alu 0xfffd
	v_add_co_ci_u32_e64 v2, null, 0, v2, vcc_lo
	s_delay_alu instid0(VALU_DEP_3) | instskip(SKIP_2) | instid1(VALU_DEP_3)
	v_mov_b32_dpp v4, v1 quad_perm:[2,3,0,1] row_mask:0xf bank_mask:0xf
	v_add_co_u32 v1, vcc_lo, 0, v1
	s_wait_alu 0xfffd
	v_add_co_ci_u32_e64 v2, null, v3, v2, vcc_lo
	s_delay_alu instid0(VALU_DEP_2) | instskip(NEXT) | instid1(VALU_DEP_2)
	v_add_co_u32 v1, vcc_lo, v1, v4
	v_mov_b32_dpp v3, v2 quad_perm:[2,3,0,1] row_mask:0xf bank_mask:0xf
	s_wait_alu 0xfffd
	v_add_co_ci_u32_e64 v2, null, 0, v2, vcc_lo
	s_delay_alu instid0(VALU_DEP_3) | instskip(SKIP_2) | instid1(VALU_DEP_3)
	v_mov_b32_dpp v4, v1 row_ror:4 row_mask:0xf bank_mask:0xf
	v_add_co_u32 v1, vcc_lo, v1, 0
	s_wait_alu 0xfffd
	v_add_co_ci_u32_e64 v2, null, v2, v3, vcc_lo
	s_delay_alu instid0(VALU_DEP_2) | instskip(NEXT) | instid1(VALU_DEP_2)
	v_add_co_u32 v1, vcc_lo, v1, v4
	v_mov_b32_dpp v3, v2 row_ror:4 row_mask:0xf bank_mask:0xf
	s_wait_alu 0xfffd
	v_add_co_ci_u32_e64 v2, null, 0, v2, vcc_lo
	s_delay_alu instid0(VALU_DEP_3) | instskip(SKIP_2) | instid1(VALU_DEP_3)
	v_mov_b32_dpp v4, v1 row_ror:8 row_mask:0xf bank_mask:0xf
	v_add_co_u32 v1, vcc_lo, v1, 0
	s_wait_alu 0xfffd
	v_add_co_ci_u32_e64 v2, null, v2, v3, vcc_lo
	s_delay_alu instid0(VALU_DEP_2) | instskip(NEXT) | instid1(VALU_DEP_2)
	v_add_co_u32 v1, vcc_lo, v1, v4
	v_mov_b32_dpp v3, v2 row_ror:8 row_mask:0xf bank_mask:0xf
	s_wait_alu 0xfffd
	v_add_co_ci_u32_e64 v2, null, 0, v2, vcc_lo
	ds_swizzle_b32 v4, v1 offset:swizzle(BROADCAST,32,15)
	v_add_co_u32 v1, vcc_lo, v1, 0
	s_wait_alu 0xfffd
	v_add_co_ci_u32_e64 v2, null, v2, v3, vcc_lo
	ds_swizzle_b32 v3, v2 offset:swizzle(BROADCAST,32,15)
	s_wait_dscnt 0x1
	v_add_co_u32 v1, vcc_lo, v1, v4
	s_wait_alu 0xfffd
	v_add_co_ci_u32_e64 v2, null, 0, v2, vcc_lo
	v_mov_b32_e32 v4, 0
	s_wait_dscnt 0x0
	s_delay_alu instid0(VALU_DEP_2)
	v_add_nc_u32_e32 v2, v3, v2
	ds_bpermute_b32 v1, v4, v1 offset:124
	v_mbcnt_lo_u32_b32 v3, -1, 0
	ds_bpermute_b32 v2, v4, v2 offset:124
	v_cmpx_eq_u32_e32 0, v3
	s_cbranch_execz .LBB61_7
; %bb.6:
	v_lshrrev_b32_e32 v4, 2, v0
	s_delay_alu instid0(VALU_DEP_1)
	v_and_b32_e32 v4, 56, v4
	s_wait_dscnt 0x0
	ds_store_b64 v4, v[1:2]
.LBB61_7:
	s_or_b32 exec_lo, exec_lo, s1
	s_delay_alu instid0(SALU_CYCLE_1)
	s_mov_b32 s1, exec_lo
	s_wait_dscnt 0x0
	s_barrier_signal -1
	s_barrier_wait -1
	global_inv scope:SCOPE_SE
	v_cmpx_gt_u32_e32 32, v0
	s_cbranch_execz .LBB61_9
; %bb.8:
	v_and_b32_e32 v4, 7, v3
	s_delay_alu instid0(VALU_DEP_1)
	v_lshlrev_b32_e32 v1, 3, v4
	v_cmp_ne_u32_e32 vcc_lo, 7, v4
	ds_load_b64 v[1:2], v1
	s_wait_alu 0xfffd
	v_add_co_ci_u32_e64 v5, null, 0, v3, vcc_lo
	v_cmp_gt_u32_e32 vcc_lo, 6, v4
	s_delay_alu instid0(VALU_DEP_2) | instskip(SKIP_2) | instid1(VALU_DEP_1)
	v_lshlrev_b32_e32 v5, 2, v5
	s_wait_alu 0xfffd
	v_cndmask_b32_e64 v4, 0, 2, vcc_lo
	v_add_lshl_u32 v4, v4, v3, 2
	v_lshlrev_b32_e32 v3, 2, v3
	s_delay_alu instid0(VALU_DEP_1)
	v_or_b32_e32 v3, 16, v3
	s_wait_dscnt 0x0
	ds_bpermute_b32 v6, v5, v1
	ds_bpermute_b32 v5, v5, v2
	s_wait_dscnt 0x1
	v_add_co_u32 v1, vcc_lo, v1, v6
	s_wait_alu 0xfffd
	v_add_co_ci_u32_e64 v2, null, 0, v2, vcc_lo
	ds_bpermute_b32 v6, v4, v1
	v_add_co_u32 v1, vcc_lo, 0, v1
	s_wait_dscnt 0x1
	s_wait_alu 0xfffd
	v_add_co_ci_u32_e64 v2, null, v5, v2, vcc_lo
	ds_bpermute_b32 v4, v4, v2
	s_wait_dscnt 0x1
	v_add_co_u32 v1, vcc_lo, v1, v6
	s_wait_alu 0xfffd
	v_add_co_ci_u32_e64 v2, null, 0, v2, vcc_lo
	ds_bpermute_b32 v5, v3, v1
	v_add_co_u32 v1, vcc_lo, v1, 0
	s_wait_dscnt 0x1
	s_wait_alu 0xfffd
	v_add_co_ci_u32_e64 v2, null, v2, v4, vcc_lo
	ds_bpermute_b32 v3, v3, v2
	s_wait_dscnt 0x1
	v_add_co_u32 v1, vcc_lo, v1, v5
	s_wait_alu 0xfffd
	v_add_co_ci_u32_e64 v2, null, 0, v2, vcc_lo
	s_delay_alu instid0(VALU_DEP_2) | instskip(SKIP_2) | instid1(VALU_DEP_2)
	v_add_co_u32 v1, vcc_lo, v1, 0
	s_wait_dscnt 0x0
	s_wait_alu 0xfffd
	v_add_co_ci_u32_e64 v2, null, v2, v3, vcc_lo
.LBB61_9:
	s_or_b32 exec_lo, exec_lo, s1
	s_mov_b32 s1, 0
	s_branch .LBB61_22
.LBB61_10:
	s_mov_b32 s0, 0
                                        ; implicit-def: $vgpr1_vgpr2
                                        ; implicit-def: $vgpr3_vgpr4
	s_cbranch_execnz .LBB61_157
	s_branch .LBB61_226
.LBB61_11:
	s_mov_b32 s0, 0
                                        ; implicit-def: $vgpr1_vgpr2
                                        ; implicit-def: $vgpr3_vgpr4
	s_cbranch_execnz .LBB61_118
	s_branch .LBB61_156
.LBB61_12:
	s_mov_b32 s27, -1
	s_mov_b32 s0, 0
                                        ; implicit-def: $vgpr1_vgpr2
                                        ; implicit-def: $vgpr3_vgpr4
.LBB61_13:
	s_and_b32 vcc_lo, exec_lo, s27
	s_cbranch_vccz .LBB61_117
.LBB61_14:
	s_cmp_eq_u32 s26, 8
                                        ; implicit-def: $vgpr1_vgpr2
                                        ; implicit-def: $vgpr3_vgpr4
	s_cbranch_scc0 .LBB61_117
; %bb.15:
	s_mov_b32 s15, 0
	s_lshl_b32 s0, s14, 11
	s_wait_alu 0xfffe
	s_mov_b32 s1, s15
	s_lshr_b64 s[2:3], s[18:19], 11
	s_wait_alu 0xfffe
	s_lshl_b64 s[4:5], s[0:1], 3
	s_cmp_lg_u64 s[2:3], s[14:15]
	s_wait_alu 0xfffe
	s_add_nc_u64 s[6:7], s[16:17], s[4:5]
	s_cbranch_scc0 .LBB61_77
; %bb.16:
	v_lshlrev_b32_e32 v15, 3, v0
	s_mov_b32 s1, exec_lo
	s_clause 0x7
	global_load_b64 v[1:2], v15, s[6:7]
	global_load_b64 v[3:4], v15, s[6:7] offset:2048
	global_load_b64 v[5:6], v15, s[6:7] offset:4096
	;; [unrolled: 1-line block ×7, first 2 shown]
	s_wait_loadcnt 0x6
	v_add_co_u32 v1, vcc_lo, v3, v1
	s_wait_alu 0xfffd
	v_add_co_ci_u32_e64 v2, null, v4, v2, vcc_lo
	s_wait_loadcnt 0x5
	s_delay_alu instid0(VALU_DEP_2) | instskip(SKIP_1) | instid1(VALU_DEP_2)
	v_add_co_u32 v1, vcc_lo, v1, v5
	s_wait_alu 0xfffd
	v_add_co_ci_u32_e64 v2, null, v2, v6, vcc_lo
	s_wait_loadcnt 0x4
	s_delay_alu instid0(VALU_DEP_2) | instskip(SKIP_1) | instid1(VALU_DEP_2)
	;; [unrolled: 5-line block ×6, first 2 shown]
	v_add_co_u32 v1, vcc_lo, v1, v15
	s_wait_alu 0xfffd
	v_add_co_ci_u32_e64 v2, null, v2, v16, vcc_lo
	s_delay_alu instid0(VALU_DEP_2) | instskip(NEXT) | instid1(VALU_DEP_1)
	v_mov_b32_dpp v3, v1 quad_perm:[1,0,3,2] row_mask:0xf bank_mask:0xf
	v_add_co_u32 v1, vcc_lo, v1, v3
	s_delay_alu instid0(VALU_DEP_3) | instskip(SKIP_2) | instid1(VALU_DEP_3)
	v_mov_b32_dpp v3, v2 quad_perm:[1,0,3,2] row_mask:0xf bank_mask:0xf
	s_wait_alu 0xfffd
	v_add_co_ci_u32_e64 v2, null, 0, v2, vcc_lo
	v_mov_b32_dpp v4, v1 quad_perm:[2,3,0,1] row_mask:0xf bank_mask:0xf
	v_add_co_u32 v1, vcc_lo, 0, v1
	s_wait_alu 0xfffd
	s_delay_alu instid0(VALU_DEP_3) | instskip(NEXT) | instid1(VALU_DEP_2)
	v_add_co_ci_u32_e64 v2, null, v3, v2, vcc_lo
	v_add_co_u32 v1, vcc_lo, v1, v4
	s_delay_alu instid0(VALU_DEP_2) | instskip(SKIP_2) | instid1(VALU_DEP_3)
	v_mov_b32_dpp v3, v2 quad_perm:[2,3,0,1] row_mask:0xf bank_mask:0xf
	s_wait_alu 0xfffd
	v_add_co_ci_u32_e64 v2, null, 0, v2, vcc_lo
	v_mov_b32_dpp v4, v1 row_ror:4 row_mask:0xf bank_mask:0xf
	v_add_co_u32 v1, vcc_lo, v1, 0
	s_wait_alu 0xfffd
	s_delay_alu instid0(VALU_DEP_3) | instskip(NEXT) | instid1(VALU_DEP_2)
	v_add_co_ci_u32_e64 v2, null, v2, v3, vcc_lo
	v_add_co_u32 v1, vcc_lo, v1, v4
	s_delay_alu instid0(VALU_DEP_2) | instskip(SKIP_2) | instid1(VALU_DEP_3)
	v_mov_b32_dpp v3, v2 row_ror:4 row_mask:0xf bank_mask:0xf
	s_wait_alu 0xfffd
	v_add_co_ci_u32_e64 v2, null, 0, v2, vcc_lo
	v_mov_b32_dpp v4, v1 row_ror:8 row_mask:0xf bank_mask:0xf
	v_add_co_u32 v1, vcc_lo, v1, 0
	s_wait_alu 0xfffd
	s_delay_alu instid0(VALU_DEP_3) | instskip(NEXT) | instid1(VALU_DEP_2)
	v_add_co_ci_u32_e64 v2, null, v2, v3, vcc_lo
	v_add_co_u32 v1, vcc_lo, v1, v4
	s_delay_alu instid0(VALU_DEP_2)
	v_mov_b32_dpp v3, v2 row_ror:8 row_mask:0xf bank_mask:0xf
	s_wait_alu 0xfffd
	v_add_co_ci_u32_e64 v2, null, 0, v2, vcc_lo
	ds_swizzle_b32 v4, v1 offset:swizzle(BROADCAST,32,15)
	v_add_co_u32 v1, vcc_lo, v1, 0
	s_wait_alu 0xfffd
	v_add_co_ci_u32_e64 v2, null, v2, v3, vcc_lo
	ds_swizzle_b32 v3, v2 offset:swizzle(BROADCAST,32,15)
	s_wait_dscnt 0x1
	v_add_co_u32 v1, vcc_lo, v1, v4
	s_wait_alu 0xfffd
	v_add_co_ci_u32_e64 v2, null, 0, v2, vcc_lo
	v_mov_b32_e32 v4, 0
	s_wait_dscnt 0x0
	s_delay_alu instid0(VALU_DEP_2)
	v_add_nc_u32_e32 v2, v3, v2
	ds_bpermute_b32 v1, v4, v1 offset:124
	v_mbcnt_lo_u32_b32 v3, -1, 0
	ds_bpermute_b32 v2, v4, v2 offset:124
	v_cmpx_eq_u32_e32 0, v3
	s_cbranch_execz .LBB61_18
; %bb.17:
	v_lshrrev_b32_e32 v4, 2, v0
	s_delay_alu instid0(VALU_DEP_1)
	v_and_b32_e32 v4, 56, v4
	s_wait_dscnt 0x0
	ds_store_b64 v4, v[1:2] offset:256
.LBB61_18:
	s_wait_alu 0xfffe
	s_or_b32 exec_lo, exec_lo, s1
	s_delay_alu instid0(SALU_CYCLE_1)
	s_mov_b32 s1, exec_lo
	s_wait_dscnt 0x0
	s_barrier_signal -1
	s_barrier_wait -1
	global_inv scope:SCOPE_SE
	v_cmpx_gt_u32_e32 32, v0
	s_cbranch_execz .LBB61_20
; %bb.19:
	v_and_b32_e32 v4, 7, v3
	s_delay_alu instid0(VALU_DEP_1)
	v_lshlrev_b32_e32 v1, 3, v4
	v_cmp_ne_u32_e32 vcc_lo, 7, v4
	ds_load_b64 v[1:2], v1 offset:256
	s_wait_alu 0xfffd
	v_add_co_ci_u32_e64 v5, null, 0, v3, vcc_lo
	v_cmp_gt_u32_e32 vcc_lo, 6, v4
	s_delay_alu instid0(VALU_DEP_2) | instskip(SKIP_2) | instid1(VALU_DEP_1)
	v_lshlrev_b32_e32 v5, 2, v5
	s_wait_alu 0xfffd
	v_cndmask_b32_e64 v4, 0, 2, vcc_lo
	v_add_lshl_u32 v4, v4, v3, 2
	v_lshlrev_b32_e32 v3, 2, v3
	s_delay_alu instid0(VALU_DEP_1)
	v_or_b32_e32 v3, 16, v3
	s_wait_dscnt 0x0
	ds_bpermute_b32 v6, v5, v1
	ds_bpermute_b32 v5, v5, v2
	s_wait_dscnt 0x1
	v_add_co_u32 v1, vcc_lo, v1, v6
	s_wait_alu 0xfffd
	v_add_co_ci_u32_e64 v2, null, 0, v2, vcc_lo
	ds_bpermute_b32 v6, v4, v1
	v_add_co_u32 v1, vcc_lo, 0, v1
	s_wait_dscnt 0x1
	s_wait_alu 0xfffd
	v_add_co_ci_u32_e64 v2, null, v5, v2, vcc_lo
	ds_bpermute_b32 v4, v4, v2
	s_wait_dscnt 0x1
	v_add_co_u32 v1, vcc_lo, v1, v6
	s_wait_alu 0xfffd
	v_add_co_ci_u32_e64 v2, null, 0, v2, vcc_lo
	ds_bpermute_b32 v5, v3, v1
	v_add_co_u32 v1, vcc_lo, v1, 0
	s_wait_dscnt 0x1
	s_wait_alu 0xfffd
	v_add_co_ci_u32_e64 v2, null, v2, v4, vcc_lo
	ds_bpermute_b32 v3, v3, v2
	s_wait_dscnt 0x1
	v_add_co_u32 v1, vcc_lo, v1, v5
	s_wait_alu 0xfffd
	v_add_co_ci_u32_e64 v2, null, 0, v2, vcc_lo
	s_delay_alu instid0(VALU_DEP_2) | instskip(SKIP_2) | instid1(VALU_DEP_2)
	v_add_co_u32 v1, vcc_lo, v1, 0
	s_wait_dscnt 0x0
	s_wait_alu 0xfffd
	v_add_co_ci_u32_e64 v2, null, v2, v3, vcc_lo
.LBB61_20:
	s_wait_alu 0xfffe
	s_or_b32 exec_lo, exec_lo, s1
	s_mov_b32 s1, 0
	s_branch .LBB61_78
.LBB61_21:
	s_mov_b32 s1, -1
                                        ; implicit-def: $vgpr1_vgpr2
.LBB61_22:
	s_delay_alu instid0(SALU_CYCLE_1)
	s_and_b32 vcc_lo, exec_lo, s1
	s_wait_alu 0xfffe
	s_cbranch_vccz .LBB61_76
; %bb.23:
	v_mov_b32_e32 v1, 0
	s_sub_co_i32 s28, s18, s0
	s_delay_alu instid0(SALU_CYCLE_1) | instskip(NEXT) | instid1(VALU_DEP_2)
	v_cmp_gt_u32_e32 vcc_lo, s28, v0
	v_dual_mov_b32 v2, v1 :: v_dual_mov_b32 v3, v1
	v_dual_mov_b32 v4, v1 :: v_dual_mov_b32 v5, v1
	;; [unrolled: 1-line block ×15, first 2 shown]
	v_mov_b32_e32 v32, v1
	s_and_saveexec_b32 s0, vcc_lo
	s_cbranch_execz .LBB61_25
; %bb.24:
	v_dual_mov_b32 v5, v1 :: v_dual_lshlrev_b32 v2, 3, v0
	v_dual_mov_b32 v30, v1 :: v_dual_mov_b32 v33, v1
	v_dual_mov_b32 v4, v1 :: v_dual_mov_b32 v7, v1
	global_load_b64 v[2:3], v2, s[24:25]
	v_dual_mov_b32 v6, v1 :: v_dual_mov_b32 v9, v1
	v_dual_mov_b32 v8, v1 :: v_dual_mov_b32 v11, v1
	;; [unrolled: 1-line block ×12, first 2 shown]
	v_mov_b32_e32 v32, v1
	s_wait_loadcnt 0x0
	v_mov_b32_e32 v1, v2
	v_mov_b32_e32 v2, v3
	v_mov_b32_e32 v3, v4
	v_mov_b32_e32 v4, v5
	v_mov_b32_e32 v5, v6
	v_mov_b32_e32 v6, v7
	v_mov_b32_e32 v7, v8
	v_mov_b32_e32 v8, v9
	v_mov_b32_e32 v9, v10
	v_mov_b32_e32 v10, v11
	v_mov_b32_e32 v11, v12
	v_mov_b32_e32 v12, v13
	v_mov_b32_e32 v13, v14
	v_mov_b32_e32 v14, v15
	v_mov_b32_e32 v15, v16
	v_mov_b32_e32 v16, v17
	v_mov_b32_e32 v17, v18
	v_mov_b32_e32 v18, v19
	v_mov_b32_e32 v19, v20
	v_mov_b32_e32 v20, v21
	v_mov_b32_e32 v21, v22
	v_mov_b32_e32 v22, v23
	v_mov_b32_e32 v23, v24
	v_mov_b32_e32 v24, v25
	v_mov_b32_e32 v25, v26
	v_mov_b32_e32 v26, v27
	v_mov_b32_e32 v27, v28
	v_mov_b32_e32 v28, v29
	v_mov_b32_e32 v29, v30
	v_mov_b32_e32 v30, v31
	v_mov_b32_e32 v31, v32
	v_mov_b32_e32 v32, v33
.LBB61_25:
	s_or_b32 exec_lo, exec_lo, s0
	v_or_b32_e32 v33, 0x100, v0
	s_delay_alu instid0(VALU_DEP_1)
	v_cmp_gt_u32_e32 vcc_lo, s28, v33
	s_and_saveexec_b32 s0, vcc_lo
	s_cbranch_execz .LBB61_27
; %bb.26:
	v_lshlrev_b32_e32 v3, 3, v0
	global_load_b64 v[3:4], v3, s[24:25] offset:2048
.LBB61_27:
	s_or_b32 exec_lo, exec_lo, s0
	v_or_b32_e32 v33, 0x200, v0
	s_delay_alu instid0(VALU_DEP_1)
	v_cmp_gt_u32_e64 s0, s28, v33
	s_and_saveexec_b32 s1, s0
	s_cbranch_execz .LBB61_29
; %bb.28:
	v_lshlrev_b32_e32 v5, 3, v0
	global_load_b64 v[5:6], v5, s[24:25] offset:4096
.LBB61_29:
	s_or_b32 exec_lo, exec_lo, s1
	v_or_b32_e32 v33, 0x300, v0
	s_delay_alu instid0(VALU_DEP_1)
	v_cmp_gt_u32_e64 s1, s28, v33
	s_and_saveexec_b32 s2, s1
	;; [unrolled: 10-line block ×14, first 2 shown]
	s_cbranch_execz .LBB61_55
; %bb.54:
	v_lshlrev_b32_e32 v31, 3, v0
	global_load_b64 v[31:32], v31, s[24:25] offset:30720
.LBB61_55:
	s_wait_alu 0xfffe
	s_or_b32 exec_lo, exec_lo, s29
	s_wait_loadcnt 0x0
	v_dual_cndmask_b32 v3, 0, v3 :: v_dual_cndmask_b32 v4, 0, v4
	v_cndmask_b32_e64 v5, 0, v5, s0
	v_cndmask_b32_e64 v6, 0, v6, s0
	s_min_u32 s0, s28, 0x100
	s_delay_alu instid0(VALU_DEP_3) | instskip(SKIP_3) | instid1(VALU_DEP_3)
	v_add_co_u32 v1, vcc_lo, v3, v1
	s_wait_alu 0xfffd
	v_add_co_ci_u32_e64 v2, null, v4, v2, vcc_lo
	v_cndmask_b32_e64 v3, 0, v7, s1
	v_add_co_u32 v1, vcc_lo, v1, v5
	s_wait_alu 0xfffd
	s_delay_alu instid0(VALU_DEP_3)
	v_add_co_ci_u32_e64 v2, null, v2, v6, vcc_lo
	v_cndmask_b32_e64 v4, 0, v8, s1
	v_cndmask_b32_e64 v5, 0, v9, s2
	v_add_co_u32 v1, vcc_lo, v1, v3
	v_cndmask_b32_e64 v3, 0, v10, s2
	s_wait_alu 0xfffd
	v_add_co_ci_u32_e64 v2, null, v2, v4, vcc_lo
	v_cndmask_b32_e64 v4, 0, v11, s3
	v_add_co_u32 v1, vcc_lo, v1, v5
	s_wait_alu 0xfffd
	s_delay_alu instid0(VALU_DEP_3)
	v_add_co_ci_u32_e64 v2, null, v2, v3, vcc_lo
	v_cndmask_b32_e64 v3, 0, v12, s3
	v_cndmask_b32_e64 v5, 0, v13, s4
	v_add_co_u32 v1, vcc_lo, v1, v4
	v_cndmask_b32_e64 v4, 0, v15, s5
	s_wait_alu 0xfffd
	v_add_co_ci_u32_e64 v2, null, v2, v3, vcc_lo
	v_cndmask_b32_e64 v3, 0, v14, s4
	v_add_co_u32 v1, vcc_lo, v1, v5
	v_cndmask_b32_e64 v5, 0, v17, s6
	v_cndmask_b32_e64 v6, 0, v31, s13
	s_wait_alu 0xfffd
	v_add_co_ci_u32_e64 v2, null, v2, v3, vcc_lo
	v_cndmask_b32_e64 v3, 0, v16, s5
	v_add_co_u32 v1, vcc_lo, v1, v4
	v_cndmask_b32_e64 v4, 0, v19, s7
	s_wait_alu 0xfffd
	s_delay_alu instid0(VALU_DEP_3) | instskip(SKIP_4) | instid1(VALU_DEP_3)
	v_add_co_ci_u32_e64 v2, null, v2, v3, vcc_lo
	v_cndmask_b32_e64 v3, 0, v18, s6
	v_add_co_u32 v1, vcc_lo, v1, v5
	v_cndmask_b32_e64 v5, 0, v21, s8
	s_wait_alu 0xfffd
	v_add_co_ci_u32_e64 v2, null, v2, v3, vcc_lo
	v_cndmask_b32_e64 v3, 0, v20, s7
	v_add_co_u32 v1, vcc_lo, v1, v4
	v_cndmask_b32_e64 v4, 0, v23, s9
	s_wait_alu 0xfffd
	s_delay_alu instid0(VALU_DEP_3) | instskip(SKIP_4) | instid1(VALU_DEP_3)
	v_add_co_ci_u32_e64 v2, null, v2, v3, vcc_lo
	v_cndmask_b32_e64 v3, 0, v22, s8
	v_add_co_u32 v1, vcc_lo, v1, v5
	;; [unrolled: 11-line block ×3, first 2 shown]
	v_cndmask_b32_e64 v5, 0, v28, s11
	s_wait_alu 0xfffd
	v_add_co_ci_u32_e64 v2, null, v2, v3, vcc_lo
	v_mbcnt_lo_u32_b32 v3, -1, 0
	v_add_co_u32 v1, vcc_lo, v1, v4
	s_wait_alu 0xfffd
	s_delay_alu instid0(VALU_DEP_3)
	v_add_co_ci_u32_e64 v2, null, v2, v5, vcc_lo
	v_cndmask_b32_e64 v5, 0, v29, s12
	v_cmp_ne_u32_e32 vcc_lo, 31, v3
	v_cndmask_b32_e64 v4, 0, v30, s12
	s_wait_alu 0xfffd
	v_add_co_ci_u32_e64 v7, null, 0, v3, vcc_lo
	v_add_co_u32 v1, vcc_lo, v1, v5
	s_wait_alu 0xfffd
	v_add_co_ci_u32_e64 v2, null, v2, v4, vcc_lo
	v_cndmask_b32_e64 v4, 0, v32, s13
	s_delay_alu instid0(VALU_DEP_3)
	v_add_co_u32 v1, vcc_lo, v1, v6
	v_lshlrev_b32_e32 v5, 2, v7
	v_add_nc_u32_e32 v6, 1, v3
	s_wait_alu 0xfffd
	v_add_co_ci_u32_e64 v2, null, v2, v4, vcc_lo
	v_and_b32_e32 v4, 0xe0, v0
	s_wait_alu 0xfffe
	s_delay_alu instid0(VALU_DEP_1) | instskip(NEXT) | instid1(VALU_DEP_1)
	v_sub_nc_u32_e64 v4, s0, v4 clamp
	v_cmp_lt_u32_e32 vcc_lo, v6, v4
	v_mov_b32_e32 v6, v1
	ds_bpermute_b32 v7, v5, v1
	ds_bpermute_b32 v5, v5, v2
	s_and_saveexec_b32 s1, vcc_lo
	s_cbranch_execz .LBB61_57
; %bb.56:
	s_wait_dscnt 0x1
	v_add_co_u32 v6, vcc_lo, v1, v7
	s_wait_alu 0xfffd
	v_add_co_ci_u32_e64 v2, null, 0, v2, vcc_lo
	s_delay_alu instid0(VALU_DEP_2) | instskip(SKIP_2) | instid1(VALU_DEP_2)
	v_add_co_u32 v1, vcc_lo, v6, 0
	s_wait_dscnt 0x0
	s_wait_alu 0xfffd
	v_add_co_ci_u32_e64 v2, null, v2, v5, vcc_lo
.LBB61_57:
	s_wait_alu 0xfffe
	s_or_b32 exec_lo, exec_lo, s1
	v_cmp_gt_u32_e32 vcc_lo, 30, v3
	v_add_nc_u32_e32 v8, 2, v3
	s_mov_b32 s1, exec_lo
	s_wait_dscnt 0x0
	s_wait_alu 0xfffd
	v_cndmask_b32_e64 v5, 0, 2, vcc_lo
	s_delay_alu instid0(VALU_DEP_1)
	v_add_lshl_u32 v5, v5, v3, 2
	ds_bpermute_b32 v7, v5, v6
	ds_bpermute_b32 v5, v5, v2
	v_cmpx_lt_u32_e64 v8, v4
	s_cbranch_execz .LBB61_59
; %bb.58:
	s_wait_dscnt 0x1
	v_add_co_u32 v6, vcc_lo, v1, v7
	s_wait_alu 0xfffd
	v_add_co_ci_u32_e64 v2, null, 0, v2, vcc_lo
	s_delay_alu instid0(VALU_DEP_2) | instskip(SKIP_2) | instid1(VALU_DEP_2)
	v_add_co_u32 v1, vcc_lo, 0, v6
	s_wait_dscnt 0x0
	s_wait_alu 0xfffd
	v_add_co_ci_u32_e64 v2, null, v5, v2, vcc_lo
.LBB61_59:
	s_wait_alu 0xfffe
	s_or_b32 exec_lo, exec_lo, s1
	v_cmp_gt_u32_e32 vcc_lo, 28, v3
	v_add_nc_u32_e32 v8, 4, v3
	s_mov_b32 s1, exec_lo
	s_wait_dscnt 0x0
	s_wait_alu 0xfffd
	v_cndmask_b32_e64 v5, 0, 4, vcc_lo
	s_delay_alu instid0(VALU_DEP_1)
	v_add_lshl_u32 v5, v5, v3, 2
	ds_bpermute_b32 v7, v5, v6
	ds_bpermute_b32 v5, v5, v2
	v_cmpx_lt_u32_e64 v8, v4
	;; [unrolled: 25-line block ×3, first 2 shown]
	s_cbranch_execz .LBB61_63
; %bb.62:
	s_wait_dscnt 0x1
	v_add_co_u32 v6, vcc_lo, v1, v7
	s_wait_alu 0xfffd
	v_add_co_ci_u32_e64 v2, null, 0, v2, vcc_lo
	s_delay_alu instid0(VALU_DEP_2) | instskip(SKIP_2) | instid1(VALU_DEP_2)
	v_add_co_u32 v1, vcc_lo, 0, v6
	s_wait_dscnt 0x0
	s_wait_alu 0xfffd
	v_add_co_ci_u32_e64 v2, null, v5, v2, vcc_lo
.LBB61_63:
	s_wait_alu 0xfffe
	s_or_b32 exec_lo, exec_lo, s1
	s_wait_dscnt 0x0
	v_lshlrev_b32_e32 v5, 2, v3
	s_mov_b32 s1, exec_lo
	s_delay_alu instid0(VALU_DEP_1) | instskip(SKIP_3) | instid1(VALU_DEP_1)
	v_or_b32_e32 v8, 64, v5
	ds_bpermute_b32 v7, v8, v6
	ds_bpermute_b32 v6, v8, v2
	v_add_nc_u32_e32 v8, 16, v3
	v_cmpx_lt_u32_e64 v8, v4
	s_cbranch_execz .LBB61_65
; %bb.64:
	s_wait_dscnt 0x1
	v_add_co_u32 v1, vcc_lo, v1, v7
	s_wait_alu 0xfffd
	v_add_co_ci_u32_e64 v2, null, 0, v2, vcc_lo
	s_delay_alu instid0(VALU_DEP_2) | instskip(SKIP_2) | instid1(VALU_DEP_2)
	v_add_co_u32 v1, vcc_lo, v1, 0
	s_wait_dscnt 0x0
	s_wait_alu 0xfffd
	v_add_co_ci_u32_e64 v2, null, v2, v6, vcc_lo
.LBB61_65:
	s_wait_alu 0xfffe
	s_or_b32 exec_lo, exec_lo, s1
	s_delay_alu instid0(SALU_CYCLE_1)
	s_mov_b32 s1, exec_lo
	v_cmpx_eq_u32_e32 0, v3
; %bb.66:
	v_lshrrev_b32_e32 v4, 2, v0
	s_delay_alu instid0(VALU_DEP_1)
	v_and_b32_e32 v4, 56, v4
	ds_store_b64 v4, v[1:2] offset:320
; %bb.67:
	s_wait_alu 0xfffe
	s_or_b32 exec_lo, exec_lo, s1
	s_delay_alu instid0(SALU_CYCLE_1)
	s_mov_b32 s1, exec_lo
	s_wait_dscnt 0x0
	s_barrier_signal -1
	s_barrier_wait -1
	global_inv scope:SCOPE_SE
	v_cmpx_gt_u32_e32 8, v0
	s_cbranch_execz .LBB61_75
; %bb.68:
	v_lshlrev_b32_e32 v1, 3, v3
	v_and_b32_e32 v4, 7, v3
	s_add_co_i32 s0, s0, 31
	s_wait_alu 0xfffe
	s_lshr_b32 s0, s0, 5
	ds_load_b64 v[1:2], v1 offset:320
	v_cmp_ne_u32_e32 vcc_lo, 7, v4
	s_wait_alu 0xfffd
	v_add_co_ci_u32_e64 v6, null, 0, v3, vcc_lo
	s_delay_alu instid0(VALU_DEP_1)
	v_lshlrev_b32_e32 v6, 2, v6
	s_wait_dscnt 0x0
	ds_bpermute_b32 v8, v6, v1
	ds_bpermute_b32 v7, v6, v2
	v_add_nc_u32_e32 v6, 1, v4
	s_wait_alu 0xfffe
	s_delay_alu instid0(VALU_DEP_1)
	v_cmp_gt_u32_e32 vcc_lo, s0, v6
	v_mov_b32_e32 v6, v1
	s_and_saveexec_b32 s2, vcc_lo
	s_cbranch_execz .LBB61_70
; %bb.69:
	s_wait_dscnt 0x1
	v_add_co_u32 v6, vcc_lo, v1, v8
	s_wait_alu 0xfffd
	v_add_co_ci_u32_e64 v2, null, 0, v2, vcc_lo
	s_delay_alu instid0(VALU_DEP_2) | instskip(SKIP_2) | instid1(VALU_DEP_2)
	v_add_co_u32 v1, vcc_lo, 0, v6
	s_wait_dscnt 0x0
	s_wait_alu 0xfffd
	v_add_co_ci_u32_e64 v2, null, v7, v2, vcc_lo
.LBB61_70:
	s_wait_alu 0xfffe
	s_or_b32 exec_lo, exec_lo, s2
	v_cmp_gt_u32_e32 vcc_lo, 6, v4
	s_wait_dscnt 0x1
	v_add_nc_u32_e32 v8, 2, v4
	s_mov_b32 s2, exec_lo
	s_wait_dscnt 0x0
	s_wait_alu 0xfffd
	v_cndmask_b32_e64 v7, 0, 2, vcc_lo
	s_delay_alu instid0(VALU_DEP_1)
	v_add_lshl_u32 v3, v7, v3, 2
	ds_bpermute_b32 v7, v3, v6
	ds_bpermute_b32 v3, v3, v2
	v_cmpx_gt_u32_e64 s0, v8
	s_cbranch_execz .LBB61_72
; %bb.71:
	s_wait_dscnt 0x1
	v_add_co_u32 v6, vcc_lo, v1, v7
	s_wait_alu 0xfffd
	v_add_co_ci_u32_e64 v2, null, 0, v2, vcc_lo
	s_delay_alu instid0(VALU_DEP_2) | instskip(SKIP_2) | instid1(VALU_DEP_2)
	v_add_co_u32 v1, vcc_lo, 0, v6
	s_wait_dscnt 0x0
	s_wait_alu 0xfffd
	v_add_co_ci_u32_e64 v2, null, v3, v2, vcc_lo
.LBB61_72:
	s_wait_alu 0xfffe
	s_or_b32 exec_lo, exec_lo, s2
	s_wait_dscnt 0x0
	v_or_b32_e32 v3, 16, v5
	v_add_nc_u32_e32 v4, 4, v4
	ds_bpermute_b32 v5, v3, v6
	ds_bpermute_b32 v3, v3, v2
	v_cmp_gt_u32_e32 vcc_lo, s0, v4
	s_and_saveexec_b32 s0, vcc_lo
	s_cbranch_execz .LBB61_74
; %bb.73:
	s_wait_dscnt 0x1
	v_add_co_u32 v1, vcc_lo, v1, v5
	s_wait_alu 0xfffd
	v_add_co_ci_u32_e64 v2, null, 0, v2, vcc_lo
	s_delay_alu instid0(VALU_DEP_2) | instskip(SKIP_2) | instid1(VALU_DEP_2)
	v_add_co_u32 v1, vcc_lo, v1, 0
	s_wait_dscnt 0x0
	s_wait_alu 0xfffd
	v_add_co_ci_u32_e64 v2, null, v2, v3, vcc_lo
.LBB61_74:
	s_wait_alu 0xfffe
	s_or_b32 exec_lo, exec_lo, s0
.LBB61_75:
	s_wait_alu 0xfffe
	s_or_b32 exec_lo, exec_lo, s1
.LBB61_76:
	v_cmp_eq_u32_e64 s0, 0, v0
	s_wait_dscnt 0x0
	v_dual_mov_b32 v3, s14 :: v_dual_mov_b32 v4, s15
	s_and_b32 vcc_lo, exec_lo, s27
	s_wait_alu 0xfffe
	s_cbranch_vccnz .LBB61_14
	s_branch .LBB61_117
.LBB61_77:
	s_mov_b32 s1, -1
                                        ; implicit-def: $vgpr1_vgpr2
.LBB61_78:
	s_wait_alu 0xfffe
	s_and_b32 vcc_lo, exec_lo, s1
	s_wait_alu 0xfffe
	s_cbranch_vccz .LBB61_116
; %bb.79:
	v_mov_b32_e32 v1, 0
	s_sub_co_i32 s8, s18, s0
	s_mov_b32 s0, exec_lo
	s_delay_alu instid0(VALU_DEP_1)
	v_dual_mov_b32 v2, v1 :: v_dual_mov_b32 v3, v1
	v_dual_mov_b32 v4, v1 :: v_dual_mov_b32 v5, v1
	;; [unrolled: 1-line block ×7, first 2 shown]
	v_mov_b32_e32 v16, v1
	s_wait_alu 0xfffe
	v_cmpx_gt_u32_e64 s8, v0
	s_cbranch_execz .LBB61_81
; %bb.80:
	v_dual_mov_b32 v5, v1 :: v_dual_lshlrev_b32 v2, 3, v0
	v_dual_mov_b32 v14, v1 :: v_dual_mov_b32 v17, v1
	v_dual_mov_b32 v4, v1 :: v_dual_mov_b32 v7, v1
	global_load_b64 v[2:3], v2, s[6:7]
	v_dual_mov_b32 v6, v1 :: v_dual_mov_b32 v9, v1
	v_dual_mov_b32 v8, v1 :: v_dual_mov_b32 v11, v1
	;; [unrolled: 1-line block ×4, first 2 shown]
	v_mov_b32_e32 v16, v1
	s_wait_loadcnt 0x0
	v_mov_b32_e32 v1, v2
	v_mov_b32_e32 v2, v3
	v_mov_b32_e32 v3, v4
	v_mov_b32_e32 v4, v5
	v_mov_b32_e32 v5, v6
	v_mov_b32_e32 v6, v7
	v_mov_b32_e32 v7, v8
	v_mov_b32_e32 v8, v9
	v_mov_b32_e32 v9, v10
	v_mov_b32_e32 v10, v11
	v_mov_b32_e32 v11, v12
	v_mov_b32_e32 v12, v13
	v_mov_b32_e32 v13, v14
	v_mov_b32_e32 v14, v15
	v_mov_b32_e32 v15, v16
	v_mov_b32_e32 v16, v17
.LBB61_81:
	s_or_b32 exec_lo, exec_lo, s0
	v_or_b32_e32 v17, 0x100, v0
	s_delay_alu instid0(VALU_DEP_1)
	v_cmp_gt_u32_e32 vcc_lo, s8, v17
	s_and_saveexec_b32 s0, vcc_lo
	s_cbranch_execz .LBB61_83
; %bb.82:
	v_lshlrev_b32_e32 v3, 3, v0
	global_load_b64 v[3:4], v3, s[6:7] offset:2048
.LBB61_83:
	s_wait_alu 0xfffe
	s_or_b32 exec_lo, exec_lo, s0
	v_or_b32_e32 v17, 0x200, v0
	s_delay_alu instid0(VALU_DEP_1)
	v_cmp_gt_u32_e64 s0, s8, v17
	s_and_saveexec_b32 s1, s0
	s_cbranch_execz .LBB61_85
; %bb.84:
	v_lshlrev_b32_e32 v5, 3, v0
	global_load_b64 v[5:6], v5, s[6:7] offset:4096
.LBB61_85:
	s_wait_alu 0xfffe
	s_or_b32 exec_lo, exec_lo, s1
	v_or_b32_e32 v17, 0x300, v0
	s_delay_alu instid0(VALU_DEP_1)
	v_cmp_gt_u32_e64 s1, s8, v17
	s_and_saveexec_b32 s2, s1
	;; [unrolled: 11-line block ×6, first 2 shown]
	s_cbranch_execz .LBB61_95
; %bb.94:
	v_lshlrev_b32_e32 v15, 3, v0
	global_load_b64 v[15:16], v15, s[6:7] offset:14336
.LBB61_95:
	s_wait_alu 0xfffe
	s_or_b32 exec_lo, exec_lo, s9
	s_wait_loadcnt 0x0
	v_dual_cndmask_b32 v3, 0, v3 :: v_dual_cndmask_b32 v4, 0, v4
	v_cndmask_b32_e64 v5, 0, v5, s0
	v_cndmask_b32_e64 v6, 0, v6, s0
	s_min_u32 s0, s8, 0x100
	s_delay_alu instid0(VALU_DEP_3) | instskip(SKIP_3) | instid1(VALU_DEP_3)
	v_add_co_u32 v1, vcc_lo, v3, v1
	s_wait_alu 0xfffd
	v_add_co_ci_u32_e64 v2, null, v4, v2, vcc_lo
	v_cndmask_b32_e64 v3, 0, v7, s1
	v_add_co_u32 v1, vcc_lo, v1, v5
	s_wait_alu 0xfffd
	s_delay_alu instid0(VALU_DEP_3)
	v_add_co_ci_u32_e64 v2, null, v2, v6, vcc_lo
	v_cndmask_b32_e64 v4, 0, v8, s1
	v_cndmask_b32_e64 v5, 0, v9, s2
	v_add_co_u32 v1, vcc_lo, v1, v3
	v_cndmask_b32_e64 v3, 0, v10, s2
	s_wait_alu 0xfffd
	v_add_co_ci_u32_e64 v2, null, v2, v4, vcc_lo
	v_cndmask_b32_e64 v4, 0, v11, s3
	v_add_co_u32 v1, vcc_lo, v1, v5
	s_wait_alu 0xfffd
	s_delay_alu instid0(VALU_DEP_3)
	v_add_co_ci_u32_e64 v2, null, v2, v3, vcc_lo
	v_cndmask_b32_e64 v5, 0, v12, s3
	v_mbcnt_lo_u32_b32 v3, -1, 0
	v_add_co_u32 v1, vcc_lo, v1, v4
	v_cndmask_b32_e64 v4, 0, v14, s4
	s_wait_alu 0xfffd
	v_add_co_ci_u32_e64 v2, null, v2, v5, vcc_lo
	v_cndmask_b32_e64 v5, 0, v13, s4
	v_cmp_ne_u32_e32 vcc_lo, 31, v3
	v_cndmask_b32_e64 v6, 0, v15, s5
	s_wait_alu 0xfffd
	v_add_co_ci_u32_e64 v7, null, 0, v3, vcc_lo
	v_add_co_u32 v1, vcc_lo, v1, v5
	s_wait_alu 0xfffd
	v_add_co_ci_u32_e64 v2, null, v2, v4, vcc_lo
	v_cndmask_b32_e64 v4, 0, v16, s5
	s_delay_alu instid0(VALU_DEP_3)
	v_add_co_u32 v1, vcc_lo, v1, v6
	v_lshlrev_b32_e32 v5, 2, v7
	v_add_nc_u32_e32 v6, 1, v3
	s_wait_alu 0xfffd
	v_add_co_ci_u32_e64 v2, null, v2, v4, vcc_lo
	v_and_b32_e32 v4, 0xe0, v0
	s_wait_alu 0xfffe
	s_delay_alu instid0(VALU_DEP_1) | instskip(NEXT) | instid1(VALU_DEP_1)
	v_sub_nc_u32_e64 v4, s0, v4 clamp
	v_cmp_lt_u32_e32 vcc_lo, v6, v4
	v_mov_b32_e32 v6, v1
	ds_bpermute_b32 v7, v5, v1
	ds_bpermute_b32 v5, v5, v2
	s_and_saveexec_b32 s1, vcc_lo
	s_cbranch_execz .LBB61_97
; %bb.96:
	s_wait_dscnt 0x1
	v_add_co_u32 v6, vcc_lo, v1, v7
	s_wait_alu 0xfffd
	v_add_co_ci_u32_e64 v2, null, 0, v2, vcc_lo
	s_delay_alu instid0(VALU_DEP_2) | instskip(SKIP_2) | instid1(VALU_DEP_2)
	v_add_co_u32 v1, vcc_lo, v6, 0
	s_wait_dscnt 0x0
	s_wait_alu 0xfffd
	v_add_co_ci_u32_e64 v2, null, v2, v5, vcc_lo
.LBB61_97:
	s_wait_alu 0xfffe
	s_or_b32 exec_lo, exec_lo, s1
	v_cmp_gt_u32_e32 vcc_lo, 30, v3
	v_add_nc_u32_e32 v8, 2, v3
	s_mov_b32 s1, exec_lo
	s_wait_dscnt 0x0
	s_wait_alu 0xfffd
	v_cndmask_b32_e64 v5, 0, 2, vcc_lo
	s_delay_alu instid0(VALU_DEP_1)
	v_add_lshl_u32 v5, v5, v3, 2
	ds_bpermute_b32 v7, v5, v6
	ds_bpermute_b32 v5, v5, v2
	v_cmpx_lt_u32_e64 v8, v4
	s_cbranch_execz .LBB61_99
; %bb.98:
	s_wait_dscnt 0x1
	v_add_co_u32 v6, vcc_lo, v1, v7
	s_wait_alu 0xfffd
	v_add_co_ci_u32_e64 v2, null, 0, v2, vcc_lo
	s_delay_alu instid0(VALU_DEP_2) | instskip(SKIP_2) | instid1(VALU_DEP_2)
	v_add_co_u32 v1, vcc_lo, 0, v6
	s_wait_dscnt 0x0
	s_wait_alu 0xfffd
	v_add_co_ci_u32_e64 v2, null, v5, v2, vcc_lo
.LBB61_99:
	s_wait_alu 0xfffe
	s_or_b32 exec_lo, exec_lo, s1
	v_cmp_gt_u32_e32 vcc_lo, 28, v3
	v_add_nc_u32_e32 v8, 4, v3
	s_mov_b32 s1, exec_lo
	s_wait_dscnt 0x0
	s_wait_alu 0xfffd
	v_cndmask_b32_e64 v5, 0, 4, vcc_lo
	s_delay_alu instid0(VALU_DEP_1)
	v_add_lshl_u32 v5, v5, v3, 2
	ds_bpermute_b32 v7, v5, v6
	ds_bpermute_b32 v5, v5, v2
	v_cmpx_lt_u32_e64 v8, v4
	;; [unrolled: 25-line block ×3, first 2 shown]
	s_cbranch_execz .LBB61_103
; %bb.102:
	s_wait_dscnt 0x1
	v_add_co_u32 v6, vcc_lo, v1, v7
	s_wait_alu 0xfffd
	v_add_co_ci_u32_e64 v2, null, 0, v2, vcc_lo
	s_delay_alu instid0(VALU_DEP_2) | instskip(SKIP_2) | instid1(VALU_DEP_2)
	v_add_co_u32 v1, vcc_lo, 0, v6
	s_wait_dscnt 0x0
	s_wait_alu 0xfffd
	v_add_co_ci_u32_e64 v2, null, v5, v2, vcc_lo
.LBB61_103:
	s_wait_alu 0xfffe
	s_or_b32 exec_lo, exec_lo, s1
	s_wait_dscnt 0x0
	v_lshlrev_b32_e32 v5, 2, v3
	s_mov_b32 s1, exec_lo
	s_delay_alu instid0(VALU_DEP_1) | instskip(SKIP_3) | instid1(VALU_DEP_1)
	v_or_b32_e32 v8, 64, v5
	ds_bpermute_b32 v7, v8, v6
	ds_bpermute_b32 v6, v8, v2
	v_add_nc_u32_e32 v8, 16, v3
	v_cmpx_lt_u32_e64 v8, v4
	s_cbranch_execz .LBB61_105
; %bb.104:
	s_wait_dscnt 0x1
	v_add_co_u32 v1, vcc_lo, v1, v7
	s_wait_alu 0xfffd
	v_add_co_ci_u32_e64 v2, null, 0, v2, vcc_lo
	s_delay_alu instid0(VALU_DEP_2) | instskip(SKIP_2) | instid1(VALU_DEP_2)
	v_add_co_u32 v1, vcc_lo, v1, 0
	s_wait_dscnt 0x0
	s_wait_alu 0xfffd
	v_add_co_ci_u32_e64 v2, null, v2, v6, vcc_lo
.LBB61_105:
	s_wait_alu 0xfffe
	s_or_b32 exec_lo, exec_lo, s1
	s_delay_alu instid0(SALU_CYCLE_1)
	s_mov_b32 s1, exec_lo
	v_cmpx_eq_u32_e32 0, v3
; %bb.106:
	v_lshrrev_b32_e32 v4, 2, v0
	s_delay_alu instid0(VALU_DEP_1)
	v_and_b32_e32 v4, 56, v4
	ds_store_b64 v4, v[1:2] offset:320
; %bb.107:
	s_wait_alu 0xfffe
	s_or_b32 exec_lo, exec_lo, s1
	s_delay_alu instid0(SALU_CYCLE_1)
	s_mov_b32 s1, exec_lo
	s_wait_dscnt 0x0
	s_barrier_signal -1
	s_barrier_wait -1
	global_inv scope:SCOPE_SE
	v_cmpx_gt_u32_e32 8, v0
	s_cbranch_execz .LBB61_115
; %bb.108:
	v_lshlrev_b32_e32 v1, 3, v3
	v_and_b32_e32 v4, 7, v3
	s_add_co_i32 s0, s0, 31
	s_wait_alu 0xfffe
	s_lshr_b32 s0, s0, 5
	ds_load_b64 v[1:2], v1 offset:320
	v_cmp_ne_u32_e32 vcc_lo, 7, v4
	s_wait_alu 0xfffd
	v_add_co_ci_u32_e64 v6, null, 0, v3, vcc_lo
	s_delay_alu instid0(VALU_DEP_1)
	v_lshlrev_b32_e32 v6, 2, v6
	s_wait_dscnt 0x0
	ds_bpermute_b32 v8, v6, v1
	ds_bpermute_b32 v7, v6, v2
	v_add_nc_u32_e32 v6, 1, v4
	s_wait_alu 0xfffe
	s_delay_alu instid0(VALU_DEP_1)
	v_cmp_gt_u32_e32 vcc_lo, s0, v6
	v_mov_b32_e32 v6, v1
	s_and_saveexec_b32 s2, vcc_lo
	s_cbranch_execz .LBB61_110
; %bb.109:
	s_wait_dscnt 0x1
	v_add_co_u32 v6, vcc_lo, v1, v8
	s_wait_alu 0xfffd
	v_add_co_ci_u32_e64 v2, null, 0, v2, vcc_lo
	s_delay_alu instid0(VALU_DEP_2) | instskip(SKIP_2) | instid1(VALU_DEP_2)
	v_add_co_u32 v1, vcc_lo, 0, v6
	s_wait_dscnt 0x0
	s_wait_alu 0xfffd
	v_add_co_ci_u32_e64 v2, null, v7, v2, vcc_lo
.LBB61_110:
	s_wait_alu 0xfffe
	s_or_b32 exec_lo, exec_lo, s2
	v_cmp_gt_u32_e32 vcc_lo, 6, v4
	s_wait_dscnt 0x1
	v_add_nc_u32_e32 v8, 2, v4
	s_mov_b32 s2, exec_lo
	s_wait_dscnt 0x0
	s_wait_alu 0xfffd
	v_cndmask_b32_e64 v7, 0, 2, vcc_lo
	s_delay_alu instid0(VALU_DEP_1)
	v_add_lshl_u32 v3, v7, v3, 2
	ds_bpermute_b32 v7, v3, v6
	ds_bpermute_b32 v3, v3, v2
	v_cmpx_gt_u32_e64 s0, v8
	s_cbranch_execz .LBB61_112
; %bb.111:
	s_wait_dscnt 0x1
	v_add_co_u32 v6, vcc_lo, v1, v7
	s_wait_alu 0xfffd
	v_add_co_ci_u32_e64 v2, null, 0, v2, vcc_lo
	s_delay_alu instid0(VALU_DEP_2) | instskip(SKIP_2) | instid1(VALU_DEP_2)
	v_add_co_u32 v1, vcc_lo, 0, v6
	s_wait_dscnt 0x0
	s_wait_alu 0xfffd
	v_add_co_ci_u32_e64 v2, null, v3, v2, vcc_lo
.LBB61_112:
	s_wait_alu 0xfffe
	s_or_b32 exec_lo, exec_lo, s2
	s_wait_dscnt 0x0
	v_or_b32_e32 v3, 16, v5
	v_add_nc_u32_e32 v4, 4, v4
	ds_bpermute_b32 v5, v3, v6
	ds_bpermute_b32 v3, v3, v2
	v_cmp_gt_u32_e32 vcc_lo, s0, v4
	s_and_saveexec_b32 s0, vcc_lo
	s_cbranch_execz .LBB61_114
; %bb.113:
	s_wait_dscnt 0x1
	v_add_co_u32 v1, vcc_lo, v1, v5
	s_wait_alu 0xfffd
	v_add_co_ci_u32_e64 v2, null, 0, v2, vcc_lo
	s_delay_alu instid0(VALU_DEP_2) | instskip(SKIP_2) | instid1(VALU_DEP_2)
	v_add_co_u32 v1, vcc_lo, v1, 0
	s_wait_dscnt 0x0
	s_wait_alu 0xfffd
	v_add_co_ci_u32_e64 v2, null, v2, v3, vcc_lo
.LBB61_114:
	s_wait_alu 0xfffe
	s_or_b32 exec_lo, exec_lo, s0
.LBB61_115:
	s_wait_alu 0xfffe
	s_or_b32 exec_lo, exec_lo, s1
.LBB61_116:
	v_cmp_eq_u32_e64 s0, 0, v0
	s_wait_dscnt 0x0
	v_dual_mov_b32 v3, s14 :: v_dual_mov_b32 v4, s15
.LBB61_117:
	s_branch .LBB61_156
.LBB61_118:
	s_cmp_eq_u32 s26, 4
                                        ; implicit-def: $vgpr1_vgpr2
                                        ; implicit-def: $vgpr3_vgpr4
	s_cbranch_scc0 .LBB61_156
; %bb.119:
	s_mov_b32 s15, 0
	s_lshl_b32 s0, s14, 10
	s_mov_b32 s1, s15
	s_lshr_b64 s[2:3], s[18:19], 10
	s_lshl_b64 s[4:5], s[0:1], 3
	s_cmp_lg_u64 s[2:3], s[14:15]
	s_add_nc_u64 s[2:3], s[16:17], s[4:5]
	s_cbranch_scc0 .LBB61_125
; %bb.120:
	v_lshlrev_b32_e32 v7, 3, v0
	s_mov_b32 s1, exec_lo
	s_clause 0x3
	global_load_b64 v[1:2], v7, s[2:3]
	global_load_b64 v[3:4], v7, s[2:3] offset:2048
	global_load_b64 v[5:6], v7, s[2:3] offset:4096
	;; [unrolled: 1-line block ×3, first 2 shown]
	s_wait_loadcnt 0x2
	v_add_co_u32 v1, vcc_lo, v3, v1
	s_delay_alu instid0(VALU_DEP_1) | instskip(SKIP_1) | instid1(VALU_DEP_2)
	v_add_co_ci_u32_e64 v2, null, v4, v2, vcc_lo
	s_wait_loadcnt 0x1
	v_add_co_u32 v1, vcc_lo, v1, v5
	s_wait_alu 0xfffd
	s_delay_alu instid0(VALU_DEP_2) | instskip(SKIP_1) | instid1(VALU_DEP_2)
	v_add_co_ci_u32_e64 v2, null, v2, v6, vcc_lo
	s_wait_loadcnt 0x0
	v_add_co_u32 v1, vcc_lo, v1, v7
	s_wait_alu 0xfffd
	s_delay_alu instid0(VALU_DEP_2) | instskip(NEXT) | instid1(VALU_DEP_2)
	v_add_co_ci_u32_e64 v2, null, v2, v8, vcc_lo
	v_mov_b32_dpp v3, v1 quad_perm:[1,0,3,2] row_mask:0xf bank_mask:0xf
	s_delay_alu instid0(VALU_DEP_1) | instskip(NEXT) | instid1(VALU_DEP_3)
	v_add_co_u32 v1, vcc_lo, v1, v3
	v_mov_b32_dpp v3, v2 quad_perm:[1,0,3,2] row_mask:0xf bank_mask:0xf
	s_wait_alu 0xfffd
	v_add_co_ci_u32_e64 v2, null, 0, v2, vcc_lo
	s_delay_alu instid0(VALU_DEP_3) | instskip(SKIP_2) | instid1(VALU_DEP_3)
	v_mov_b32_dpp v4, v1 quad_perm:[2,3,0,1] row_mask:0xf bank_mask:0xf
	v_add_co_u32 v1, vcc_lo, 0, v1
	s_wait_alu 0xfffd
	v_add_co_ci_u32_e64 v2, null, v3, v2, vcc_lo
	s_delay_alu instid0(VALU_DEP_2) | instskip(NEXT) | instid1(VALU_DEP_2)
	v_add_co_u32 v1, vcc_lo, v1, v4
	v_mov_b32_dpp v3, v2 quad_perm:[2,3,0,1] row_mask:0xf bank_mask:0xf
	s_wait_alu 0xfffd
	v_add_co_ci_u32_e64 v2, null, 0, v2, vcc_lo
	s_delay_alu instid0(VALU_DEP_3) | instskip(SKIP_2) | instid1(VALU_DEP_3)
	v_mov_b32_dpp v4, v1 row_ror:4 row_mask:0xf bank_mask:0xf
	v_add_co_u32 v1, vcc_lo, v1, 0
	s_wait_alu 0xfffd
	v_add_co_ci_u32_e64 v2, null, v2, v3, vcc_lo
	s_delay_alu instid0(VALU_DEP_2) | instskip(NEXT) | instid1(VALU_DEP_2)
	v_add_co_u32 v1, vcc_lo, v1, v4
	v_mov_b32_dpp v3, v2 row_ror:4 row_mask:0xf bank_mask:0xf
	s_wait_alu 0xfffd
	v_add_co_ci_u32_e64 v2, null, 0, v2, vcc_lo
	s_delay_alu instid0(VALU_DEP_3) | instskip(SKIP_2) | instid1(VALU_DEP_3)
	v_mov_b32_dpp v4, v1 row_ror:8 row_mask:0xf bank_mask:0xf
	v_add_co_u32 v1, vcc_lo, v1, 0
	s_wait_alu 0xfffd
	v_add_co_ci_u32_e64 v2, null, v2, v3, vcc_lo
	s_delay_alu instid0(VALU_DEP_2) | instskip(NEXT) | instid1(VALU_DEP_2)
	v_add_co_u32 v1, vcc_lo, v1, v4
	v_mov_b32_dpp v3, v2 row_ror:8 row_mask:0xf bank_mask:0xf
	s_wait_alu 0xfffd
	v_add_co_ci_u32_e64 v2, null, 0, v2, vcc_lo
	ds_swizzle_b32 v4, v1 offset:swizzle(BROADCAST,32,15)
	v_add_co_u32 v1, vcc_lo, v1, 0
	s_wait_alu 0xfffd
	v_add_co_ci_u32_e64 v2, null, v2, v3, vcc_lo
	ds_swizzle_b32 v3, v2 offset:swizzle(BROADCAST,32,15)
	s_wait_dscnt 0x1
	v_add_co_u32 v1, vcc_lo, v1, v4
	s_wait_alu 0xfffd
	v_add_co_ci_u32_e64 v2, null, 0, v2, vcc_lo
	v_mov_b32_e32 v4, 0
	s_wait_dscnt 0x0
	s_delay_alu instid0(VALU_DEP_2)
	v_add_nc_u32_e32 v2, v3, v2
	ds_bpermute_b32 v1, v4, v1 offset:124
	v_mbcnt_lo_u32_b32 v3, -1, 0
	ds_bpermute_b32 v2, v4, v2 offset:124
	v_cmpx_eq_u32_e32 0, v3
	s_cbranch_execz .LBB61_122
; %bb.121:
	v_lshrrev_b32_e32 v4, 2, v0
	s_delay_alu instid0(VALU_DEP_1)
	v_and_b32_e32 v4, 56, v4
	s_wait_dscnt 0x0
	ds_store_b64 v4, v[1:2] offset:192
.LBB61_122:
	s_or_b32 exec_lo, exec_lo, s1
	s_delay_alu instid0(SALU_CYCLE_1)
	s_mov_b32 s1, exec_lo
	s_wait_dscnt 0x0
	s_barrier_signal -1
	s_barrier_wait -1
	global_inv scope:SCOPE_SE
	v_cmpx_gt_u32_e32 32, v0
	s_cbranch_execz .LBB61_124
; %bb.123:
	v_lshl_or_b32 v1, v3, 3, 0xc0
	v_and_b32_e32 v4, 7, v3
	ds_load_b64 v[1:2], v1
	v_cmp_ne_u32_e32 vcc_lo, 7, v4
	s_wait_alu 0xfffd
	v_add_co_ci_u32_e64 v5, null, 0, v3, vcc_lo
	v_cmp_gt_u32_e32 vcc_lo, 6, v4
	s_delay_alu instid0(VALU_DEP_2) | instskip(SKIP_2) | instid1(VALU_DEP_1)
	v_lshlrev_b32_e32 v5, 2, v5
	s_wait_alu 0xfffd
	v_cndmask_b32_e64 v4, 0, 2, vcc_lo
	v_add_lshl_u32 v4, v4, v3, 2
	v_lshlrev_b32_e32 v3, 2, v3
	s_wait_dscnt 0x0
	ds_bpermute_b32 v6, v5, v1
	ds_bpermute_b32 v5, v5, v2
	v_or_b32_e32 v3, 16, v3
	s_wait_dscnt 0x1
	v_add_co_u32 v1, vcc_lo, v1, v6
	s_wait_alu 0xfffd
	v_add_co_ci_u32_e64 v2, null, 0, v2, vcc_lo
	ds_bpermute_b32 v6, v4, v1
	v_add_co_u32 v1, vcc_lo, 0, v1
	s_wait_dscnt 0x1
	s_wait_alu 0xfffd
	v_add_co_ci_u32_e64 v2, null, v5, v2, vcc_lo
	ds_bpermute_b32 v4, v4, v2
	s_wait_dscnt 0x1
	v_add_co_u32 v1, vcc_lo, v1, v6
	s_wait_alu 0xfffd
	v_add_co_ci_u32_e64 v2, null, 0, v2, vcc_lo
	ds_bpermute_b32 v5, v3, v1
	v_add_co_u32 v1, vcc_lo, v1, 0
	s_wait_dscnt 0x1
	s_wait_alu 0xfffd
	v_add_co_ci_u32_e64 v2, null, v2, v4, vcc_lo
	ds_bpermute_b32 v3, v3, v2
	s_wait_dscnt 0x1
	v_add_co_u32 v1, vcc_lo, v1, v5
	s_wait_alu 0xfffd
	v_add_co_ci_u32_e64 v2, null, 0, v2, vcc_lo
	s_delay_alu instid0(VALU_DEP_2) | instskip(SKIP_2) | instid1(VALU_DEP_2)
	v_add_co_u32 v1, vcc_lo, v1, 0
	s_wait_dscnt 0x0
	s_wait_alu 0xfffd
	v_add_co_ci_u32_e64 v2, null, v2, v3, vcc_lo
.LBB61_124:
	s_or_b32 exec_lo, exec_lo, s1
	s_branch .LBB61_155
.LBB61_125:
                                        ; implicit-def: $vgpr1_vgpr2
	s_cbranch_execz .LBB61_155
; %bb.126:
	v_mov_b32_e32 v1, 0
	s_sub_co_i32 s4, s18, s0
	s_mov_b32 s0, exec_lo
	s_delay_alu instid0(VALU_DEP_1)
	v_dual_mov_b32 v2, v1 :: v_dual_mov_b32 v3, v1
	v_dual_mov_b32 v4, v1 :: v_dual_mov_b32 v5, v1
	;; [unrolled: 1-line block ×3, first 2 shown]
	v_mov_b32_e32 v8, v1
	v_cmpx_gt_u32_e64 s4, v0
	s_cbranch_execz .LBB61_128
; %bb.127:
	v_dual_mov_b32 v5, v1 :: v_dual_lshlrev_b32 v2, 3, v0
	v_dual_mov_b32 v6, v1 :: v_dual_mov_b32 v9, v1
	v_dual_mov_b32 v4, v1 :: v_dual_mov_b32 v7, v1
	global_load_b64 v[2:3], v2, s[2:3]
	v_mov_b32_e32 v8, v1
	s_wait_loadcnt 0x0
	v_mov_b32_e32 v1, v2
	v_mov_b32_e32 v2, v3
	;; [unrolled: 1-line block ×8, first 2 shown]
.LBB61_128:
	s_or_b32 exec_lo, exec_lo, s0
	v_or_b32_e32 v9, 0x100, v0
	s_delay_alu instid0(VALU_DEP_1)
	v_cmp_gt_u32_e32 vcc_lo, s4, v9
	s_and_saveexec_b32 s0, vcc_lo
	s_cbranch_execz .LBB61_130
; %bb.129:
	v_lshlrev_b32_e32 v3, 3, v0
	global_load_b64 v[3:4], v3, s[2:3] offset:2048
.LBB61_130:
	s_or_b32 exec_lo, exec_lo, s0
	v_or_b32_e32 v9, 0x200, v0
	s_delay_alu instid0(VALU_DEP_1)
	v_cmp_gt_u32_e64 s0, s4, v9
	s_and_saveexec_b32 s1, s0
	s_cbranch_execz .LBB61_132
; %bb.131:
	v_lshlrev_b32_e32 v5, 3, v0
	global_load_b64 v[5:6], v5, s[2:3] offset:4096
.LBB61_132:
	s_or_b32 exec_lo, exec_lo, s1
	v_or_b32_e32 v9, 0x300, v0
	s_delay_alu instid0(VALU_DEP_1)
	v_cmp_gt_u32_e64 s1, s4, v9
	s_and_saveexec_b32 s5, s1
	s_cbranch_execz .LBB61_134
; %bb.133:
	v_lshlrev_b32_e32 v7, 3, v0
	global_load_b64 v[7:8], v7, s[2:3] offset:6144
.LBB61_134:
	s_wait_alu 0xfffe
	s_or_b32 exec_lo, exec_lo, s5
	s_wait_loadcnt 0x0
	v_dual_cndmask_b32 v9, 0, v3 :: v_dual_cndmask_b32 v4, 0, v4
	v_mbcnt_lo_u32_b32 v3, -1, 0
	v_cndmask_b32_e64 v5, 0, v5, s0
	s_delay_alu instid0(VALU_DEP_3)
	v_add_co_u32 v1, vcc_lo, v9, v1
	s_wait_alu 0xfffd
	v_add_co_ci_u32_e64 v2, null, v4, v2, vcc_lo
	v_cmp_ne_u32_e32 vcc_lo, 31, v3
	v_cndmask_b32_e64 v4, 0, v6, s0
	v_cndmask_b32_e64 v6, 0, v7, s1
	s_min_u32 s0, s4, 0x100
	s_wait_alu 0xfffd
	v_add_co_ci_u32_e64 v7, null, 0, v3, vcc_lo
	v_add_co_u32 v1, vcc_lo, v1, v5
	s_wait_alu 0xfffd
	v_add_co_ci_u32_e64 v2, null, v2, v4, vcc_lo
	v_cndmask_b32_e64 v4, 0, v8, s1
	s_delay_alu instid0(VALU_DEP_3)
	v_add_co_u32 v1, vcc_lo, v1, v6
	v_lshlrev_b32_e32 v5, 2, v7
	v_add_nc_u32_e32 v6, 1, v3
	s_wait_alu 0xfffd
	v_add_co_ci_u32_e64 v2, null, v2, v4, vcc_lo
	v_and_b32_e32 v4, 0xe0, v0
	s_wait_alu 0xfffe
	s_delay_alu instid0(VALU_DEP_1) | instskip(NEXT) | instid1(VALU_DEP_1)
	v_sub_nc_u32_e64 v4, s0, v4 clamp
	v_cmp_lt_u32_e32 vcc_lo, v6, v4
	v_mov_b32_e32 v6, v1
	ds_bpermute_b32 v7, v5, v1
	ds_bpermute_b32 v5, v5, v2
	s_and_saveexec_b32 s1, vcc_lo
	s_cbranch_execz .LBB61_136
; %bb.135:
	s_wait_dscnt 0x1
	v_add_co_u32 v6, vcc_lo, v1, v7
	s_wait_alu 0xfffd
	v_add_co_ci_u32_e64 v2, null, 0, v2, vcc_lo
	s_delay_alu instid0(VALU_DEP_2) | instskip(SKIP_2) | instid1(VALU_DEP_2)
	v_add_co_u32 v1, vcc_lo, v6, 0
	s_wait_dscnt 0x0
	s_wait_alu 0xfffd
	v_add_co_ci_u32_e64 v2, null, v2, v5, vcc_lo
.LBB61_136:
	s_wait_alu 0xfffe
	s_or_b32 exec_lo, exec_lo, s1
	v_cmp_gt_u32_e32 vcc_lo, 30, v3
	v_add_nc_u32_e32 v8, 2, v3
	s_mov_b32 s1, exec_lo
	s_wait_dscnt 0x0
	s_wait_alu 0xfffd
	v_cndmask_b32_e64 v5, 0, 2, vcc_lo
	s_delay_alu instid0(VALU_DEP_1)
	v_add_lshl_u32 v5, v5, v3, 2
	ds_bpermute_b32 v7, v5, v6
	ds_bpermute_b32 v5, v5, v2
	v_cmpx_lt_u32_e64 v8, v4
	s_cbranch_execz .LBB61_138
; %bb.137:
	s_wait_dscnt 0x1
	v_add_co_u32 v6, vcc_lo, v1, v7
	s_wait_alu 0xfffd
	v_add_co_ci_u32_e64 v2, null, 0, v2, vcc_lo
	s_delay_alu instid0(VALU_DEP_2) | instskip(SKIP_2) | instid1(VALU_DEP_2)
	v_add_co_u32 v1, vcc_lo, 0, v6
	s_wait_dscnt 0x0
	s_wait_alu 0xfffd
	v_add_co_ci_u32_e64 v2, null, v5, v2, vcc_lo
.LBB61_138:
	s_wait_alu 0xfffe
	s_or_b32 exec_lo, exec_lo, s1
	v_cmp_gt_u32_e32 vcc_lo, 28, v3
	v_add_nc_u32_e32 v8, 4, v3
	s_mov_b32 s1, exec_lo
	s_wait_dscnt 0x0
	s_wait_alu 0xfffd
	v_cndmask_b32_e64 v5, 0, 4, vcc_lo
	s_delay_alu instid0(VALU_DEP_1)
	v_add_lshl_u32 v5, v5, v3, 2
	ds_bpermute_b32 v7, v5, v6
	ds_bpermute_b32 v5, v5, v2
	v_cmpx_lt_u32_e64 v8, v4
	s_cbranch_execz .LBB61_140
; %bb.139:
	s_wait_dscnt 0x1
	v_add_co_u32 v6, vcc_lo, v1, v7
	s_wait_alu 0xfffd
	v_add_co_ci_u32_e64 v2, null, 0, v2, vcc_lo
	s_delay_alu instid0(VALU_DEP_2) | instskip(SKIP_2) | instid1(VALU_DEP_2)
	v_add_co_u32 v1, vcc_lo, 0, v6
	s_wait_dscnt 0x0
	s_wait_alu 0xfffd
	v_add_co_ci_u32_e64 v2, null, v5, v2, vcc_lo
.LBB61_140:
	s_wait_alu 0xfffe
	s_or_b32 exec_lo, exec_lo, s1
	v_cmp_gt_u32_e32 vcc_lo, 24, v3
	v_add_nc_u32_e32 v8, 8, v3
	s_mov_b32 s1, exec_lo
	s_wait_dscnt 0x0
	s_wait_alu 0xfffd
	v_cndmask_b32_e64 v5, 0, 8, vcc_lo
	s_delay_alu instid0(VALU_DEP_1)
	v_add_lshl_u32 v5, v5, v3, 2
	ds_bpermute_b32 v7, v5, v6
	ds_bpermute_b32 v5, v5, v2
	v_cmpx_lt_u32_e64 v8, v4
	s_cbranch_execz .LBB61_142
; %bb.141:
	s_wait_dscnt 0x1
	v_add_co_u32 v6, vcc_lo, v1, v7
	s_wait_alu 0xfffd
	v_add_co_ci_u32_e64 v2, null, 0, v2, vcc_lo
	s_delay_alu instid0(VALU_DEP_2) | instskip(SKIP_2) | instid1(VALU_DEP_2)
	v_add_co_u32 v1, vcc_lo, 0, v6
	s_wait_dscnt 0x0
	s_wait_alu 0xfffd
	v_add_co_ci_u32_e64 v2, null, v5, v2, vcc_lo
.LBB61_142:
	s_wait_alu 0xfffe
	s_or_b32 exec_lo, exec_lo, s1
	s_wait_dscnt 0x0
	v_lshlrev_b32_e32 v5, 2, v3
	s_mov_b32 s1, exec_lo
	s_delay_alu instid0(VALU_DEP_1) | instskip(SKIP_3) | instid1(VALU_DEP_1)
	v_or_b32_e32 v8, 64, v5
	ds_bpermute_b32 v7, v8, v6
	ds_bpermute_b32 v6, v8, v2
	v_add_nc_u32_e32 v8, 16, v3
	v_cmpx_lt_u32_e64 v8, v4
	s_cbranch_execz .LBB61_144
; %bb.143:
	s_wait_dscnt 0x1
	v_add_co_u32 v1, vcc_lo, v1, v7
	s_wait_alu 0xfffd
	v_add_co_ci_u32_e64 v2, null, 0, v2, vcc_lo
	s_delay_alu instid0(VALU_DEP_2) | instskip(SKIP_2) | instid1(VALU_DEP_2)
	v_add_co_u32 v1, vcc_lo, v1, 0
	s_wait_dscnt 0x0
	s_wait_alu 0xfffd
	v_add_co_ci_u32_e64 v2, null, v2, v6, vcc_lo
.LBB61_144:
	s_wait_alu 0xfffe
	s_or_b32 exec_lo, exec_lo, s1
	s_delay_alu instid0(SALU_CYCLE_1)
	s_mov_b32 s1, exec_lo
	v_cmpx_eq_u32_e32 0, v3
; %bb.145:
	v_lshrrev_b32_e32 v4, 2, v0
	s_delay_alu instid0(VALU_DEP_1)
	v_and_b32_e32 v4, 56, v4
	ds_store_b64 v4, v[1:2] offset:320
; %bb.146:
	s_wait_alu 0xfffe
	s_or_b32 exec_lo, exec_lo, s1
	s_delay_alu instid0(SALU_CYCLE_1)
	s_mov_b32 s1, exec_lo
	s_wait_dscnt 0x0
	s_barrier_signal -1
	s_barrier_wait -1
	global_inv scope:SCOPE_SE
	v_cmpx_gt_u32_e32 8, v0
	s_cbranch_execz .LBB61_154
; %bb.147:
	v_lshlrev_b32_e32 v1, 3, v3
	v_and_b32_e32 v4, 7, v3
	s_add_co_i32 s0, s0, 31
	s_wait_alu 0xfffe
	s_lshr_b32 s0, s0, 5
	ds_load_b64 v[1:2], v1 offset:320
	v_cmp_ne_u32_e32 vcc_lo, 7, v4
	s_wait_alu 0xfffd
	v_add_co_ci_u32_e64 v6, null, 0, v3, vcc_lo
	s_delay_alu instid0(VALU_DEP_1)
	v_lshlrev_b32_e32 v6, 2, v6
	s_wait_dscnt 0x0
	ds_bpermute_b32 v8, v6, v1
	ds_bpermute_b32 v7, v6, v2
	v_add_nc_u32_e32 v6, 1, v4
	s_wait_alu 0xfffe
	s_delay_alu instid0(VALU_DEP_1)
	v_cmp_gt_u32_e32 vcc_lo, s0, v6
	v_mov_b32_e32 v6, v1
	s_and_saveexec_b32 s2, vcc_lo
	s_cbranch_execz .LBB61_149
; %bb.148:
	s_wait_dscnt 0x1
	v_add_co_u32 v6, vcc_lo, v1, v8
	s_wait_alu 0xfffd
	v_add_co_ci_u32_e64 v2, null, 0, v2, vcc_lo
	s_delay_alu instid0(VALU_DEP_2) | instskip(SKIP_2) | instid1(VALU_DEP_2)
	v_add_co_u32 v1, vcc_lo, 0, v6
	s_wait_dscnt 0x0
	s_wait_alu 0xfffd
	v_add_co_ci_u32_e64 v2, null, v7, v2, vcc_lo
.LBB61_149:
	s_or_b32 exec_lo, exec_lo, s2
	v_cmp_gt_u32_e32 vcc_lo, 6, v4
	s_wait_dscnt 0x1
	v_add_nc_u32_e32 v8, 2, v4
	s_mov_b32 s2, exec_lo
	s_wait_dscnt 0x0
	s_wait_alu 0xfffd
	v_cndmask_b32_e64 v7, 0, 2, vcc_lo
	s_delay_alu instid0(VALU_DEP_1)
	v_add_lshl_u32 v3, v7, v3, 2
	ds_bpermute_b32 v7, v3, v6
	ds_bpermute_b32 v3, v3, v2
	v_cmpx_gt_u32_e64 s0, v8
	s_cbranch_execz .LBB61_151
; %bb.150:
	s_wait_dscnt 0x1
	v_add_co_u32 v6, vcc_lo, v1, v7
	s_wait_alu 0xfffd
	v_add_co_ci_u32_e64 v2, null, 0, v2, vcc_lo
	s_delay_alu instid0(VALU_DEP_2) | instskip(SKIP_2) | instid1(VALU_DEP_2)
	v_add_co_u32 v1, vcc_lo, 0, v6
	s_wait_dscnt 0x0
	s_wait_alu 0xfffd
	v_add_co_ci_u32_e64 v2, null, v3, v2, vcc_lo
.LBB61_151:
	s_or_b32 exec_lo, exec_lo, s2
	s_wait_dscnt 0x0
	v_or_b32_e32 v3, 16, v5
	v_add_nc_u32_e32 v4, 4, v4
	ds_bpermute_b32 v5, v3, v6
	ds_bpermute_b32 v3, v3, v2
	v_cmp_gt_u32_e32 vcc_lo, s0, v4
	s_and_saveexec_b32 s0, vcc_lo
	s_cbranch_execz .LBB61_153
; %bb.152:
	s_wait_dscnt 0x1
	v_add_co_u32 v1, vcc_lo, v1, v5
	s_wait_alu 0xfffd
	v_add_co_ci_u32_e64 v2, null, 0, v2, vcc_lo
	s_delay_alu instid0(VALU_DEP_2) | instskip(SKIP_2) | instid1(VALU_DEP_2)
	v_add_co_u32 v1, vcc_lo, v1, 0
	s_wait_dscnt 0x0
	s_wait_alu 0xfffd
	v_add_co_ci_u32_e64 v2, null, v2, v3, vcc_lo
.LBB61_153:
	s_wait_alu 0xfffe
	s_or_b32 exec_lo, exec_lo, s0
.LBB61_154:
	s_wait_alu 0xfffe
	s_or_b32 exec_lo, exec_lo, s1
.LBB61_155:
	v_cmp_eq_u32_e64 s0, 0, v0
	s_wait_dscnt 0x0
	v_dual_mov_b32 v3, s14 :: v_dual_mov_b32 v4, s15
.LBB61_156:
	s_branch .LBB61_226
.LBB61_157:
	s_cmp_gt_i32 s26, 1
	s_cbranch_scc0 .LBB61_165
; %bb.158:
	s_cmp_eq_u32 s26, 2
                                        ; implicit-def: $vgpr1_vgpr2
                                        ; implicit-def: $vgpr3_vgpr4
	s_cbranch_scc0 .LBB61_166
; %bb.159:
	s_mov_b32 s15, 0
	s_lshl_b32 s2, s14, 9
	s_mov_b32 s3, s15
	s_lshr_b64 s[0:1], s[18:19], 9
	s_lshl_b64 s[4:5], s[2:3], 3
	s_cmp_lg_u64 s[0:1], s[14:15]
	s_add_nc_u64 s[0:1], s[16:17], s[4:5]
	s_cbranch_scc0 .LBB61_167
; %bb.160:
	v_lshlrev_b32_e32 v3, 3, v0
	s_mov_b32 s3, exec_lo
	s_clause 0x1
	global_load_b64 v[1:2], v3, s[0:1]
	global_load_b64 v[3:4], v3, s[0:1] offset:2048
	s_wait_loadcnt 0x0
	v_add_co_u32 v1, vcc_lo, v3, v1
	s_delay_alu instid0(VALU_DEP_1) | instskip(NEXT) | instid1(VALU_DEP_2)
	v_add_co_ci_u32_e64 v2, null, v4, v2, vcc_lo
	v_mov_b32_dpp v3, v1 quad_perm:[1,0,3,2] row_mask:0xf bank_mask:0xf
	s_delay_alu instid0(VALU_DEP_1) | instskip(NEXT) | instid1(VALU_DEP_3)
	v_add_co_u32 v1, vcc_lo, v1, v3
	v_mov_b32_dpp v3, v2 quad_perm:[1,0,3,2] row_mask:0xf bank_mask:0xf
	s_wait_alu 0xfffd
	v_add_co_ci_u32_e64 v2, null, 0, v2, vcc_lo
	s_delay_alu instid0(VALU_DEP_3) | instskip(SKIP_2) | instid1(VALU_DEP_3)
	v_mov_b32_dpp v4, v1 quad_perm:[2,3,0,1] row_mask:0xf bank_mask:0xf
	v_add_co_u32 v1, vcc_lo, 0, v1
	s_wait_alu 0xfffd
	v_add_co_ci_u32_e64 v2, null, v3, v2, vcc_lo
	s_delay_alu instid0(VALU_DEP_2) | instskip(NEXT) | instid1(VALU_DEP_2)
	v_add_co_u32 v1, vcc_lo, v1, v4
	v_mov_b32_dpp v3, v2 quad_perm:[2,3,0,1] row_mask:0xf bank_mask:0xf
	s_wait_alu 0xfffd
	v_add_co_ci_u32_e64 v2, null, 0, v2, vcc_lo
	s_delay_alu instid0(VALU_DEP_3) | instskip(SKIP_2) | instid1(VALU_DEP_3)
	v_mov_b32_dpp v4, v1 row_ror:4 row_mask:0xf bank_mask:0xf
	v_add_co_u32 v1, vcc_lo, v1, 0
	s_wait_alu 0xfffd
	v_add_co_ci_u32_e64 v2, null, v2, v3, vcc_lo
	s_delay_alu instid0(VALU_DEP_2) | instskip(NEXT) | instid1(VALU_DEP_2)
	v_add_co_u32 v1, vcc_lo, v1, v4
	v_mov_b32_dpp v3, v2 row_ror:4 row_mask:0xf bank_mask:0xf
	s_wait_alu 0xfffd
	v_add_co_ci_u32_e64 v2, null, 0, v2, vcc_lo
	s_delay_alu instid0(VALU_DEP_3) | instskip(SKIP_2) | instid1(VALU_DEP_3)
	v_mov_b32_dpp v4, v1 row_ror:8 row_mask:0xf bank_mask:0xf
	v_add_co_u32 v1, vcc_lo, v1, 0
	s_wait_alu 0xfffd
	v_add_co_ci_u32_e64 v2, null, v2, v3, vcc_lo
	s_delay_alu instid0(VALU_DEP_2) | instskip(NEXT) | instid1(VALU_DEP_2)
	v_add_co_u32 v1, vcc_lo, v1, v4
	v_mov_b32_dpp v3, v2 row_ror:8 row_mask:0xf bank_mask:0xf
	s_wait_alu 0xfffd
	v_add_co_ci_u32_e64 v2, null, 0, v2, vcc_lo
	ds_swizzle_b32 v4, v1 offset:swizzle(BROADCAST,32,15)
	v_add_co_u32 v1, vcc_lo, v1, 0
	s_wait_alu 0xfffd
	v_add_co_ci_u32_e64 v2, null, v2, v3, vcc_lo
	ds_swizzle_b32 v3, v2 offset:swizzle(BROADCAST,32,15)
	s_wait_dscnt 0x1
	v_add_co_u32 v1, vcc_lo, v1, v4
	s_wait_alu 0xfffd
	v_add_co_ci_u32_e64 v2, null, 0, v2, vcc_lo
	v_mov_b32_e32 v4, 0
	s_wait_dscnt 0x0
	s_delay_alu instid0(VALU_DEP_2)
	v_add_nc_u32_e32 v2, v3, v2
	ds_bpermute_b32 v1, v4, v1 offset:124
	v_mbcnt_lo_u32_b32 v3, -1, 0
	ds_bpermute_b32 v2, v4, v2 offset:124
	v_cmpx_eq_u32_e32 0, v3
	s_cbranch_execz .LBB61_162
; %bb.161:
	v_lshrrev_b32_e32 v4, 2, v0
	s_delay_alu instid0(VALU_DEP_1)
	v_and_b32_e32 v4, 56, v4
	s_wait_dscnt 0x0
	ds_store_b64 v4, v[1:2] offset:128
.LBB61_162:
	s_or_b32 exec_lo, exec_lo, s3
	s_delay_alu instid0(SALU_CYCLE_1)
	s_mov_b32 s3, exec_lo
	s_wait_dscnt 0x0
	s_barrier_signal -1
	s_barrier_wait -1
	global_inv scope:SCOPE_SE
	v_cmpx_gt_u32_e32 32, v0
	s_cbranch_execz .LBB61_164
; %bb.163:
	v_and_b32_e32 v4, 7, v3
	s_delay_alu instid0(VALU_DEP_1)
	v_lshlrev_b32_e32 v1, 3, v4
	v_cmp_ne_u32_e32 vcc_lo, 7, v4
	ds_load_b64 v[1:2], v1 offset:128
	s_wait_alu 0xfffd
	v_add_co_ci_u32_e64 v5, null, 0, v3, vcc_lo
	v_cmp_gt_u32_e32 vcc_lo, 6, v4
	s_delay_alu instid0(VALU_DEP_2) | instskip(SKIP_2) | instid1(VALU_DEP_1)
	v_lshlrev_b32_e32 v5, 2, v5
	s_wait_alu 0xfffd
	v_cndmask_b32_e64 v4, 0, 2, vcc_lo
	v_add_lshl_u32 v4, v4, v3, 2
	v_lshlrev_b32_e32 v3, 2, v3
	s_delay_alu instid0(VALU_DEP_1)
	v_or_b32_e32 v3, 16, v3
	s_wait_dscnt 0x0
	ds_bpermute_b32 v6, v5, v1
	ds_bpermute_b32 v5, v5, v2
	s_wait_dscnt 0x1
	v_add_co_u32 v1, vcc_lo, v1, v6
	s_wait_alu 0xfffd
	v_add_co_ci_u32_e64 v2, null, 0, v2, vcc_lo
	ds_bpermute_b32 v6, v4, v1
	v_add_co_u32 v1, vcc_lo, 0, v1
	s_wait_dscnt 0x1
	s_wait_alu 0xfffd
	v_add_co_ci_u32_e64 v2, null, v5, v2, vcc_lo
	ds_bpermute_b32 v4, v4, v2
	s_wait_dscnt 0x1
	v_add_co_u32 v1, vcc_lo, v1, v6
	s_wait_alu 0xfffd
	v_add_co_ci_u32_e64 v2, null, 0, v2, vcc_lo
	ds_bpermute_b32 v5, v3, v1
	v_add_co_u32 v1, vcc_lo, v1, 0
	s_wait_dscnt 0x1
	s_wait_alu 0xfffd
	v_add_co_ci_u32_e64 v2, null, v2, v4, vcc_lo
	ds_bpermute_b32 v3, v3, v2
	s_wait_dscnt 0x1
	v_add_co_u32 v1, vcc_lo, v1, v5
	s_wait_alu 0xfffd
	v_add_co_ci_u32_e64 v2, null, 0, v2, vcc_lo
	s_delay_alu instid0(VALU_DEP_2) | instskip(SKIP_2) | instid1(VALU_DEP_2)
	v_add_co_u32 v1, vcc_lo, v1, 0
	s_wait_dscnt 0x0
	s_wait_alu 0xfffd
	v_add_co_ci_u32_e64 v2, null, v2, v3, vcc_lo
.LBB61_164:
	s_or_b32 exec_lo, exec_lo, s3
	s_branch .LBB61_193
.LBB61_165:
                                        ; implicit-def: $vgpr1_vgpr2
                                        ; implicit-def: $vgpr3_vgpr4
	s_cbranch_execnz .LBB61_194
	s_branch .LBB61_226
.LBB61_166:
	s_branch .LBB61_226
.LBB61_167:
                                        ; implicit-def: $vgpr1_vgpr2
	s_cbranch_execz .LBB61_193
; %bb.168:
	v_mov_b32_e32 v1, 0
	s_sub_co_i32 s2, s18, s2
	s_mov_b32 s3, exec_lo
	s_delay_alu instid0(VALU_DEP_1)
	v_dual_mov_b32 v2, v1 :: v_dual_mov_b32 v3, v1
	v_mov_b32_e32 v4, v1
	v_cmpx_gt_u32_e64 s2, v0
	s_cbranch_execz .LBB61_170
; %bb.169:
	v_dual_mov_b32 v5, v1 :: v_dual_lshlrev_b32 v2, 3, v0
	v_mov_b32_e32 v4, v1
	global_load_b64 v[2:3], v2, s[0:1]
	s_wait_loadcnt 0x0
	v_mov_b32_e32 v1, v2
	v_mov_b32_e32 v2, v3
	;; [unrolled: 1-line block ×4, first 2 shown]
.LBB61_170:
	s_or_b32 exec_lo, exec_lo, s3
	v_or_b32_e32 v5, 0x100, v0
	s_delay_alu instid0(VALU_DEP_1)
	v_cmp_gt_u32_e32 vcc_lo, s2, v5
	s_and_saveexec_b32 s3, vcc_lo
	s_cbranch_execz .LBB61_172
; %bb.171:
	v_lshlrev_b32_e32 v3, 3, v0
	global_load_b64 v[3:4], v3, s[0:1] offset:2048
.LBB61_172:
	s_wait_alu 0xfffe
	s_or_b32 exec_lo, exec_lo, s3
	v_mbcnt_lo_u32_b32 v5, -1, 0
	s_wait_loadcnt 0x0
	v_dual_cndmask_b32 v3, 0, v3 :: v_dual_cndmask_b32 v4, 0, v4
	s_delay_alu instid0(VALU_DEP_2) | instskip(NEXT) | instid1(VALU_DEP_2)
	v_cmp_ne_u32_e64 s0, 31, v5
	v_add_co_u32 v1, vcc_lo, v3, v1
	s_wait_alu 0xfffd
	s_delay_alu instid0(VALU_DEP_3) | instskip(NEXT) | instid1(VALU_DEP_3)
	v_add_co_ci_u32_e64 v2, null, v4, v2, vcc_lo
	v_add_co_ci_u32_e64 v6, null, 0, v5, s0
	v_and_b32_e32 v3, 0xe0, v0
	s_min_u32 s0, s2, 0x100
	s_delay_alu instid0(VALU_DEP_2) | instskip(SKIP_1) | instid1(VALU_DEP_2)
	v_lshlrev_b32_e32 v6, 2, v6
	s_wait_alu 0xfffe
	v_sub_nc_u32_e64 v3, s0, v3 clamp
	ds_bpermute_b32 v7, v6, v1
	ds_bpermute_b32 v4, v6, v2
	v_add_nc_u32_e32 v6, 1, v5
	s_delay_alu instid0(VALU_DEP_1)
	v_cmp_lt_u32_e32 vcc_lo, v6, v3
	v_mov_b32_e32 v6, v1
	s_and_saveexec_b32 s1, vcc_lo
	s_cbranch_execz .LBB61_174
; %bb.173:
	s_wait_dscnt 0x1
	v_add_co_u32 v6, vcc_lo, v1, v7
	s_wait_alu 0xfffd
	v_add_co_ci_u32_e64 v2, null, 0, v2, vcc_lo
	s_delay_alu instid0(VALU_DEP_2) | instskip(SKIP_2) | instid1(VALU_DEP_2)
	v_add_co_u32 v1, vcc_lo, 0, v6
	s_wait_dscnt 0x0
	s_wait_alu 0xfffd
	v_add_co_ci_u32_e64 v2, null, v4, v2, vcc_lo
.LBB61_174:
	s_wait_alu 0xfffe
	s_or_b32 exec_lo, exec_lo, s1
	v_cmp_gt_u32_e32 vcc_lo, 30, v5
	v_add_nc_u32_e32 v8, 2, v5
	s_mov_b32 s1, exec_lo
	s_wait_dscnt 0x0
	s_wait_alu 0xfffd
	v_cndmask_b32_e64 v4, 0, 2, vcc_lo
	s_delay_alu instid0(VALU_DEP_1)
	v_add_lshl_u32 v4, v4, v5, 2
	ds_bpermute_b32 v7, v4, v6
	ds_bpermute_b32 v4, v4, v2
	v_cmpx_lt_u32_e64 v8, v3
	s_cbranch_execz .LBB61_176
; %bb.175:
	s_wait_dscnt 0x1
	v_add_co_u32 v6, vcc_lo, v1, v7
	s_wait_alu 0xfffd
	v_add_co_ci_u32_e64 v2, null, 0, v2, vcc_lo
	s_delay_alu instid0(VALU_DEP_2) | instskip(SKIP_2) | instid1(VALU_DEP_2)
	v_add_co_u32 v1, vcc_lo, 0, v6
	s_wait_dscnt 0x0
	s_wait_alu 0xfffd
	v_add_co_ci_u32_e64 v2, null, v4, v2, vcc_lo
.LBB61_176:
	s_wait_alu 0xfffe
	s_or_b32 exec_lo, exec_lo, s1
	v_cmp_gt_u32_e32 vcc_lo, 28, v5
	v_add_nc_u32_e32 v8, 4, v5
	s_mov_b32 s1, exec_lo
	s_wait_dscnt 0x0
	s_wait_alu 0xfffd
	v_cndmask_b32_e64 v4, 0, 4, vcc_lo
	s_delay_alu instid0(VALU_DEP_1)
	v_add_lshl_u32 v4, v4, v5, 2
	ds_bpermute_b32 v7, v4, v6
	ds_bpermute_b32 v4, v4, v2
	v_cmpx_lt_u32_e64 v8, v3
	;; [unrolled: 25-line block ×3, first 2 shown]
	s_cbranch_execz .LBB61_180
; %bb.179:
	s_wait_dscnt 0x1
	v_add_co_u32 v6, vcc_lo, v1, v7
	s_wait_alu 0xfffd
	v_add_co_ci_u32_e64 v2, null, 0, v2, vcc_lo
	s_delay_alu instid0(VALU_DEP_2) | instskip(SKIP_2) | instid1(VALU_DEP_2)
	v_add_co_u32 v1, vcc_lo, 0, v6
	s_wait_dscnt 0x0
	s_wait_alu 0xfffd
	v_add_co_ci_u32_e64 v2, null, v4, v2, vcc_lo
.LBB61_180:
	s_wait_alu 0xfffe
	s_or_b32 exec_lo, exec_lo, s1
	s_wait_dscnt 0x0
	v_lshlrev_b32_e32 v4, 2, v5
	s_mov_b32 s1, exec_lo
	s_delay_alu instid0(VALU_DEP_1) | instskip(SKIP_3) | instid1(VALU_DEP_1)
	v_or_b32_e32 v8, 64, v4
	ds_bpermute_b32 v7, v8, v6
	ds_bpermute_b32 v6, v8, v2
	v_add_nc_u32_e32 v8, 16, v5
	v_cmpx_lt_u32_e64 v8, v3
	s_cbranch_execz .LBB61_182
; %bb.181:
	s_wait_dscnt 0x1
	v_add_co_u32 v1, vcc_lo, v1, v7
	s_wait_alu 0xfffd
	v_add_co_ci_u32_e64 v2, null, 0, v2, vcc_lo
	s_delay_alu instid0(VALU_DEP_2) | instskip(SKIP_2) | instid1(VALU_DEP_2)
	v_add_co_u32 v1, vcc_lo, v1, 0
	s_wait_dscnt 0x0
	s_wait_alu 0xfffd
	v_add_co_ci_u32_e64 v2, null, v2, v6, vcc_lo
.LBB61_182:
	s_wait_alu 0xfffe
	s_or_b32 exec_lo, exec_lo, s1
	s_delay_alu instid0(SALU_CYCLE_1)
	s_mov_b32 s1, exec_lo
	v_cmpx_eq_u32_e32 0, v5
; %bb.183:
	v_lshrrev_b32_e32 v3, 2, v0
	s_delay_alu instid0(VALU_DEP_1)
	v_and_b32_e32 v3, 56, v3
	ds_store_b64 v3, v[1:2] offset:320
; %bb.184:
	s_wait_alu 0xfffe
	s_or_b32 exec_lo, exec_lo, s1
	s_delay_alu instid0(SALU_CYCLE_1)
	s_mov_b32 s1, exec_lo
	s_wait_dscnt 0x0
	s_barrier_signal -1
	s_barrier_wait -1
	global_inv scope:SCOPE_SE
	v_cmpx_gt_u32_e32 8, v0
	s_cbranch_execz .LBB61_192
; %bb.185:
	v_lshlrev_b32_e32 v1, 3, v5
	s_add_co_i32 s0, s0, 31
	s_wait_alu 0xfffe
	s_lshr_b32 s0, s0, 5
	ds_load_b64 v[1:2], v1 offset:320
	v_and_b32_e32 v3, 7, v5
	s_delay_alu instid0(VALU_DEP_1) | instskip(SKIP_2) | instid1(VALU_DEP_1)
	v_cmp_ne_u32_e32 vcc_lo, 7, v3
	s_wait_alu 0xfffd
	v_add_co_ci_u32_e64 v6, null, 0, v5, vcc_lo
	v_lshlrev_b32_e32 v6, 2, v6
	s_wait_dscnt 0x0
	ds_bpermute_b32 v8, v6, v1
	ds_bpermute_b32 v7, v6, v2
	v_add_nc_u32_e32 v6, 1, v3
	s_wait_alu 0xfffe
	s_delay_alu instid0(VALU_DEP_1)
	v_cmp_gt_u32_e32 vcc_lo, s0, v6
	v_mov_b32_e32 v6, v1
	s_and_saveexec_b32 s2, vcc_lo
	s_cbranch_execz .LBB61_187
; %bb.186:
	s_wait_dscnt 0x1
	v_add_co_u32 v6, vcc_lo, v1, v8
	s_wait_alu 0xfffd
	v_add_co_ci_u32_e64 v2, null, 0, v2, vcc_lo
	s_delay_alu instid0(VALU_DEP_2) | instskip(SKIP_2) | instid1(VALU_DEP_2)
	v_add_co_u32 v1, vcc_lo, 0, v6
	s_wait_dscnt 0x0
	s_wait_alu 0xfffd
	v_add_co_ci_u32_e64 v2, null, v7, v2, vcc_lo
.LBB61_187:
	s_wait_alu 0xfffe
	s_or_b32 exec_lo, exec_lo, s2
	v_cmp_gt_u32_e32 vcc_lo, 6, v3
	s_wait_dscnt 0x1
	v_add_nc_u32_e32 v8, 2, v3
	s_mov_b32 s2, exec_lo
	s_wait_dscnt 0x0
	s_wait_alu 0xfffd
	v_cndmask_b32_e64 v7, 0, 2, vcc_lo
	s_delay_alu instid0(VALU_DEP_1)
	v_add_lshl_u32 v5, v7, v5, 2
	ds_bpermute_b32 v7, v5, v6
	ds_bpermute_b32 v5, v5, v2
	v_cmpx_gt_u32_e64 s0, v8
	s_cbranch_execz .LBB61_189
; %bb.188:
	s_wait_dscnt 0x1
	v_add_co_u32 v6, vcc_lo, v1, v7
	s_wait_alu 0xfffd
	v_add_co_ci_u32_e64 v2, null, 0, v2, vcc_lo
	s_delay_alu instid0(VALU_DEP_2) | instskip(SKIP_2) | instid1(VALU_DEP_2)
	v_add_co_u32 v1, vcc_lo, 0, v6
	s_wait_dscnt 0x0
	s_wait_alu 0xfffd
	v_add_co_ci_u32_e64 v2, null, v5, v2, vcc_lo
.LBB61_189:
	s_wait_alu 0xfffe
	s_or_b32 exec_lo, exec_lo, s2
	v_or_b32_e32 v4, 16, v4
	v_add_nc_u32_e32 v3, 4, v3
	s_wait_dscnt 0x0
	ds_bpermute_b32 v5, v4, v6
	ds_bpermute_b32 v4, v4, v2
	v_cmp_gt_u32_e32 vcc_lo, s0, v3
	s_and_saveexec_b32 s0, vcc_lo
	s_cbranch_execz .LBB61_191
; %bb.190:
	s_wait_dscnt 0x1
	v_add_co_u32 v1, vcc_lo, v1, v5
	s_wait_alu 0xfffd
	v_add_co_ci_u32_e64 v2, null, 0, v2, vcc_lo
	s_delay_alu instid0(VALU_DEP_2) | instskip(SKIP_2) | instid1(VALU_DEP_2)
	v_add_co_u32 v1, vcc_lo, v1, 0
	s_wait_dscnt 0x0
	s_wait_alu 0xfffd
	v_add_co_ci_u32_e64 v2, null, v2, v4, vcc_lo
.LBB61_191:
	s_wait_alu 0xfffe
	s_or_b32 exec_lo, exec_lo, s0
.LBB61_192:
	s_wait_alu 0xfffe
	s_or_b32 exec_lo, exec_lo, s1
.LBB61_193:
	v_cmp_eq_u32_e64 s0, 0, v0
	s_wait_dscnt 0x0
	v_dual_mov_b32 v3, s14 :: v_dual_mov_b32 v4, s15
	s_branch .LBB61_226
.LBB61_194:
	s_cmp_eq_u32 s26, 1
                                        ; implicit-def: $vgpr1_vgpr2
                                        ; implicit-def: $vgpr3_vgpr4
	s_cbranch_scc0 .LBB61_226
; %bb.195:
	s_mov_b32 s1, 0
	v_mbcnt_lo_u32_b32 v3, -1, 0
	s_lshr_b64 s[2:3], s[18:19], 8
	s_mov_b32 s15, s1
	s_lshl_b32 s0, s14, 8
	s_cmp_lg_u64 s[2:3], s[14:15]
	s_cbranch_scc0 .LBB61_201
; %bb.196:
	v_lshlrev_b32_e32 v1, 3, v0
	s_lshl_b64 s[2:3], s[0:1], 3
	s_delay_alu instid0(SALU_CYCLE_1) | instskip(SKIP_4) | instid1(VALU_DEP_1)
	s_add_nc_u64 s[2:3], s[16:17], s[2:3]
	global_load_b64 v[1:2], v1, s[2:3]
	s_mov_b32 s2, exec_lo
	s_wait_loadcnt 0x0
	v_mov_b32_dpp v4, v1 quad_perm:[1,0,3,2] row_mask:0xf bank_mask:0xf
	v_add_co_u32 v1, vcc_lo, v1, v4
	v_mov_b32_dpp v4, v2 quad_perm:[1,0,3,2] row_mask:0xf bank_mask:0xf
	v_add_co_ci_u32_e64 v2, null, 0, v2, vcc_lo
	s_delay_alu instid0(VALU_DEP_3) | instskip(SKIP_2) | instid1(VALU_DEP_3)
	v_mov_b32_dpp v5, v1 quad_perm:[2,3,0,1] row_mask:0xf bank_mask:0xf
	v_add_co_u32 v1, vcc_lo, 0, v1
	s_wait_alu 0xfffd
	v_add_co_ci_u32_e64 v2, null, v4, v2, vcc_lo
	s_delay_alu instid0(VALU_DEP_2) | instskip(NEXT) | instid1(VALU_DEP_2)
	v_add_co_u32 v1, vcc_lo, v1, v5
	v_mov_b32_dpp v4, v2 quad_perm:[2,3,0,1] row_mask:0xf bank_mask:0xf
	s_wait_alu 0xfffd
	v_add_co_ci_u32_e64 v2, null, 0, v2, vcc_lo
	s_delay_alu instid0(VALU_DEP_3) | instskip(SKIP_2) | instid1(VALU_DEP_3)
	v_mov_b32_dpp v5, v1 row_ror:4 row_mask:0xf bank_mask:0xf
	v_add_co_u32 v1, vcc_lo, v1, 0
	s_wait_alu 0xfffd
	v_add_co_ci_u32_e64 v2, null, v2, v4, vcc_lo
	s_delay_alu instid0(VALU_DEP_2) | instskip(NEXT) | instid1(VALU_DEP_2)
	v_add_co_u32 v1, vcc_lo, v1, v5
	v_mov_b32_dpp v4, v2 row_ror:4 row_mask:0xf bank_mask:0xf
	s_wait_alu 0xfffd
	v_add_co_ci_u32_e64 v2, null, 0, v2, vcc_lo
	s_delay_alu instid0(VALU_DEP_3) | instskip(SKIP_2) | instid1(VALU_DEP_3)
	v_mov_b32_dpp v5, v1 row_ror:8 row_mask:0xf bank_mask:0xf
	v_add_co_u32 v1, vcc_lo, v1, 0
	s_wait_alu 0xfffd
	v_add_co_ci_u32_e64 v2, null, v2, v4, vcc_lo
	s_delay_alu instid0(VALU_DEP_2) | instskip(NEXT) | instid1(VALU_DEP_2)
	v_add_co_u32 v1, vcc_lo, v1, v5
	v_mov_b32_dpp v4, v2 row_ror:8 row_mask:0xf bank_mask:0xf
	s_wait_alu 0xfffd
	v_add_co_ci_u32_e64 v2, null, 0, v2, vcc_lo
	ds_swizzle_b32 v5, v1 offset:swizzle(BROADCAST,32,15)
	v_add_co_u32 v1, vcc_lo, v1, 0
	s_wait_alu 0xfffd
	v_add_co_ci_u32_e64 v2, null, v2, v4, vcc_lo
	ds_swizzle_b32 v4, v2 offset:swizzle(BROADCAST,32,15)
	s_wait_dscnt 0x1
	v_add_co_u32 v1, vcc_lo, v1, v5
	s_wait_alu 0xfffd
	v_add_co_ci_u32_e64 v2, null, 0, v2, vcc_lo
	s_wait_dscnt 0x0
	s_delay_alu instid0(VALU_DEP_1)
	v_dual_mov_b32 v5, 0 :: v_dual_add_nc_u32 v2, v4, v2
	ds_bpermute_b32 v1, v5, v1 offset:124
	ds_bpermute_b32 v2, v5, v2 offset:124
	v_cmpx_eq_u32_e32 0, v3
	s_cbranch_execz .LBB61_198
; %bb.197:
	v_lshrrev_b32_e32 v4, 2, v0
	s_delay_alu instid0(VALU_DEP_1)
	v_and_b32_e32 v4, 56, v4
	s_wait_dscnt 0x0
	ds_store_b64 v4, v[1:2] offset:64
.LBB61_198:
	s_or_b32 exec_lo, exec_lo, s2
	s_delay_alu instid0(SALU_CYCLE_1)
	s_mov_b32 s2, exec_lo
	s_wait_dscnt 0x0
	s_barrier_signal -1
	s_barrier_wait -1
	global_inv scope:SCOPE_SE
	v_cmpx_gt_u32_e32 32, v0
	s_cbranch_execz .LBB61_200
; %bb.199:
	v_and_b32_e32 v4, 7, v3
	s_delay_alu instid0(VALU_DEP_1)
	v_lshlrev_b32_e32 v1, 3, v4
	v_cmp_ne_u32_e32 vcc_lo, 7, v4
	ds_load_b64 v[1:2], v1 offset:64
	s_wait_alu 0xfffd
	v_add_co_ci_u32_e64 v5, null, 0, v3, vcc_lo
	v_cmp_gt_u32_e32 vcc_lo, 6, v4
	s_delay_alu instid0(VALU_DEP_2) | instskip(SKIP_2) | instid1(VALU_DEP_1)
	v_lshlrev_b32_e32 v5, 2, v5
	s_wait_alu 0xfffd
	v_cndmask_b32_e64 v4, 0, 2, vcc_lo
	v_add_lshl_u32 v4, v4, v3, 2
	s_wait_dscnt 0x0
	ds_bpermute_b32 v6, v5, v1
	ds_bpermute_b32 v5, v5, v2
	s_wait_dscnt 0x1
	v_add_co_u32 v1, vcc_lo, v1, v6
	s_wait_alu 0xfffd
	v_add_co_ci_u32_e64 v2, null, 0, v2, vcc_lo
	ds_bpermute_b32 v6, v4, v1
	v_add_co_u32 v1, vcc_lo, 0, v1
	s_wait_dscnt 0x1
	s_wait_alu 0xfffd
	v_add_co_ci_u32_e64 v2, null, v5, v2, vcc_lo
	v_lshlrev_b32_e32 v5, 2, v3
	ds_bpermute_b32 v4, v4, v2
	v_or_b32_e32 v5, 16, v5
	s_wait_dscnt 0x1
	v_add_co_u32 v1, vcc_lo, v1, v6
	s_wait_alu 0xfffd
	v_add_co_ci_u32_e64 v2, null, 0, v2, vcc_lo
	ds_bpermute_b32 v6, v5, v1
	v_add_co_u32 v1, vcc_lo, v1, 0
	s_wait_dscnt 0x1
	s_wait_alu 0xfffd
	v_add_co_ci_u32_e64 v2, null, v2, v4, vcc_lo
	ds_bpermute_b32 v4, v5, v2
	s_wait_dscnt 0x1
	v_add_co_u32 v1, vcc_lo, v1, v6
	s_wait_alu 0xfffd
	v_add_co_ci_u32_e64 v2, null, 0, v2, vcc_lo
	s_delay_alu instid0(VALU_DEP_2) | instskip(SKIP_2) | instid1(VALU_DEP_2)
	v_add_co_u32 v1, vcc_lo, v1, 0
	s_wait_dscnt 0x0
	s_wait_alu 0xfffd
	v_add_co_ci_u32_e64 v2, null, v2, v4, vcc_lo
.LBB61_200:
	s_or_b32 exec_lo, exec_lo, s2
	s_branch .LBB61_225
.LBB61_201:
                                        ; implicit-def: $vgpr1_vgpr2
	s_cbranch_execz .LBB61_225
; %bb.202:
	s_sub_co_i32 s2, s18, s0
	s_mov_b32 s3, exec_lo
                                        ; implicit-def: $vgpr1_vgpr2
	v_cmpx_gt_u32_e64 s2, v0
	s_cbranch_execz .LBB61_204
; %bb.203:
	v_lshlrev_b32_e32 v1, 3, v0
	s_lshl_b64 s[0:1], s[0:1], 3
	s_delay_alu instid0(SALU_CYCLE_1)
	s_add_nc_u64 s[0:1], s[16:17], s[0:1]
	global_load_b64 v[1:2], v1, s[0:1]
.LBB61_204:
	s_or_b32 exec_lo, exec_lo, s3
	v_cmp_ne_u32_e32 vcc_lo, 31, v3
	s_min_u32 s0, s2, 0x100
	v_add_nc_u32_e32 v6, 1, v3
	v_add_co_ci_u32_e64 v4, null, 0, v3, vcc_lo
	s_delay_alu instid0(VALU_DEP_1) | instskip(SKIP_4) | instid1(VALU_DEP_1)
	v_lshlrev_b32_e32 v4, 2, v4
	s_wait_loadcnt 0x0
	ds_bpermute_b32 v7, v4, v1
	ds_bpermute_b32 v5, v4, v2
	v_and_b32_e32 v4, 0xe0, v0
	v_sub_nc_u32_e64 v4, s0, v4 clamp
	s_delay_alu instid0(VALU_DEP_1)
	v_cmp_lt_u32_e32 vcc_lo, v6, v4
	v_mov_b32_e32 v6, v1
	s_and_saveexec_b32 s1, vcc_lo
	s_cbranch_execz .LBB61_206
; %bb.205:
	s_wait_dscnt 0x1
	v_add_co_u32 v6, vcc_lo, v1, v7
	s_wait_alu 0xfffd
	v_add_co_ci_u32_e64 v2, null, 0, v2, vcc_lo
	s_delay_alu instid0(VALU_DEP_2) | instskip(SKIP_2) | instid1(VALU_DEP_2)
	v_add_co_u32 v1, vcc_lo, 0, v6
	s_wait_dscnt 0x0
	s_wait_alu 0xfffd
	v_add_co_ci_u32_e64 v2, null, v5, v2, vcc_lo
.LBB61_206:
	s_wait_alu 0xfffe
	s_or_b32 exec_lo, exec_lo, s1
	v_cmp_gt_u32_e32 vcc_lo, 30, v3
	v_add_nc_u32_e32 v8, 2, v3
	s_mov_b32 s1, exec_lo
	s_wait_dscnt 0x0
	s_wait_alu 0xfffd
	v_cndmask_b32_e64 v5, 0, 2, vcc_lo
	s_delay_alu instid0(VALU_DEP_1)
	v_add_lshl_u32 v5, v5, v3, 2
	ds_bpermute_b32 v7, v5, v6
	ds_bpermute_b32 v5, v5, v2
	v_cmpx_lt_u32_e64 v8, v4
	s_cbranch_execz .LBB61_208
; %bb.207:
	s_wait_dscnt 0x1
	v_add_co_u32 v6, vcc_lo, v1, v7
	s_wait_alu 0xfffd
	v_add_co_ci_u32_e64 v2, null, 0, v2, vcc_lo
	s_delay_alu instid0(VALU_DEP_2) | instskip(SKIP_2) | instid1(VALU_DEP_2)
	v_add_co_u32 v1, vcc_lo, 0, v6
	s_wait_dscnt 0x0
	s_wait_alu 0xfffd
	v_add_co_ci_u32_e64 v2, null, v5, v2, vcc_lo
.LBB61_208:
	s_wait_alu 0xfffe
	s_or_b32 exec_lo, exec_lo, s1
	v_cmp_gt_u32_e32 vcc_lo, 28, v3
	v_add_nc_u32_e32 v8, 4, v3
	s_mov_b32 s1, exec_lo
	s_wait_dscnt 0x0
	s_wait_alu 0xfffd
	v_cndmask_b32_e64 v5, 0, 4, vcc_lo
	s_delay_alu instid0(VALU_DEP_1)
	v_add_lshl_u32 v5, v5, v3, 2
	ds_bpermute_b32 v7, v5, v6
	ds_bpermute_b32 v5, v5, v2
	v_cmpx_lt_u32_e64 v8, v4
	;; [unrolled: 25-line block ×3, first 2 shown]
	s_cbranch_execz .LBB61_212
; %bb.211:
	s_wait_dscnt 0x1
	v_add_co_u32 v6, vcc_lo, v1, v7
	s_wait_alu 0xfffd
	v_add_co_ci_u32_e64 v2, null, 0, v2, vcc_lo
	s_delay_alu instid0(VALU_DEP_2) | instskip(SKIP_2) | instid1(VALU_DEP_2)
	v_add_co_u32 v1, vcc_lo, 0, v6
	s_wait_dscnt 0x0
	s_wait_alu 0xfffd
	v_add_co_ci_u32_e64 v2, null, v5, v2, vcc_lo
.LBB61_212:
	s_wait_alu 0xfffe
	s_or_b32 exec_lo, exec_lo, s1
	s_wait_dscnt 0x0
	v_lshlrev_b32_e32 v5, 2, v3
	s_mov_b32 s1, exec_lo
	s_delay_alu instid0(VALU_DEP_1) | instskip(SKIP_3) | instid1(VALU_DEP_1)
	v_or_b32_e32 v8, 64, v5
	ds_bpermute_b32 v7, v8, v6
	ds_bpermute_b32 v6, v8, v2
	v_add_nc_u32_e32 v8, 16, v3
	v_cmpx_lt_u32_e64 v8, v4
	s_cbranch_execz .LBB61_214
; %bb.213:
	s_wait_dscnt 0x1
	v_add_co_u32 v1, vcc_lo, v1, v7
	s_wait_alu 0xfffd
	v_add_co_ci_u32_e64 v2, null, 0, v2, vcc_lo
	s_delay_alu instid0(VALU_DEP_2) | instskip(SKIP_2) | instid1(VALU_DEP_2)
	v_add_co_u32 v1, vcc_lo, v1, 0
	s_wait_dscnt 0x0
	s_wait_alu 0xfffd
	v_add_co_ci_u32_e64 v2, null, v2, v6, vcc_lo
.LBB61_214:
	s_wait_alu 0xfffe
	s_or_b32 exec_lo, exec_lo, s1
	s_delay_alu instid0(SALU_CYCLE_1)
	s_mov_b32 s1, exec_lo
	v_cmpx_eq_u32_e32 0, v3
; %bb.215:
	v_lshrrev_b32_e32 v4, 2, v0
	s_delay_alu instid0(VALU_DEP_1)
	v_and_b32_e32 v4, 56, v4
	ds_store_b64 v4, v[1:2] offset:320
; %bb.216:
	s_wait_alu 0xfffe
	s_or_b32 exec_lo, exec_lo, s1
	s_delay_alu instid0(SALU_CYCLE_1)
	s_mov_b32 s1, exec_lo
	s_wait_dscnt 0x0
	s_barrier_signal -1
	s_barrier_wait -1
	global_inv scope:SCOPE_SE
	v_cmpx_gt_u32_e32 8, v0
	s_cbranch_execz .LBB61_224
; %bb.217:
	v_lshlrev_b32_e32 v1, 3, v3
	v_and_b32_e32 v4, 7, v3
	s_add_co_i32 s0, s0, 31
	s_wait_alu 0xfffe
	s_lshr_b32 s0, s0, 5
	ds_load_b64 v[1:2], v1 offset:320
	v_cmp_ne_u32_e32 vcc_lo, 7, v4
	s_wait_alu 0xfffd
	v_add_co_ci_u32_e64 v6, null, 0, v3, vcc_lo
	s_delay_alu instid0(VALU_DEP_1)
	v_lshlrev_b32_e32 v6, 2, v6
	s_wait_dscnt 0x0
	ds_bpermute_b32 v8, v6, v1
	ds_bpermute_b32 v7, v6, v2
	v_add_nc_u32_e32 v6, 1, v4
	s_wait_alu 0xfffe
	s_delay_alu instid0(VALU_DEP_1)
	v_cmp_gt_u32_e32 vcc_lo, s0, v6
	v_mov_b32_e32 v6, v1
	s_and_saveexec_b32 s2, vcc_lo
	s_cbranch_execz .LBB61_219
; %bb.218:
	s_wait_dscnt 0x1
	v_add_co_u32 v6, vcc_lo, v1, v8
	s_wait_alu 0xfffd
	v_add_co_ci_u32_e64 v2, null, 0, v2, vcc_lo
	s_delay_alu instid0(VALU_DEP_2) | instskip(SKIP_2) | instid1(VALU_DEP_2)
	v_add_co_u32 v1, vcc_lo, 0, v6
	s_wait_dscnt 0x0
	s_wait_alu 0xfffd
	v_add_co_ci_u32_e64 v2, null, v7, v2, vcc_lo
.LBB61_219:
	s_wait_alu 0xfffe
	s_or_b32 exec_lo, exec_lo, s2
	v_cmp_gt_u32_e32 vcc_lo, 6, v4
	s_wait_dscnt 0x1
	v_add_nc_u32_e32 v8, 2, v4
	s_mov_b32 s2, exec_lo
	s_wait_dscnt 0x0
	s_wait_alu 0xfffd
	v_cndmask_b32_e64 v7, 0, 2, vcc_lo
	s_delay_alu instid0(VALU_DEP_1)
	v_add_lshl_u32 v3, v7, v3, 2
	ds_bpermute_b32 v7, v3, v6
	ds_bpermute_b32 v3, v3, v2
	v_cmpx_gt_u32_e64 s0, v8
	s_cbranch_execz .LBB61_221
; %bb.220:
	s_wait_dscnt 0x1
	v_add_co_u32 v6, vcc_lo, v1, v7
	s_wait_alu 0xfffd
	v_add_co_ci_u32_e64 v2, null, 0, v2, vcc_lo
	s_delay_alu instid0(VALU_DEP_2) | instskip(SKIP_2) | instid1(VALU_DEP_2)
	v_add_co_u32 v1, vcc_lo, 0, v6
	s_wait_dscnt 0x0
	s_wait_alu 0xfffd
	v_add_co_ci_u32_e64 v2, null, v3, v2, vcc_lo
.LBB61_221:
	s_wait_alu 0xfffe
	s_or_b32 exec_lo, exec_lo, s2
	s_wait_dscnt 0x0
	v_or_b32_e32 v3, 16, v5
	v_add_nc_u32_e32 v4, 4, v4
	ds_bpermute_b32 v5, v3, v6
	ds_bpermute_b32 v3, v3, v2
	v_cmp_gt_u32_e32 vcc_lo, s0, v4
	s_and_saveexec_b32 s0, vcc_lo
	s_cbranch_execz .LBB61_223
; %bb.222:
	s_wait_dscnt 0x1
	v_add_co_u32 v1, vcc_lo, v1, v5
	s_wait_alu 0xfffd
	v_add_co_ci_u32_e64 v2, null, 0, v2, vcc_lo
	s_delay_alu instid0(VALU_DEP_2) | instskip(SKIP_2) | instid1(VALU_DEP_2)
	v_add_co_u32 v1, vcc_lo, v1, 0
	s_wait_dscnt 0x0
	s_wait_alu 0xfffd
	v_add_co_ci_u32_e64 v2, null, v2, v3, vcc_lo
.LBB61_223:
	s_wait_alu 0xfffe
	s_or_b32 exec_lo, exec_lo, s0
.LBB61_224:
	s_wait_alu 0xfffe
	s_or_b32 exec_lo, exec_lo, s1
.LBB61_225:
	v_cmp_eq_u32_e64 s0, 0, v0
	s_wait_dscnt 0x0
	v_dual_mov_b32 v3, s14 :: v_dual_mov_b32 v4, s15
.LBB61_226:
	s_delay_alu instid0(VALU_DEP_2)
	s_and_saveexec_b32 s1, s0
	s_cbranch_execz .LBB61_228
; %bb.227:
	s_cmp_lg_u64 s[18:19], 0
	s_delay_alu instid0(VALU_DEP_1) | instskip(SKIP_3) | instid1(VALU_DEP_2)
	v_lshlrev_b64_e32 v[3:4], 3, v[3:4]
	s_cselect_b32 vcc_lo, -1, 0
	s_wait_alu 0xfffe
	v_dual_cndmask_b32 v5, 0, v2 :: v_dual_cndmask_b32 v2, 0, v1
	v_add_co_u32 v0, vcc_lo, s20, v3
	s_wait_alu 0xfffd
	v_add_co_ci_u32_e64 v1, null, s21, v4, vcc_lo
	s_delay_alu instid0(VALU_DEP_3)
	v_add_co_u32 v2, vcc_lo, v2, s22
	s_wait_alu 0xfffd
	v_add_co_ci_u32_e64 v3, null, s23, v5, vcc_lo
	global_store_b64 v[0:1], v[2:3], off
.LBB61_228:
	s_endpgm
	.section	.rodata,"a",@progbits
	.p2align	6, 0x0
	.amdhsa_kernel _ZN7rocprim17ROCPRIM_400000_NS6detail17trampoline_kernelINS0_14default_configENS1_22reduce_config_selectorIlEEZNS1_11reduce_implILb1ES3_PlS7_lN6thrust23THRUST_200600_302600_NS4plusIlEEEE10hipError_tPvRmT1_T2_T3_mT4_P12ihipStream_tbEUlT_E1_NS1_11comp_targetILNS1_3genE10ELNS1_11target_archE1201ELNS1_3gpuE5ELNS1_3repE0EEENS1_30default_config_static_selectorELNS0_4arch9wavefront6targetE0EEEvSF_
		.amdhsa_group_segment_fixed_size 384
		.amdhsa_private_segment_fixed_size 0
		.amdhsa_kernarg_size 48
		.amdhsa_user_sgpr_count 2
		.amdhsa_user_sgpr_dispatch_ptr 0
		.amdhsa_user_sgpr_queue_ptr 0
		.amdhsa_user_sgpr_kernarg_segment_ptr 1
		.amdhsa_user_sgpr_dispatch_id 0
		.amdhsa_user_sgpr_private_segment_size 0
		.amdhsa_wavefront_size32 1
		.amdhsa_uses_dynamic_stack 0
		.amdhsa_enable_private_segment 0
		.amdhsa_system_sgpr_workgroup_id_x 1
		.amdhsa_system_sgpr_workgroup_id_y 0
		.amdhsa_system_sgpr_workgroup_id_z 0
		.amdhsa_system_sgpr_workgroup_info 0
		.amdhsa_system_vgpr_workitem_id 0
		.amdhsa_next_free_vgpr 34
		.amdhsa_next_free_sgpr 30
		.amdhsa_reserve_vcc 1
		.amdhsa_float_round_mode_32 0
		.amdhsa_float_round_mode_16_64 0
		.amdhsa_float_denorm_mode_32 3
		.amdhsa_float_denorm_mode_16_64 3
		.amdhsa_fp16_overflow 0
		.amdhsa_workgroup_processor_mode 1
		.amdhsa_memory_ordered 1
		.amdhsa_forward_progress 1
		.amdhsa_inst_pref_size 111
		.amdhsa_round_robin_scheduling 0
		.amdhsa_exception_fp_ieee_invalid_op 0
		.amdhsa_exception_fp_denorm_src 0
		.amdhsa_exception_fp_ieee_div_zero 0
		.amdhsa_exception_fp_ieee_overflow 0
		.amdhsa_exception_fp_ieee_underflow 0
		.amdhsa_exception_fp_ieee_inexact 0
		.amdhsa_exception_int_div_zero 0
	.end_amdhsa_kernel
	.section	.text._ZN7rocprim17ROCPRIM_400000_NS6detail17trampoline_kernelINS0_14default_configENS1_22reduce_config_selectorIlEEZNS1_11reduce_implILb1ES3_PlS7_lN6thrust23THRUST_200600_302600_NS4plusIlEEEE10hipError_tPvRmT1_T2_T3_mT4_P12ihipStream_tbEUlT_E1_NS1_11comp_targetILNS1_3genE10ELNS1_11target_archE1201ELNS1_3gpuE5ELNS1_3repE0EEENS1_30default_config_static_selectorELNS0_4arch9wavefront6targetE0EEEvSF_,"axG",@progbits,_ZN7rocprim17ROCPRIM_400000_NS6detail17trampoline_kernelINS0_14default_configENS1_22reduce_config_selectorIlEEZNS1_11reduce_implILb1ES3_PlS7_lN6thrust23THRUST_200600_302600_NS4plusIlEEEE10hipError_tPvRmT1_T2_T3_mT4_P12ihipStream_tbEUlT_E1_NS1_11comp_targetILNS1_3genE10ELNS1_11target_archE1201ELNS1_3gpuE5ELNS1_3repE0EEENS1_30default_config_static_selectorELNS0_4arch9wavefront6targetE0EEEvSF_,comdat
.Lfunc_end61:
	.size	_ZN7rocprim17ROCPRIM_400000_NS6detail17trampoline_kernelINS0_14default_configENS1_22reduce_config_selectorIlEEZNS1_11reduce_implILb1ES3_PlS7_lN6thrust23THRUST_200600_302600_NS4plusIlEEEE10hipError_tPvRmT1_T2_T3_mT4_P12ihipStream_tbEUlT_E1_NS1_11comp_targetILNS1_3genE10ELNS1_11target_archE1201ELNS1_3gpuE5ELNS1_3repE0EEENS1_30default_config_static_selectorELNS0_4arch9wavefront6targetE0EEEvSF_, .Lfunc_end61-_ZN7rocprim17ROCPRIM_400000_NS6detail17trampoline_kernelINS0_14default_configENS1_22reduce_config_selectorIlEEZNS1_11reduce_implILb1ES3_PlS7_lN6thrust23THRUST_200600_302600_NS4plusIlEEEE10hipError_tPvRmT1_T2_T3_mT4_P12ihipStream_tbEUlT_E1_NS1_11comp_targetILNS1_3genE10ELNS1_11target_archE1201ELNS1_3gpuE5ELNS1_3repE0EEENS1_30default_config_static_selectorELNS0_4arch9wavefront6targetE0EEEvSF_
                                        ; -- End function
	.set _ZN7rocprim17ROCPRIM_400000_NS6detail17trampoline_kernelINS0_14default_configENS1_22reduce_config_selectorIlEEZNS1_11reduce_implILb1ES3_PlS7_lN6thrust23THRUST_200600_302600_NS4plusIlEEEE10hipError_tPvRmT1_T2_T3_mT4_P12ihipStream_tbEUlT_E1_NS1_11comp_targetILNS1_3genE10ELNS1_11target_archE1201ELNS1_3gpuE5ELNS1_3repE0EEENS1_30default_config_static_selectorELNS0_4arch9wavefront6targetE0EEEvSF_.num_vgpr, 34
	.set _ZN7rocprim17ROCPRIM_400000_NS6detail17trampoline_kernelINS0_14default_configENS1_22reduce_config_selectorIlEEZNS1_11reduce_implILb1ES3_PlS7_lN6thrust23THRUST_200600_302600_NS4plusIlEEEE10hipError_tPvRmT1_T2_T3_mT4_P12ihipStream_tbEUlT_E1_NS1_11comp_targetILNS1_3genE10ELNS1_11target_archE1201ELNS1_3gpuE5ELNS1_3repE0EEENS1_30default_config_static_selectorELNS0_4arch9wavefront6targetE0EEEvSF_.num_agpr, 0
	.set _ZN7rocprim17ROCPRIM_400000_NS6detail17trampoline_kernelINS0_14default_configENS1_22reduce_config_selectorIlEEZNS1_11reduce_implILb1ES3_PlS7_lN6thrust23THRUST_200600_302600_NS4plusIlEEEE10hipError_tPvRmT1_T2_T3_mT4_P12ihipStream_tbEUlT_E1_NS1_11comp_targetILNS1_3genE10ELNS1_11target_archE1201ELNS1_3gpuE5ELNS1_3repE0EEENS1_30default_config_static_selectorELNS0_4arch9wavefront6targetE0EEEvSF_.numbered_sgpr, 30
	.set _ZN7rocprim17ROCPRIM_400000_NS6detail17trampoline_kernelINS0_14default_configENS1_22reduce_config_selectorIlEEZNS1_11reduce_implILb1ES3_PlS7_lN6thrust23THRUST_200600_302600_NS4plusIlEEEE10hipError_tPvRmT1_T2_T3_mT4_P12ihipStream_tbEUlT_E1_NS1_11comp_targetILNS1_3genE10ELNS1_11target_archE1201ELNS1_3gpuE5ELNS1_3repE0EEENS1_30default_config_static_selectorELNS0_4arch9wavefront6targetE0EEEvSF_.num_named_barrier, 0
	.set _ZN7rocprim17ROCPRIM_400000_NS6detail17trampoline_kernelINS0_14default_configENS1_22reduce_config_selectorIlEEZNS1_11reduce_implILb1ES3_PlS7_lN6thrust23THRUST_200600_302600_NS4plusIlEEEE10hipError_tPvRmT1_T2_T3_mT4_P12ihipStream_tbEUlT_E1_NS1_11comp_targetILNS1_3genE10ELNS1_11target_archE1201ELNS1_3gpuE5ELNS1_3repE0EEENS1_30default_config_static_selectorELNS0_4arch9wavefront6targetE0EEEvSF_.private_seg_size, 0
	.set _ZN7rocprim17ROCPRIM_400000_NS6detail17trampoline_kernelINS0_14default_configENS1_22reduce_config_selectorIlEEZNS1_11reduce_implILb1ES3_PlS7_lN6thrust23THRUST_200600_302600_NS4plusIlEEEE10hipError_tPvRmT1_T2_T3_mT4_P12ihipStream_tbEUlT_E1_NS1_11comp_targetILNS1_3genE10ELNS1_11target_archE1201ELNS1_3gpuE5ELNS1_3repE0EEENS1_30default_config_static_selectorELNS0_4arch9wavefront6targetE0EEEvSF_.uses_vcc, 1
	.set _ZN7rocprim17ROCPRIM_400000_NS6detail17trampoline_kernelINS0_14default_configENS1_22reduce_config_selectorIlEEZNS1_11reduce_implILb1ES3_PlS7_lN6thrust23THRUST_200600_302600_NS4plusIlEEEE10hipError_tPvRmT1_T2_T3_mT4_P12ihipStream_tbEUlT_E1_NS1_11comp_targetILNS1_3genE10ELNS1_11target_archE1201ELNS1_3gpuE5ELNS1_3repE0EEENS1_30default_config_static_selectorELNS0_4arch9wavefront6targetE0EEEvSF_.uses_flat_scratch, 0
	.set _ZN7rocprim17ROCPRIM_400000_NS6detail17trampoline_kernelINS0_14default_configENS1_22reduce_config_selectorIlEEZNS1_11reduce_implILb1ES3_PlS7_lN6thrust23THRUST_200600_302600_NS4plusIlEEEE10hipError_tPvRmT1_T2_T3_mT4_P12ihipStream_tbEUlT_E1_NS1_11comp_targetILNS1_3genE10ELNS1_11target_archE1201ELNS1_3gpuE5ELNS1_3repE0EEENS1_30default_config_static_selectorELNS0_4arch9wavefront6targetE0EEEvSF_.has_dyn_sized_stack, 0
	.set _ZN7rocprim17ROCPRIM_400000_NS6detail17trampoline_kernelINS0_14default_configENS1_22reduce_config_selectorIlEEZNS1_11reduce_implILb1ES3_PlS7_lN6thrust23THRUST_200600_302600_NS4plusIlEEEE10hipError_tPvRmT1_T2_T3_mT4_P12ihipStream_tbEUlT_E1_NS1_11comp_targetILNS1_3genE10ELNS1_11target_archE1201ELNS1_3gpuE5ELNS1_3repE0EEENS1_30default_config_static_selectorELNS0_4arch9wavefront6targetE0EEEvSF_.has_recursion, 0
	.set _ZN7rocprim17ROCPRIM_400000_NS6detail17trampoline_kernelINS0_14default_configENS1_22reduce_config_selectorIlEEZNS1_11reduce_implILb1ES3_PlS7_lN6thrust23THRUST_200600_302600_NS4plusIlEEEE10hipError_tPvRmT1_T2_T3_mT4_P12ihipStream_tbEUlT_E1_NS1_11comp_targetILNS1_3genE10ELNS1_11target_archE1201ELNS1_3gpuE5ELNS1_3repE0EEENS1_30default_config_static_selectorELNS0_4arch9wavefront6targetE0EEEvSF_.has_indirect_call, 0
	.section	.AMDGPU.csdata,"",@progbits
; Kernel info:
; codeLenInByte = 14084
; TotalNumSgprs: 32
; NumVgprs: 34
; ScratchSize: 0
; MemoryBound: 0
; FloatMode: 240
; IeeeMode: 1
; LDSByteSize: 384 bytes/workgroup (compile time only)
; SGPRBlocks: 0
; VGPRBlocks: 4
; NumSGPRsForWavesPerEU: 32
; NumVGPRsForWavesPerEU: 34
; Occupancy: 16
; WaveLimiterHint : 1
; COMPUTE_PGM_RSRC2:SCRATCH_EN: 0
; COMPUTE_PGM_RSRC2:USER_SGPR: 2
; COMPUTE_PGM_RSRC2:TRAP_HANDLER: 0
; COMPUTE_PGM_RSRC2:TGID_X_EN: 1
; COMPUTE_PGM_RSRC2:TGID_Y_EN: 0
; COMPUTE_PGM_RSRC2:TGID_Z_EN: 0
; COMPUTE_PGM_RSRC2:TIDIG_COMP_CNT: 0
	.section	.text._ZN7rocprim17ROCPRIM_400000_NS6detail17trampoline_kernelINS0_14default_configENS1_22reduce_config_selectorIlEEZNS1_11reduce_implILb1ES3_PlS7_lN6thrust23THRUST_200600_302600_NS4plusIlEEEE10hipError_tPvRmT1_T2_T3_mT4_P12ihipStream_tbEUlT_E1_NS1_11comp_targetILNS1_3genE10ELNS1_11target_archE1200ELNS1_3gpuE4ELNS1_3repE0EEENS1_30default_config_static_selectorELNS0_4arch9wavefront6targetE0EEEvSF_,"axG",@progbits,_ZN7rocprim17ROCPRIM_400000_NS6detail17trampoline_kernelINS0_14default_configENS1_22reduce_config_selectorIlEEZNS1_11reduce_implILb1ES3_PlS7_lN6thrust23THRUST_200600_302600_NS4plusIlEEEE10hipError_tPvRmT1_T2_T3_mT4_P12ihipStream_tbEUlT_E1_NS1_11comp_targetILNS1_3genE10ELNS1_11target_archE1200ELNS1_3gpuE4ELNS1_3repE0EEENS1_30default_config_static_selectorELNS0_4arch9wavefront6targetE0EEEvSF_,comdat
	.protected	_ZN7rocprim17ROCPRIM_400000_NS6detail17trampoline_kernelINS0_14default_configENS1_22reduce_config_selectorIlEEZNS1_11reduce_implILb1ES3_PlS7_lN6thrust23THRUST_200600_302600_NS4plusIlEEEE10hipError_tPvRmT1_T2_T3_mT4_P12ihipStream_tbEUlT_E1_NS1_11comp_targetILNS1_3genE10ELNS1_11target_archE1200ELNS1_3gpuE4ELNS1_3repE0EEENS1_30default_config_static_selectorELNS0_4arch9wavefront6targetE0EEEvSF_ ; -- Begin function _ZN7rocprim17ROCPRIM_400000_NS6detail17trampoline_kernelINS0_14default_configENS1_22reduce_config_selectorIlEEZNS1_11reduce_implILb1ES3_PlS7_lN6thrust23THRUST_200600_302600_NS4plusIlEEEE10hipError_tPvRmT1_T2_T3_mT4_P12ihipStream_tbEUlT_E1_NS1_11comp_targetILNS1_3genE10ELNS1_11target_archE1200ELNS1_3gpuE4ELNS1_3repE0EEENS1_30default_config_static_selectorELNS0_4arch9wavefront6targetE0EEEvSF_
	.globl	_ZN7rocprim17ROCPRIM_400000_NS6detail17trampoline_kernelINS0_14default_configENS1_22reduce_config_selectorIlEEZNS1_11reduce_implILb1ES3_PlS7_lN6thrust23THRUST_200600_302600_NS4plusIlEEEE10hipError_tPvRmT1_T2_T3_mT4_P12ihipStream_tbEUlT_E1_NS1_11comp_targetILNS1_3genE10ELNS1_11target_archE1200ELNS1_3gpuE4ELNS1_3repE0EEENS1_30default_config_static_selectorELNS0_4arch9wavefront6targetE0EEEvSF_
	.p2align	8
	.type	_ZN7rocprim17ROCPRIM_400000_NS6detail17trampoline_kernelINS0_14default_configENS1_22reduce_config_selectorIlEEZNS1_11reduce_implILb1ES3_PlS7_lN6thrust23THRUST_200600_302600_NS4plusIlEEEE10hipError_tPvRmT1_T2_T3_mT4_P12ihipStream_tbEUlT_E1_NS1_11comp_targetILNS1_3genE10ELNS1_11target_archE1200ELNS1_3gpuE4ELNS1_3repE0EEENS1_30default_config_static_selectorELNS0_4arch9wavefront6targetE0EEEvSF_,@function
_ZN7rocprim17ROCPRIM_400000_NS6detail17trampoline_kernelINS0_14default_configENS1_22reduce_config_selectorIlEEZNS1_11reduce_implILb1ES3_PlS7_lN6thrust23THRUST_200600_302600_NS4plusIlEEEE10hipError_tPvRmT1_T2_T3_mT4_P12ihipStream_tbEUlT_E1_NS1_11comp_targetILNS1_3genE10ELNS1_11target_archE1200ELNS1_3gpuE4ELNS1_3repE0EEENS1_30default_config_static_selectorELNS0_4arch9wavefront6targetE0EEEvSF_: ; @_ZN7rocprim17ROCPRIM_400000_NS6detail17trampoline_kernelINS0_14default_configENS1_22reduce_config_selectorIlEEZNS1_11reduce_implILb1ES3_PlS7_lN6thrust23THRUST_200600_302600_NS4plusIlEEEE10hipError_tPvRmT1_T2_T3_mT4_P12ihipStream_tbEUlT_E1_NS1_11comp_targetILNS1_3genE10ELNS1_11target_archE1200ELNS1_3gpuE4ELNS1_3repE0EEENS1_30default_config_static_selectorELNS0_4arch9wavefront6targetE0EEEvSF_
; %bb.0:
	.section	.rodata,"a",@progbits
	.p2align	6, 0x0
	.amdhsa_kernel _ZN7rocprim17ROCPRIM_400000_NS6detail17trampoline_kernelINS0_14default_configENS1_22reduce_config_selectorIlEEZNS1_11reduce_implILb1ES3_PlS7_lN6thrust23THRUST_200600_302600_NS4plusIlEEEE10hipError_tPvRmT1_T2_T3_mT4_P12ihipStream_tbEUlT_E1_NS1_11comp_targetILNS1_3genE10ELNS1_11target_archE1200ELNS1_3gpuE4ELNS1_3repE0EEENS1_30default_config_static_selectorELNS0_4arch9wavefront6targetE0EEEvSF_
		.amdhsa_group_segment_fixed_size 0
		.amdhsa_private_segment_fixed_size 0
		.amdhsa_kernarg_size 48
		.amdhsa_user_sgpr_count 2
		.amdhsa_user_sgpr_dispatch_ptr 0
		.amdhsa_user_sgpr_queue_ptr 0
		.amdhsa_user_sgpr_kernarg_segment_ptr 1
		.amdhsa_user_sgpr_dispatch_id 0
		.amdhsa_user_sgpr_private_segment_size 0
		.amdhsa_wavefront_size32 1
		.amdhsa_uses_dynamic_stack 0
		.amdhsa_enable_private_segment 0
		.amdhsa_system_sgpr_workgroup_id_x 1
		.amdhsa_system_sgpr_workgroup_id_y 0
		.amdhsa_system_sgpr_workgroup_id_z 0
		.amdhsa_system_sgpr_workgroup_info 0
		.amdhsa_system_vgpr_workitem_id 0
		.amdhsa_next_free_vgpr 1
		.amdhsa_next_free_sgpr 1
		.amdhsa_reserve_vcc 0
		.amdhsa_float_round_mode_32 0
		.amdhsa_float_round_mode_16_64 0
		.amdhsa_float_denorm_mode_32 3
		.amdhsa_float_denorm_mode_16_64 3
		.amdhsa_fp16_overflow 0
		.amdhsa_workgroup_processor_mode 1
		.amdhsa_memory_ordered 1
		.amdhsa_forward_progress 1
		.amdhsa_inst_pref_size 0
		.amdhsa_round_robin_scheduling 0
		.amdhsa_exception_fp_ieee_invalid_op 0
		.amdhsa_exception_fp_denorm_src 0
		.amdhsa_exception_fp_ieee_div_zero 0
		.amdhsa_exception_fp_ieee_overflow 0
		.amdhsa_exception_fp_ieee_underflow 0
		.amdhsa_exception_fp_ieee_inexact 0
		.amdhsa_exception_int_div_zero 0
	.end_amdhsa_kernel
	.section	.text._ZN7rocprim17ROCPRIM_400000_NS6detail17trampoline_kernelINS0_14default_configENS1_22reduce_config_selectorIlEEZNS1_11reduce_implILb1ES3_PlS7_lN6thrust23THRUST_200600_302600_NS4plusIlEEEE10hipError_tPvRmT1_T2_T3_mT4_P12ihipStream_tbEUlT_E1_NS1_11comp_targetILNS1_3genE10ELNS1_11target_archE1200ELNS1_3gpuE4ELNS1_3repE0EEENS1_30default_config_static_selectorELNS0_4arch9wavefront6targetE0EEEvSF_,"axG",@progbits,_ZN7rocprim17ROCPRIM_400000_NS6detail17trampoline_kernelINS0_14default_configENS1_22reduce_config_selectorIlEEZNS1_11reduce_implILb1ES3_PlS7_lN6thrust23THRUST_200600_302600_NS4plusIlEEEE10hipError_tPvRmT1_T2_T3_mT4_P12ihipStream_tbEUlT_E1_NS1_11comp_targetILNS1_3genE10ELNS1_11target_archE1200ELNS1_3gpuE4ELNS1_3repE0EEENS1_30default_config_static_selectorELNS0_4arch9wavefront6targetE0EEEvSF_,comdat
.Lfunc_end62:
	.size	_ZN7rocprim17ROCPRIM_400000_NS6detail17trampoline_kernelINS0_14default_configENS1_22reduce_config_selectorIlEEZNS1_11reduce_implILb1ES3_PlS7_lN6thrust23THRUST_200600_302600_NS4plusIlEEEE10hipError_tPvRmT1_T2_T3_mT4_P12ihipStream_tbEUlT_E1_NS1_11comp_targetILNS1_3genE10ELNS1_11target_archE1200ELNS1_3gpuE4ELNS1_3repE0EEENS1_30default_config_static_selectorELNS0_4arch9wavefront6targetE0EEEvSF_, .Lfunc_end62-_ZN7rocprim17ROCPRIM_400000_NS6detail17trampoline_kernelINS0_14default_configENS1_22reduce_config_selectorIlEEZNS1_11reduce_implILb1ES3_PlS7_lN6thrust23THRUST_200600_302600_NS4plusIlEEEE10hipError_tPvRmT1_T2_T3_mT4_P12ihipStream_tbEUlT_E1_NS1_11comp_targetILNS1_3genE10ELNS1_11target_archE1200ELNS1_3gpuE4ELNS1_3repE0EEENS1_30default_config_static_selectorELNS0_4arch9wavefront6targetE0EEEvSF_
                                        ; -- End function
	.set _ZN7rocprim17ROCPRIM_400000_NS6detail17trampoline_kernelINS0_14default_configENS1_22reduce_config_selectorIlEEZNS1_11reduce_implILb1ES3_PlS7_lN6thrust23THRUST_200600_302600_NS4plusIlEEEE10hipError_tPvRmT1_T2_T3_mT4_P12ihipStream_tbEUlT_E1_NS1_11comp_targetILNS1_3genE10ELNS1_11target_archE1200ELNS1_3gpuE4ELNS1_3repE0EEENS1_30default_config_static_selectorELNS0_4arch9wavefront6targetE0EEEvSF_.num_vgpr, 0
	.set _ZN7rocprim17ROCPRIM_400000_NS6detail17trampoline_kernelINS0_14default_configENS1_22reduce_config_selectorIlEEZNS1_11reduce_implILb1ES3_PlS7_lN6thrust23THRUST_200600_302600_NS4plusIlEEEE10hipError_tPvRmT1_T2_T3_mT4_P12ihipStream_tbEUlT_E1_NS1_11comp_targetILNS1_3genE10ELNS1_11target_archE1200ELNS1_3gpuE4ELNS1_3repE0EEENS1_30default_config_static_selectorELNS0_4arch9wavefront6targetE0EEEvSF_.num_agpr, 0
	.set _ZN7rocprim17ROCPRIM_400000_NS6detail17trampoline_kernelINS0_14default_configENS1_22reduce_config_selectorIlEEZNS1_11reduce_implILb1ES3_PlS7_lN6thrust23THRUST_200600_302600_NS4plusIlEEEE10hipError_tPvRmT1_T2_T3_mT4_P12ihipStream_tbEUlT_E1_NS1_11comp_targetILNS1_3genE10ELNS1_11target_archE1200ELNS1_3gpuE4ELNS1_3repE0EEENS1_30default_config_static_selectorELNS0_4arch9wavefront6targetE0EEEvSF_.numbered_sgpr, 0
	.set _ZN7rocprim17ROCPRIM_400000_NS6detail17trampoline_kernelINS0_14default_configENS1_22reduce_config_selectorIlEEZNS1_11reduce_implILb1ES3_PlS7_lN6thrust23THRUST_200600_302600_NS4plusIlEEEE10hipError_tPvRmT1_T2_T3_mT4_P12ihipStream_tbEUlT_E1_NS1_11comp_targetILNS1_3genE10ELNS1_11target_archE1200ELNS1_3gpuE4ELNS1_3repE0EEENS1_30default_config_static_selectorELNS0_4arch9wavefront6targetE0EEEvSF_.num_named_barrier, 0
	.set _ZN7rocprim17ROCPRIM_400000_NS6detail17trampoline_kernelINS0_14default_configENS1_22reduce_config_selectorIlEEZNS1_11reduce_implILb1ES3_PlS7_lN6thrust23THRUST_200600_302600_NS4plusIlEEEE10hipError_tPvRmT1_T2_T3_mT4_P12ihipStream_tbEUlT_E1_NS1_11comp_targetILNS1_3genE10ELNS1_11target_archE1200ELNS1_3gpuE4ELNS1_3repE0EEENS1_30default_config_static_selectorELNS0_4arch9wavefront6targetE0EEEvSF_.private_seg_size, 0
	.set _ZN7rocprim17ROCPRIM_400000_NS6detail17trampoline_kernelINS0_14default_configENS1_22reduce_config_selectorIlEEZNS1_11reduce_implILb1ES3_PlS7_lN6thrust23THRUST_200600_302600_NS4plusIlEEEE10hipError_tPvRmT1_T2_T3_mT4_P12ihipStream_tbEUlT_E1_NS1_11comp_targetILNS1_3genE10ELNS1_11target_archE1200ELNS1_3gpuE4ELNS1_3repE0EEENS1_30default_config_static_selectorELNS0_4arch9wavefront6targetE0EEEvSF_.uses_vcc, 0
	.set _ZN7rocprim17ROCPRIM_400000_NS6detail17trampoline_kernelINS0_14default_configENS1_22reduce_config_selectorIlEEZNS1_11reduce_implILb1ES3_PlS7_lN6thrust23THRUST_200600_302600_NS4plusIlEEEE10hipError_tPvRmT1_T2_T3_mT4_P12ihipStream_tbEUlT_E1_NS1_11comp_targetILNS1_3genE10ELNS1_11target_archE1200ELNS1_3gpuE4ELNS1_3repE0EEENS1_30default_config_static_selectorELNS0_4arch9wavefront6targetE0EEEvSF_.uses_flat_scratch, 0
	.set _ZN7rocprim17ROCPRIM_400000_NS6detail17trampoline_kernelINS0_14default_configENS1_22reduce_config_selectorIlEEZNS1_11reduce_implILb1ES3_PlS7_lN6thrust23THRUST_200600_302600_NS4plusIlEEEE10hipError_tPvRmT1_T2_T3_mT4_P12ihipStream_tbEUlT_E1_NS1_11comp_targetILNS1_3genE10ELNS1_11target_archE1200ELNS1_3gpuE4ELNS1_3repE0EEENS1_30default_config_static_selectorELNS0_4arch9wavefront6targetE0EEEvSF_.has_dyn_sized_stack, 0
	.set _ZN7rocprim17ROCPRIM_400000_NS6detail17trampoline_kernelINS0_14default_configENS1_22reduce_config_selectorIlEEZNS1_11reduce_implILb1ES3_PlS7_lN6thrust23THRUST_200600_302600_NS4plusIlEEEE10hipError_tPvRmT1_T2_T3_mT4_P12ihipStream_tbEUlT_E1_NS1_11comp_targetILNS1_3genE10ELNS1_11target_archE1200ELNS1_3gpuE4ELNS1_3repE0EEENS1_30default_config_static_selectorELNS0_4arch9wavefront6targetE0EEEvSF_.has_recursion, 0
	.set _ZN7rocprim17ROCPRIM_400000_NS6detail17trampoline_kernelINS0_14default_configENS1_22reduce_config_selectorIlEEZNS1_11reduce_implILb1ES3_PlS7_lN6thrust23THRUST_200600_302600_NS4plusIlEEEE10hipError_tPvRmT1_T2_T3_mT4_P12ihipStream_tbEUlT_E1_NS1_11comp_targetILNS1_3genE10ELNS1_11target_archE1200ELNS1_3gpuE4ELNS1_3repE0EEENS1_30default_config_static_selectorELNS0_4arch9wavefront6targetE0EEEvSF_.has_indirect_call, 0
	.section	.AMDGPU.csdata,"",@progbits
; Kernel info:
; codeLenInByte = 0
; TotalNumSgprs: 0
; NumVgprs: 0
; ScratchSize: 0
; MemoryBound: 0
; FloatMode: 240
; IeeeMode: 1
; LDSByteSize: 0 bytes/workgroup (compile time only)
; SGPRBlocks: 0
; VGPRBlocks: 0
; NumSGPRsForWavesPerEU: 1
; NumVGPRsForWavesPerEU: 1
; Occupancy: 16
; WaveLimiterHint : 0
; COMPUTE_PGM_RSRC2:SCRATCH_EN: 0
; COMPUTE_PGM_RSRC2:USER_SGPR: 2
; COMPUTE_PGM_RSRC2:TRAP_HANDLER: 0
; COMPUTE_PGM_RSRC2:TGID_X_EN: 1
; COMPUTE_PGM_RSRC2:TGID_Y_EN: 0
; COMPUTE_PGM_RSRC2:TGID_Z_EN: 0
; COMPUTE_PGM_RSRC2:TIDIG_COMP_CNT: 0
	.section	.text._ZN7rocprim17ROCPRIM_400000_NS6detail17trampoline_kernelINS0_14default_configENS1_22reduce_config_selectorIlEEZNS1_11reduce_implILb1ES3_PlS7_lN6thrust23THRUST_200600_302600_NS4plusIlEEEE10hipError_tPvRmT1_T2_T3_mT4_P12ihipStream_tbEUlT_E1_NS1_11comp_targetILNS1_3genE9ELNS1_11target_archE1100ELNS1_3gpuE3ELNS1_3repE0EEENS1_30default_config_static_selectorELNS0_4arch9wavefront6targetE0EEEvSF_,"axG",@progbits,_ZN7rocprim17ROCPRIM_400000_NS6detail17trampoline_kernelINS0_14default_configENS1_22reduce_config_selectorIlEEZNS1_11reduce_implILb1ES3_PlS7_lN6thrust23THRUST_200600_302600_NS4plusIlEEEE10hipError_tPvRmT1_T2_T3_mT4_P12ihipStream_tbEUlT_E1_NS1_11comp_targetILNS1_3genE9ELNS1_11target_archE1100ELNS1_3gpuE3ELNS1_3repE0EEENS1_30default_config_static_selectorELNS0_4arch9wavefront6targetE0EEEvSF_,comdat
	.protected	_ZN7rocprim17ROCPRIM_400000_NS6detail17trampoline_kernelINS0_14default_configENS1_22reduce_config_selectorIlEEZNS1_11reduce_implILb1ES3_PlS7_lN6thrust23THRUST_200600_302600_NS4plusIlEEEE10hipError_tPvRmT1_T2_T3_mT4_P12ihipStream_tbEUlT_E1_NS1_11comp_targetILNS1_3genE9ELNS1_11target_archE1100ELNS1_3gpuE3ELNS1_3repE0EEENS1_30default_config_static_selectorELNS0_4arch9wavefront6targetE0EEEvSF_ ; -- Begin function _ZN7rocprim17ROCPRIM_400000_NS6detail17trampoline_kernelINS0_14default_configENS1_22reduce_config_selectorIlEEZNS1_11reduce_implILb1ES3_PlS7_lN6thrust23THRUST_200600_302600_NS4plusIlEEEE10hipError_tPvRmT1_T2_T3_mT4_P12ihipStream_tbEUlT_E1_NS1_11comp_targetILNS1_3genE9ELNS1_11target_archE1100ELNS1_3gpuE3ELNS1_3repE0EEENS1_30default_config_static_selectorELNS0_4arch9wavefront6targetE0EEEvSF_
	.globl	_ZN7rocprim17ROCPRIM_400000_NS6detail17trampoline_kernelINS0_14default_configENS1_22reduce_config_selectorIlEEZNS1_11reduce_implILb1ES3_PlS7_lN6thrust23THRUST_200600_302600_NS4plusIlEEEE10hipError_tPvRmT1_T2_T3_mT4_P12ihipStream_tbEUlT_E1_NS1_11comp_targetILNS1_3genE9ELNS1_11target_archE1100ELNS1_3gpuE3ELNS1_3repE0EEENS1_30default_config_static_selectorELNS0_4arch9wavefront6targetE0EEEvSF_
	.p2align	8
	.type	_ZN7rocprim17ROCPRIM_400000_NS6detail17trampoline_kernelINS0_14default_configENS1_22reduce_config_selectorIlEEZNS1_11reduce_implILb1ES3_PlS7_lN6thrust23THRUST_200600_302600_NS4plusIlEEEE10hipError_tPvRmT1_T2_T3_mT4_P12ihipStream_tbEUlT_E1_NS1_11comp_targetILNS1_3genE9ELNS1_11target_archE1100ELNS1_3gpuE3ELNS1_3repE0EEENS1_30default_config_static_selectorELNS0_4arch9wavefront6targetE0EEEvSF_,@function
_ZN7rocprim17ROCPRIM_400000_NS6detail17trampoline_kernelINS0_14default_configENS1_22reduce_config_selectorIlEEZNS1_11reduce_implILb1ES3_PlS7_lN6thrust23THRUST_200600_302600_NS4plusIlEEEE10hipError_tPvRmT1_T2_T3_mT4_P12ihipStream_tbEUlT_E1_NS1_11comp_targetILNS1_3genE9ELNS1_11target_archE1100ELNS1_3gpuE3ELNS1_3repE0EEENS1_30default_config_static_selectorELNS0_4arch9wavefront6targetE0EEEvSF_: ; @_ZN7rocprim17ROCPRIM_400000_NS6detail17trampoline_kernelINS0_14default_configENS1_22reduce_config_selectorIlEEZNS1_11reduce_implILb1ES3_PlS7_lN6thrust23THRUST_200600_302600_NS4plusIlEEEE10hipError_tPvRmT1_T2_T3_mT4_P12ihipStream_tbEUlT_E1_NS1_11comp_targetILNS1_3genE9ELNS1_11target_archE1100ELNS1_3gpuE3ELNS1_3repE0EEENS1_30default_config_static_selectorELNS0_4arch9wavefront6targetE0EEEvSF_
; %bb.0:
	.section	.rodata,"a",@progbits
	.p2align	6, 0x0
	.amdhsa_kernel _ZN7rocprim17ROCPRIM_400000_NS6detail17trampoline_kernelINS0_14default_configENS1_22reduce_config_selectorIlEEZNS1_11reduce_implILb1ES3_PlS7_lN6thrust23THRUST_200600_302600_NS4plusIlEEEE10hipError_tPvRmT1_T2_T3_mT4_P12ihipStream_tbEUlT_E1_NS1_11comp_targetILNS1_3genE9ELNS1_11target_archE1100ELNS1_3gpuE3ELNS1_3repE0EEENS1_30default_config_static_selectorELNS0_4arch9wavefront6targetE0EEEvSF_
		.amdhsa_group_segment_fixed_size 0
		.amdhsa_private_segment_fixed_size 0
		.amdhsa_kernarg_size 48
		.amdhsa_user_sgpr_count 2
		.amdhsa_user_sgpr_dispatch_ptr 0
		.amdhsa_user_sgpr_queue_ptr 0
		.amdhsa_user_sgpr_kernarg_segment_ptr 1
		.amdhsa_user_sgpr_dispatch_id 0
		.amdhsa_user_sgpr_private_segment_size 0
		.amdhsa_wavefront_size32 1
		.amdhsa_uses_dynamic_stack 0
		.amdhsa_enable_private_segment 0
		.amdhsa_system_sgpr_workgroup_id_x 1
		.amdhsa_system_sgpr_workgroup_id_y 0
		.amdhsa_system_sgpr_workgroup_id_z 0
		.amdhsa_system_sgpr_workgroup_info 0
		.amdhsa_system_vgpr_workitem_id 0
		.amdhsa_next_free_vgpr 1
		.amdhsa_next_free_sgpr 1
		.amdhsa_reserve_vcc 0
		.amdhsa_float_round_mode_32 0
		.amdhsa_float_round_mode_16_64 0
		.amdhsa_float_denorm_mode_32 3
		.amdhsa_float_denorm_mode_16_64 3
		.amdhsa_fp16_overflow 0
		.amdhsa_workgroup_processor_mode 1
		.amdhsa_memory_ordered 1
		.amdhsa_forward_progress 1
		.amdhsa_inst_pref_size 0
		.amdhsa_round_robin_scheduling 0
		.amdhsa_exception_fp_ieee_invalid_op 0
		.amdhsa_exception_fp_denorm_src 0
		.amdhsa_exception_fp_ieee_div_zero 0
		.amdhsa_exception_fp_ieee_overflow 0
		.amdhsa_exception_fp_ieee_underflow 0
		.amdhsa_exception_fp_ieee_inexact 0
		.amdhsa_exception_int_div_zero 0
	.end_amdhsa_kernel
	.section	.text._ZN7rocprim17ROCPRIM_400000_NS6detail17trampoline_kernelINS0_14default_configENS1_22reduce_config_selectorIlEEZNS1_11reduce_implILb1ES3_PlS7_lN6thrust23THRUST_200600_302600_NS4plusIlEEEE10hipError_tPvRmT1_T2_T3_mT4_P12ihipStream_tbEUlT_E1_NS1_11comp_targetILNS1_3genE9ELNS1_11target_archE1100ELNS1_3gpuE3ELNS1_3repE0EEENS1_30default_config_static_selectorELNS0_4arch9wavefront6targetE0EEEvSF_,"axG",@progbits,_ZN7rocprim17ROCPRIM_400000_NS6detail17trampoline_kernelINS0_14default_configENS1_22reduce_config_selectorIlEEZNS1_11reduce_implILb1ES3_PlS7_lN6thrust23THRUST_200600_302600_NS4plusIlEEEE10hipError_tPvRmT1_T2_T3_mT4_P12ihipStream_tbEUlT_E1_NS1_11comp_targetILNS1_3genE9ELNS1_11target_archE1100ELNS1_3gpuE3ELNS1_3repE0EEENS1_30default_config_static_selectorELNS0_4arch9wavefront6targetE0EEEvSF_,comdat
.Lfunc_end63:
	.size	_ZN7rocprim17ROCPRIM_400000_NS6detail17trampoline_kernelINS0_14default_configENS1_22reduce_config_selectorIlEEZNS1_11reduce_implILb1ES3_PlS7_lN6thrust23THRUST_200600_302600_NS4plusIlEEEE10hipError_tPvRmT1_T2_T3_mT4_P12ihipStream_tbEUlT_E1_NS1_11comp_targetILNS1_3genE9ELNS1_11target_archE1100ELNS1_3gpuE3ELNS1_3repE0EEENS1_30default_config_static_selectorELNS0_4arch9wavefront6targetE0EEEvSF_, .Lfunc_end63-_ZN7rocprim17ROCPRIM_400000_NS6detail17trampoline_kernelINS0_14default_configENS1_22reduce_config_selectorIlEEZNS1_11reduce_implILb1ES3_PlS7_lN6thrust23THRUST_200600_302600_NS4plusIlEEEE10hipError_tPvRmT1_T2_T3_mT4_P12ihipStream_tbEUlT_E1_NS1_11comp_targetILNS1_3genE9ELNS1_11target_archE1100ELNS1_3gpuE3ELNS1_3repE0EEENS1_30default_config_static_selectorELNS0_4arch9wavefront6targetE0EEEvSF_
                                        ; -- End function
	.set _ZN7rocprim17ROCPRIM_400000_NS6detail17trampoline_kernelINS0_14default_configENS1_22reduce_config_selectorIlEEZNS1_11reduce_implILb1ES3_PlS7_lN6thrust23THRUST_200600_302600_NS4plusIlEEEE10hipError_tPvRmT1_T2_T3_mT4_P12ihipStream_tbEUlT_E1_NS1_11comp_targetILNS1_3genE9ELNS1_11target_archE1100ELNS1_3gpuE3ELNS1_3repE0EEENS1_30default_config_static_selectorELNS0_4arch9wavefront6targetE0EEEvSF_.num_vgpr, 0
	.set _ZN7rocprim17ROCPRIM_400000_NS6detail17trampoline_kernelINS0_14default_configENS1_22reduce_config_selectorIlEEZNS1_11reduce_implILb1ES3_PlS7_lN6thrust23THRUST_200600_302600_NS4plusIlEEEE10hipError_tPvRmT1_T2_T3_mT4_P12ihipStream_tbEUlT_E1_NS1_11comp_targetILNS1_3genE9ELNS1_11target_archE1100ELNS1_3gpuE3ELNS1_3repE0EEENS1_30default_config_static_selectorELNS0_4arch9wavefront6targetE0EEEvSF_.num_agpr, 0
	.set _ZN7rocprim17ROCPRIM_400000_NS6detail17trampoline_kernelINS0_14default_configENS1_22reduce_config_selectorIlEEZNS1_11reduce_implILb1ES3_PlS7_lN6thrust23THRUST_200600_302600_NS4plusIlEEEE10hipError_tPvRmT1_T2_T3_mT4_P12ihipStream_tbEUlT_E1_NS1_11comp_targetILNS1_3genE9ELNS1_11target_archE1100ELNS1_3gpuE3ELNS1_3repE0EEENS1_30default_config_static_selectorELNS0_4arch9wavefront6targetE0EEEvSF_.numbered_sgpr, 0
	.set _ZN7rocprim17ROCPRIM_400000_NS6detail17trampoline_kernelINS0_14default_configENS1_22reduce_config_selectorIlEEZNS1_11reduce_implILb1ES3_PlS7_lN6thrust23THRUST_200600_302600_NS4plusIlEEEE10hipError_tPvRmT1_T2_T3_mT4_P12ihipStream_tbEUlT_E1_NS1_11comp_targetILNS1_3genE9ELNS1_11target_archE1100ELNS1_3gpuE3ELNS1_3repE0EEENS1_30default_config_static_selectorELNS0_4arch9wavefront6targetE0EEEvSF_.num_named_barrier, 0
	.set _ZN7rocprim17ROCPRIM_400000_NS6detail17trampoline_kernelINS0_14default_configENS1_22reduce_config_selectorIlEEZNS1_11reduce_implILb1ES3_PlS7_lN6thrust23THRUST_200600_302600_NS4plusIlEEEE10hipError_tPvRmT1_T2_T3_mT4_P12ihipStream_tbEUlT_E1_NS1_11comp_targetILNS1_3genE9ELNS1_11target_archE1100ELNS1_3gpuE3ELNS1_3repE0EEENS1_30default_config_static_selectorELNS0_4arch9wavefront6targetE0EEEvSF_.private_seg_size, 0
	.set _ZN7rocprim17ROCPRIM_400000_NS6detail17trampoline_kernelINS0_14default_configENS1_22reduce_config_selectorIlEEZNS1_11reduce_implILb1ES3_PlS7_lN6thrust23THRUST_200600_302600_NS4plusIlEEEE10hipError_tPvRmT1_T2_T3_mT4_P12ihipStream_tbEUlT_E1_NS1_11comp_targetILNS1_3genE9ELNS1_11target_archE1100ELNS1_3gpuE3ELNS1_3repE0EEENS1_30default_config_static_selectorELNS0_4arch9wavefront6targetE0EEEvSF_.uses_vcc, 0
	.set _ZN7rocprim17ROCPRIM_400000_NS6detail17trampoline_kernelINS0_14default_configENS1_22reduce_config_selectorIlEEZNS1_11reduce_implILb1ES3_PlS7_lN6thrust23THRUST_200600_302600_NS4plusIlEEEE10hipError_tPvRmT1_T2_T3_mT4_P12ihipStream_tbEUlT_E1_NS1_11comp_targetILNS1_3genE9ELNS1_11target_archE1100ELNS1_3gpuE3ELNS1_3repE0EEENS1_30default_config_static_selectorELNS0_4arch9wavefront6targetE0EEEvSF_.uses_flat_scratch, 0
	.set _ZN7rocprim17ROCPRIM_400000_NS6detail17trampoline_kernelINS0_14default_configENS1_22reduce_config_selectorIlEEZNS1_11reduce_implILb1ES3_PlS7_lN6thrust23THRUST_200600_302600_NS4plusIlEEEE10hipError_tPvRmT1_T2_T3_mT4_P12ihipStream_tbEUlT_E1_NS1_11comp_targetILNS1_3genE9ELNS1_11target_archE1100ELNS1_3gpuE3ELNS1_3repE0EEENS1_30default_config_static_selectorELNS0_4arch9wavefront6targetE0EEEvSF_.has_dyn_sized_stack, 0
	.set _ZN7rocprim17ROCPRIM_400000_NS6detail17trampoline_kernelINS0_14default_configENS1_22reduce_config_selectorIlEEZNS1_11reduce_implILb1ES3_PlS7_lN6thrust23THRUST_200600_302600_NS4plusIlEEEE10hipError_tPvRmT1_T2_T3_mT4_P12ihipStream_tbEUlT_E1_NS1_11comp_targetILNS1_3genE9ELNS1_11target_archE1100ELNS1_3gpuE3ELNS1_3repE0EEENS1_30default_config_static_selectorELNS0_4arch9wavefront6targetE0EEEvSF_.has_recursion, 0
	.set _ZN7rocprim17ROCPRIM_400000_NS6detail17trampoline_kernelINS0_14default_configENS1_22reduce_config_selectorIlEEZNS1_11reduce_implILb1ES3_PlS7_lN6thrust23THRUST_200600_302600_NS4plusIlEEEE10hipError_tPvRmT1_T2_T3_mT4_P12ihipStream_tbEUlT_E1_NS1_11comp_targetILNS1_3genE9ELNS1_11target_archE1100ELNS1_3gpuE3ELNS1_3repE0EEENS1_30default_config_static_selectorELNS0_4arch9wavefront6targetE0EEEvSF_.has_indirect_call, 0
	.section	.AMDGPU.csdata,"",@progbits
; Kernel info:
; codeLenInByte = 0
; TotalNumSgprs: 0
; NumVgprs: 0
; ScratchSize: 0
; MemoryBound: 0
; FloatMode: 240
; IeeeMode: 1
; LDSByteSize: 0 bytes/workgroup (compile time only)
; SGPRBlocks: 0
; VGPRBlocks: 0
; NumSGPRsForWavesPerEU: 1
; NumVGPRsForWavesPerEU: 1
; Occupancy: 16
; WaveLimiterHint : 0
; COMPUTE_PGM_RSRC2:SCRATCH_EN: 0
; COMPUTE_PGM_RSRC2:USER_SGPR: 2
; COMPUTE_PGM_RSRC2:TRAP_HANDLER: 0
; COMPUTE_PGM_RSRC2:TGID_X_EN: 1
; COMPUTE_PGM_RSRC2:TGID_Y_EN: 0
; COMPUTE_PGM_RSRC2:TGID_Z_EN: 0
; COMPUTE_PGM_RSRC2:TIDIG_COMP_CNT: 0
	.section	.text._ZN7rocprim17ROCPRIM_400000_NS6detail17trampoline_kernelINS0_14default_configENS1_22reduce_config_selectorIlEEZNS1_11reduce_implILb1ES3_PlS7_lN6thrust23THRUST_200600_302600_NS4plusIlEEEE10hipError_tPvRmT1_T2_T3_mT4_P12ihipStream_tbEUlT_E1_NS1_11comp_targetILNS1_3genE8ELNS1_11target_archE1030ELNS1_3gpuE2ELNS1_3repE0EEENS1_30default_config_static_selectorELNS0_4arch9wavefront6targetE0EEEvSF_,"axG",@progbits,_ZN7rocprim17ROCPRIM_400000_NS6detail17trampoline_kernelINS0_14default_configENS1_22reduce_config_selectorIlEEZNS1_11reduce_implILb1ES3_PlS7_lN6thrust23THRUST_200600_302600_NS4plusIlEEEE10hipError_tPvRmT1_T2_T3_mT4_P12ihipStream_tbEUlT_E1_NS1_11comp_targetILNS1_3genE8ELNS1_11target_archE1030ELNS1_3gpuE2ELNS1_3repE0EEENS1_30default_config_static_selectorELNS0_4arch9wavefront6targetE0EEEvSF_,comdat
	.protected	_ZN7rocprim17ROCPRIM_400000_NS6detail17trampoline_kernelINS0_14default_configENS1_22reduce_config_selectorIlEEZNS1_11reduce_implILb1ES3_PlS7_lN6thrust23THRUST_200600_302600_NS4plusIlEEEE10hipError_tPvRmT1_T2_T3_mT4_P12ihipStream_tbEUlT_E1_NS1_11comp_targetILNS1_3genE8ELNS1_11target_archE1030ELNS1_3gpuE2ELNS1_3repE0EEENS1_30default_config_static_selectorELNS0_4arch9wavefront6targetE0EEEvSF_ ; -- Begin function _ZN7rocprim17ROCPRIM_400000_NS6detail17trampoline_kernelINS0_14default_configENS1_22reduce_config_selectorIlEEZNS1_11reduce_implILb1ES3_PlS7_lN6thrust23THRUST_200600_302600_NS4plusIlEEEE10hipError_tPvRmT1_T2_T3_mT4_P12ihipStream_tbEUlT_E1_NS1_11comp_targetILNS1_3genE8ELNS1_11target_archE1030ELNS1_3gpuE2ELNS1_3repE0EEENS1_30default_config_static_selectorELNS0_4arch9wavefront6targetE0EEEvSF_
	.globl	_ZN7rocprim17ROCPRIM_400000_NS6detail17trampoline_kernelINS0_14default_configENS1_22reduce_config_selectorIlEEZNS1_11reduce_implILb1ES3_PlS7_lN6thrust23THRUST_200600_302600_NS4plusIlEEEE10hipError_tPvRmT1_T2_T3_mT4_P12ihipStream_tbEUlT_E1_NS1_11comp_targetILNS1_3genE8ELNS1_11target_archE1030ELNS1_3gpuE2ELNS1_3repE0EEENS1_30default_config_static_selectorELNS0_4arch9wavefront6targetE0EEEvSF_
	.p2align	8
	.type	_ZN7rocprim17ROCPRIM_400000_NS6detail17trampoline_kernelINS0_14default_configENS1_22reduce_config_selectorIlEEZNS1_11reduce_implILb1ES3_PlS7_lN6thrust23THRUST_200600_302600_NS4plusIlEEEE10hipError_tPvRmT1_T2_T3_mT4_P12ihipStream_tbEUlT_E1_NS1_11comp_targetILNS1_3genE8ELNS1_11target_archE1030ELNS1_3gpuE2ELNS1_3repE0EEENS1_30default_config_static_selectorELNS0_4arch9wavefront6targetE0EEEvSF_,@function
_ZN7rocprim17ROCPRIM_400000_NS6detail17trampoline_kernelINS0_14default_configENS1_22reduce_config_selectorIlEEZNS1_11reduce_implILb1ES3_PlS7_lN6thrust23THRUST_200600_302600_NS4plusIlEEEE10hipError_tPvRmT1_T2_T3_mT4_P12ihipStream_tbEUlT_E1_NS1_11comp_targetILNS1_3genE8ELNS1_11target_archE1030ELNS1_3gpuE2ELNS1_3repE0EEENS1_30default_config_static_selectorELNS0_4arch9wavefront6targetE0EEEvSF_: ; @_ZN7rocprim17ROCPRIM_400000_NS6detail17trampoline_kernelINS0_14default_configENS1_22reduce_config_selectorIlEEZNS1_11reduce_implILb1ES3_PlS7_lN6thrust23THRUST_200600_302600_NS4plusIlEEEE10hipError_tPvRmT1_T2_T3_mT4_P12ihipStream_tbEUlT_E1_NS1_11comp_targetILNS1_3genE8ELNS1_11target_archE1030ELNS1_3gpuE2ELNS1_3repE0EEENS1_30default_config_static_selectorELNS0_4arch9wavefront6targetE0EEEvSF_
; %bb.0:
	.section	.rodata,"a",@progbits
	.p2align	6, 0x0
	.amdhsa_kernel _ZN7rocprim17ROCPRIM_400000_NS6detail17trampoline_kernelINS0_14default_configENS1_22reduce_config_selectorIlEEZNS1_11reduce_implILb1ES3_PlS7_lN6thrust23THRUST_200600_302600_NS4plusIlEEEE10hipError_tPvRmT1_T2_T3_mT4_P12ihipStream_tbEUlT_E1_NS1_11comp_targetILNS1_3genE8ELNS1_11target_archE1030ELNS1_3gpuE2ELNS1_3repE0EEENS1_30default_config_static_selectorELNS0_4arch9wavefront6targetE0EEEvSF_
		.amdhsa_group_segment_fixed_size 0
		.amdhsa_private_segment_fixed_size 0
		.amdhsa_kernarg_size 48
		.amdhsa_user_sgpr_count 2
		.amdhsa_user_sgpr_dispatch_ptr 0
		.amdhsa_user_sgpr_queue_ptr 0
		.amdhsa_user_sgpr_kernarg_segment_ptr 1
		.amdhsa_user_sgpr_dispatch_id 0
		.amdhsa_user_sgpr_private_segment_size 0
		.amdhsa_wavefront_size32 1
		.amdhsa_uses_dynamic_stack 0
		.amdhsa_enable_private_segment 0
		.amdhsa_system_sgpr_workgroup_id_x 1
		.amdhsa_system_sgpr_workgroup_id_y 0
		.amdhsa_system_sgpr_workgroup_id_z 0
		.amdhsa_system_sgpr_workgroup_info 0
		.amdhsa_system_vgpr_workitem_id 0
		.amdhsa_next_free_vgpr 1
		.amdhsa_next_free_sgpr 1
		.amdhsa_reserve_vcc 0
		.amdhsa_float_round_mode_32 0
		.amdhsa_float_round_mode_16_64 0
		.amdhsa_float_denorm_mode_32 3
		.amdhsa_float_denorm_mode_16_64 3
		.amdhsa_fp16_overflow 0
		.amdhsa_workgroup_processor_mode 1
		.amdhsa_memory_ordered 1
		.amdhsa_forward_progress 1
		.amdhsa_inst_pref_size 0
		.amdhsa_round_robin_scheduling 0
		.amdhsa_exception_fp_ieee_invalid_op 0
		.amdhsa_exception_fp_denorm_src 0
		.amdhsa_exception_fp_ieee_div_zero 0
		.amdhsa_exception_fp_ieee_overflow 0
		.amdhsa_exception_fp_ieee_underflow 0
		.amdhsa_exception_fp_ieee_inexact 0
		.amdhsa_exception_int_div_zero 0
	.end_amdhsa_kernel
	.section	.text._ZN7rocprim17ROCPRIM_400000_NS6detail17trampoline_kernelINS0_14default_configENS1_22reduce_config_selectorIlEEZNS1_11reduce_implILb1ES3_PlS7_lN6thrust23THRUST_200600_302600_NS4plusIlEEEE10hipError_tPvRmT1_T2_T3_mT4_P12ihipStream_tbEUlT_E1_NS1_11comp_targetILNS1_3genE8ELNS1_11target_archE1030ELNS1_3gpuE2ELNS1_3repE0EEENS1_30default_config_static_selectorELNS0_4arch9wavefront6targetE0EEEvSF_,"axG",@progbits,_ZN7rocprim17ROCPRIM_400000_NS6detail17trampoline_kernelINS0_14default_configENS1_22reduce_config_selectorIlEEZNS1_11reduce_implILb1ES3_PlS7_lN6thrust23THRUST_200600_302600_NS4plusIlEEEE10hipError_tPvRmT1_T2_T3_mT4_P12ihipStream_tbEUlT_E1_NS1_11comp_targetILNS1_3genE8ELNS1_11target_archE1030ELNS1_3gpuE2ELNS1_3repE0EEENS1_30default_config_static_selectorELNS0_4arch9wavefront6targetE0EEEvSF_,comdat
.Lfunc_end64:
	.size	_ZN7rocprim17ROCPRIM_400000_NS6detail17trampoline_kernelINS0_14default_configENS1_22reduce_config_selectorIlEEZNS1_11reduce_implILb1ES3_PlS7_lN6thrust23THRUST_200600_302600_NS4plusIlEEEE10hipError_tPvRmT1_T2_T3_mT4_P12ihipStream_tbEUlT_E1_NS1_11comp_targetILNS1_3genE8ELNS1_11target_archE1030ELNS1_3gpuE2ELNS1_3repE0EEENS1_30default_config_static_selectorELNS0_4arch9wavefront6targetE0EEEvSF_, .Lfunc_end64-_ZN7rocprim17ROCPRIM_400000_NS6detail17trampoline_kernelINS0_14default_configENS1_22reduce_config_selectorIlEEZNS1_11reduce_implILb1ES3_PlS7_lN6thrust23THRUST_200600_302600_NS4plusIlEEEE10hipError_tPvRmT1_T2_T3_mT4_P12ihipStream_tbEUlT_E1_NS1_11comp_targetILNS1_3genE8ELNS1_11target_archE1030ELNS1_3gpuE2ELNS1_3repE0EEENS1_30default_config_static_selectorELNS0_4arch9wavefront6targetE0EEEvSF_
                                        ; -- End function
	.set _ZN7rocprim17ROCPRIM_400000_NS6detail17trampoline_kernelINS0_14default_configENS1_22reduce_config_selectorIlEEZNS1_11reduce_implILb1ES3_PlS7_lN6thrust23THRUST_200600_302600_NS4plusIlEEEE10hipError_tPvRmT1_T2_T3_mT4_P12ihipStream_tbEUlT_E1_NS1_11comp_targetILNS1_3genE8ELNS1_11target_archE1030ELNS1_3gpuE2ELNS1_3repE0EEENS1_30default_config_static_selectorELNS0_4arch9wavefront6targetE0EEEvSF_.num_vgpr, 0
	.set _ZN7rocprim17ROCPRIM_400000_NS6detail17trampoline_kernelINS0_14default_configENS1_22reduce_config_selectorIlEEZNS1_11reduce_implILb1ES3_PlS7_lN6thrust23THRUST_200600_302600_NS4plusIlEEEE10hipError_tPvRmT1_T2_T3_mT4_P12ihipStream_tbEUlT_E1_NS1_11comp_targetILNS1_3genE8ELNS1_11target_archE1030ELNS1_3gpuE2ELNS1_3repE0EEENS1_30default_config_static_selectorELNS0_4arch9wavefront6targetE0EEEvSF_.num_agpr, 0
	.set _ZN7rocprim17ROCPRIM_400000_NS6detail17trampoline_kernelINS0_14default_configENS1_22reduce_config_selectorIlEEZNS1_11reduce_implILb1ES3_PlS7_lN6thrust23THRUST_200600_302600_NS4plusIlEEEE10hipError_tPvRmT1_T2_T3_mT4_P12ihipStream_tbEUlT_E1_NS1_11comp_targetILNS1_3genE8ELNS1_11target_archE1030ELNS1_3gpuE2ELNS1_3repE0EEENS1_30default_config_static_selectorELNS0_4arch9wavefront6targetE0EEEvSF_.numbered_sgpr, 0
	.set _ZN7rocprim17ROCPRIM_400000_NS6detail17trampoline_kernelINS0_14default_configENS1_22reduce_config_selectorIlEEZNS1_11reduce_implILb1ES3_PlS7_lN6thrust23THRUST_200600_302600_NS4plusIlEEEE10hipError_tPvRmT1_T2_T3_mT4_P12ihipStream_tbEUlT_E1_NS1_11comp_targetILNS1_3genE8ELNS1_11target_archE1030ELNS1_3gpuE2ELNS1_3repE0EEENS1_30default_config_static_selectorELNS0_4arch9wavefront6targetE0EEEvSF_.num_named_barrier, 0
	.set _ZN7rocprim17ROCPRIM_400000_NS6detail17trampoline_kernelINS0_14default_configENS1_22reduce_config_selectorIlEEZNS1_11reduce_implILb1ES3_PlS7_lN6thrust23THRUST_200600_302600_NS4plusIlEEEE10hipError_tPvRmT1_T2_T3_mT4_P12ihipStream_tbEUlT_E1_NS1_11comp_targetILNS1_3genE8ELNS1_11target_archE1030ELNS1_3gpuE2ELNS1_3repE0EEENS1_30default_config_static_selectorELNS0_4arch9wavefront6targetE0EEEvSF_.private_seg_size, 0
	.set _ZN7rocprim17ROCPRIM_400000_NS6detail17trampoline_kernelINS0_14default_configENS1_22reduce_config_selectorIlEEZNS1_11reduce_implILb1ES3_PlS7_lN6thrust23THRUST_200600_302600_NS4plusIlEEEE10hipError_tPvRmT1_T2_T3_mT4_P12ihipStream_tbEUlT_E1_NS1_11comp_targetILNS1_3genE8ELNS1_11target_archE1030ELNS1_3gpuE2ELNS1_3repE0EEENS1_30default_config_static_selectorELNS0_4arch9wavefront6targetE0EEEvSF_.uses_vcc, 0
	.set _ZN7rocprim17ROCPRIM_400000_NS6detail17trampoline_kernelINS0_14default_configENS1_22reduce_config_selectorIlEEZNS1_11reduce_implILb1ES3_PlS7_lN6thrust23THRUST_200600_302600_NS4plusIlEEEE10hipError_tPvRmT1_T2_T3_mT4_P12ihipStream_tbEUlT_E1_NS1_11comp_targetILNS1_3genE8ELNS1_11target_archE1030ELNS1_3gpuE2ELNS1_3repE0EEENS1_30default_config_static_selectorELNS0_4arch9wavefront6targetE0EEEvSF_.uses_flat_scratch, 0
	.set _ZN7rocprim17ROCPRIM_400000_NS6detail17trampoline_kernelINS0_14default_configENS1_22reduce_config_selectorIlEEZNS1_11reduce_implILb1ES3_PlS7_lN6thrust23THRUST_200600_302600_NS4plusIlEEEE10hipError_tPvRmT1_T2_T3_mT4_P12ihipStream_tbEUlT_E1_NS1_11comp_targetILNS1_3genE8ELNS1_11target_archE1030ELNS1_3gpuE2ELNS1_3repE0EEENS1_30default_config_static_selectorELNS0_4arch9wavefront6targetE0EEEvSF_.has_dyn_sized_stack, 0
	.set _ZN7rocprim17ROCPRIM_400000_NS6detail17trampoline_kernelINS0_14default_configENS1_22reduce_config_selectorIlEEZNS1_11reduce_implILb1ES3_PlS7_lN6thrust23THRUST_200600_302600_NS4plusIlEEEE10hipError_tPvRmT1_T2_T3_mT4_P12ihipStream_tbEUlT_E1_NS1_11comp_targetILNS1_3genE8ELNS1_11target_archE1030ELNS1_3gpuE2ELNS1_3repE0EEENS1_30default_config_static_selectorELNS0_4arch9wavefront6targetE0EEEvSF_.has_recursion, 0
	.set _ZN7rocprim17ROCPRIM_400000_NS6detail17trampoline_kernelINS0_14default_configENS1_22reduce_config_selectorIlEEZNS1_11reduce_implILb1ES3_PlS7_lN6thrust23THRUST_200600_302600_NS4plusIlEEEE10hipError_tPvRmT1_T2_T3_mT4_P12ihipStream_tbEUlT_E1_NS1_11comp_targetILNS1_3genE8ELNS1_11target_archE1030ELNS1_3gpuE2ELNS1_3repE0EEENS1_30default_config_static_selectorELNS0_4arch9wavefront6targetE0EEEvSF_.has_indirect_call, 0
	.section	.AMDGPU.csdata,"",@progbits
; Kernel info:
; codeLenInByte = 0
; TotalNumSgprs: 0
; NumVgprs: 0
; ScratchSize: 0
; MemoryBound: 0
; FloatMode: 240
; IeeeMode: 1
; LDSByteSize: 0 bytes/workgroup (compile time only)
; SGPRBlocks: 0
; VGPRBlocks: 0
; NumSGPRsForWavesPerEU: 1
; NumVGPRsForWavesPerEU: 1
; Occupancy: 16
; WaveLimiterHint : 0
; COMPUTE_PGM_RSRC2:SCRATCH_EN: 0
; COMPUTE_PGM_RSRC2:USER_SGPR: 2
; COMPUTE_PGM_RSRC2:TRAP_HANDLER: 0
; COMPUTE_PGM_RSRC2:TGID_X_EN: 1
; COMPUTE_PGM_RSRC2:TGID_Y_EN: 0
; COMPUTE_PGM_RSRC2:TGID_Z_EN: 0
; COMPUTE_PGM_RSRC2:TIDIG_COMP_CNT: 0
	.section	.text._ZN7rocprim17ROCPRIM_400000_NS6detail17trampoline_kernelINS0_14default_configENS1_22reduce_config_selectorIlEEZNS1_11reduce_implILb1ES3_N6thrust23THRUST_200600_302600_NS11hip_rocprim26transform_input_iterator_tIlNS8_6detail15normal_iteratorINS8_10device_ptrIiEEEE6is_oddIiEEEPllNS8_4plusIlEEEE10hipError_tPvRmT1_T2_T3_mT4_P12ihipStream_tbEUlT_E0_NS1_11comp_targetILNS1_3genE0ELNS1_11target_archE4294967295ELNS1_3gpuE0ELNS1_3repE0EEENS1_30default_config_static_selectorELNS0_4arch9wavefront6targetE0EEEvSP_,"axG",@progbits,_ZN7rocprim17ROCPRIM_400000_NS6detail17trampoline_kernelINS0_14default_configENS1_22reduce_config_selectorIlEEZNS1_11reduce_implILb1ES3_N6thrust23THRUST_200600_302600_NS11hip_rocprim26transform_input_iterator_tIlNS8_6detail15normal_iteratorINS8_10device_ptrIiEEEE6is_oddIiEEEPllNS8_4plusIlEEEE10hipError_tPvRmT1_T2_T3_mT4_P12ihipStream_tbEUlT_E0_NS1_11comp_targetILNS1_3genE0ELNS1_11target_archE4294967295ELNS1_3gpuE0ELNS1_3repE0EEENS1_30default_config_static_selectorELNS0_4arch9wavefront6targetE0EEEvSP_,comdat
	.protected	_ZN7rocprim17ROCPRIM_400000_NS6detail17trampoline_kernelINS0_14default_configENS1_22reduce_config_selectorIlEEZNS1_11reduce_implILb1ES3_N6thrust23THRUST_200600_302600_NS11hip_rocprim26transform_input_iterator_tIlNS8_6detail15normal_iteratorINS8_10device_ptrIiEEEE6is_oddIiEEEPllNS8_4plusIlEEEE10hipError_tPvRmT1_T2_T3_mT4_P12ihipStream_tbEUlT_E0_NS1_11comp_targetILNS1_3genE0ELNS1_11target_archE4294967295ELNS1_3gpuE0ELNS1_3repE0EEENS1_30default_config_static_selectorELNS0_4arch9wavefront6targetE0EEEvSP_ ; -- Begin function _ZN7rocprim17ROCPRIM_400000_NS6detail17trampoline_kernelINS0_14default_configENS1_22reduce_config_selectorIlEEZNS1_11reduce_implILb1ES3_N6thrust23THRUST_200600_302600_NS11hip_rocprim26transform_input_iterator_tIlNS8_6detail15normal_iteratorINS8_10device_ptrIiEEEE6is_oddIiEEEPllNS8_4plusIlEEEE10hipError_tPvRmT1_T2_T3_mT4_P12ihipStream_tbEUlT_E0_NS1_11comp_targetILNS1_3genE0ELNS1_11target_archE4294967295ELNS1_3gpuE0ELNS1_3repE0EEENS1_30default_config_static_selectorELNS0_4arch9wavefront6targetE0EEEvSP_
	.globl	_ZN7rocprim17ROCPRIM_400000_NS6detail17trampoline_kernelINS0_14default_configENS1_22reduce_config_selectorIlEEZNS1_11reduce_implILb1ES3_N6thrust23THRUST_200600_302600_NS11hip_rocprim26transform_input_iterator_tIlNS8_6detail15normal_iteratorINS8_10device_ptrIiEEEE6is_oddIiEEEPllNS8_4plusIlEEEE10hipError_tPvRmT1_T2_T3_mT4_P12ihipStream_tbEUlT_E0_NS1_11comp_targetILNS1_3genE0ELNS1_11target_archE4294967295ELNS1_3gpuE0ELNS1_3repE0EEENS1_30default_config_static_selectorELNS0_4arch9wavefront6targetE0EEEvSP_
	.p2align	8
	.type	_ZN7rocprim17ROCPRIM_400000_NS6detail17trampoline_kernelINS0_14default_configENS1_22reduce_config_selectorIlEEZNS1_11reduce_implILb1ES3_N6thrust23THRUST_200600_302600_NS11hip_rocprim26transform_input_iterator_tIlNS8_6detail15normal_iteratorINS8_10device_ptrIiEEEE6is_oddIiEEEPllNS8_4plusIlEEEE10hipError_tPvRmT1_T2_T3_mT4_P12ihipStream_tbEUlT_E0_NS1_11comp_targetILNS1_3genE0ELNS1_11target_archE4294967295ELNS1_3gpuE0ELNS1_3repE0EEENS1_30default_config_static_selectorELNS0_4arch9wavefront6targetE0EEEvSP_,@function
_ZN7rocprim17ROCPRIM_400000_NS6detail17trampoline_kernelINS0_14default_configENS1_22reduce_config_selectorIlEEZNS1_11reduce_implILb1ES3_N6thrust23THRUST_200600_302600_NS11hip_rocprim26transform_input_iterator_tIlNS8_6detail15normal_iteratorINS8_10device_ptrIiEEEE6is_oddIiEEEPllNS8_4plusIlEEEE10hipError_tPvRmT1_T2_T3_mT4_P12ihipStream_tbEUlT_E0_NS1_11comp_targetILNS1_3genE0ELNS1_11target_archE4294967295ELNS1_3gpuE0ELNS1_3repE0EEENS1_30default_config_static_selectorELNS0_4arch9wavefront6targetE0EEEvSP_: ; @_ZN7rocprim17ROCPRIM_400000_NS6detail17trampoline_kernelINS0_14default_configENS1_22reduce_config_selectorIlEEZNS1_11reduce_implILb1ES3_N6thrust23THRUST_200600_302600_NS11hip_rocprim26transform_input_iterator_tIlNS8_6detail15normal_iteratorINS8_10device_ptrIiEEEE6is_oddIiEEEPllNS8_4plusIlEEEE10hipError_tPvRmT1_T2_T3_mT4_P12ihipStream_tbEUlT_E0_NS1_11comp_targetILNS1_3genE0ELNS1_11target_archE4294967295ELNS1_3gpuE0ELNS1_3repE0EEENS1_30default_config_static_selectorELNS0_4arch9wavefront6targetE0EEEvSP_
; %bb.0:
	.section	.rodata,"a",@progbits
	.p2align	6, 0x0
	.amdhsa_kernel _ZN7rocprim17ROCPRIM_400000_NS6detail17trampoline_kernelINS0_14default_configENS1_22reduce_config_selectorIlEEZNS1_11reduce_implILb1ES3_N6thrust23THRUST_200600_302600_NS11hip_rocprim26transform_input_iterator_tIlNS8_6detail15normal_iteratorINS8_10device_ptrIiEEEE6is_oddIiEEEPllNS8_4plusIlEEEE10hipError_tPvRmT1_T2_T3_mT4_P12ihipStream_tbEUlT_E0_NS1_11comp_targetILNS1_3genE0ELNS1_11target_archE4294967295ELNS1_3gpuE0ELNS1_3repE0EEENS1_30default_config_static_selectorELNS0_4arch9wavefront6targetE0EEEvSP_
		.amdhsa_group_segment_fixed_size 0
		.amdhsa_private_segment_fixed_size 0
		.amdhsa_kernarg_size 72
		.amdhsa_user_sgpr_count 2
		.amdhsa_user_sgpr_dispatch_ptr 0
		.amdhsa_user_sgpr_queue_ptr 0
		.amdhsa_user_sgpr_kernarg_segment_ptr 1
		.amdhsa_user_sgpr_dispatch_id 0
		.amdhsa_user_sgpr_private_segment_size 0
		.amdhsa_wavefront_size32 1
		.amdhsa_uses_dynamic_stack 0
		.amdhsa_enable_private_segment 0
		.amdhsa_system_sgpr_workgroup_id_x 1
		.amdhsa_system_sgpr_workgroup_id_y 0
		.amdhsa_system_sgpr_workgroup_id_z 0
		.amdhsa_system_sgpr_workgroup_info 0
		.amdhsa_system_vgpr_workitem_id 0
		.amdhsa_next_free_vgpr 1
		.amdhsa_next_free_sgpr 1
		.amdhsa_reserve_vcc 0
		.amdhsa_float_round_mode_32 0
		.amdhsa_float_round_mode_16_64 0
		.amdhsa_float_denorm_mode_32 3
		.amdhsa_float_denorm_mode_16_64 3
		.amdhsa_fp16_overflow 0
		.amdhsa_workgroup_processor_mode 1
		.amdhsa_memory_ordered 1
		.amdhsa_forward_progress 1
		.amdhsa_inst_pref_size 0
		.amdhsa_round_robin_scheduling 0
		.amdhsa_exception_fp_ieee_invalid_op 0
		.amdhsa_exception_fp_denorm_src 0
		.amdhsa_exception_fp_ieee_div_zero 0
		.amdhsa_exception_fp_ieee_overflow 0
		.amdhsa_exception_fp_ieee_underflow 0
		.amdhsa_exception_fp_ieee_inexact 0
		.amdhsa_exception_int_div_zero 0
	.end_amdhsa_kernel
	.section	.text._ZN7rocprim17ROCPRIM_400000_NS6detail17trampoline_kernelINS0_14default_configENS1_22reduce_config_selectorIlEEZNS1_11reduce_implILb1ES3_N6thrust23THRUST_200600_302600_NS11hip_rocprim26transform_input_iterator_tIlNS8_6detail15normal_iteratorINS8_10device_ptrIiEEEE6is_oddIiEEEPllNS8_4plusIlEEEE10hipError_tPvRmT1_T2_T3_mT4_P12ihipStream_tbEUlT_E0_NS1_11comp_targetILNS1_3genE0ELNS1_11target_archE4294967295ELNS1_3gpuE0ELNS1_3repE0EEENS1_30default_config_static_selectorELNS0_4arch9wavefront6targetE0EEEvSP_,"axG",@progbits,_ZN7rocprim17ROCPRIM_400000_NS6detail17trampoline_kernelINS0_14default_configENS1_22reduce_config_selectorIlEEZNS1_11reduce_implILb1ES3_N6thrust23THRUST_200600_302600_NS11hip_rocprim26transform_input_iterator_tIlNS8_6detail15normal_iteratorINS8_10device_ptrIiEEEE6is_oddIiEEEPllNS8_4plusIlEEEE10hipError_tPvRmT1_T2_T3_mT4_P12ihipStream_tbEUlT_E0_NS1_11comp_targetILNS1_3genE0ELNS1_11target_archE4294967295ELNS1_3gpuE0ELNS1_3repE0EEENS1_30default_config_static_selectorELNS0_4arch9wavefront6targetE0EEEvSP_,comdat
.Lfunc_end65:
	.size	_ZN7rocprim17ROCPRIM_400000_NS6detail17trampoline_kernelINS0_14default_configENS1_22reduce_config_selectorIlEEZNS1_11reduce_implILb1ES3_N6thrust23THRUST_200600_302600_NS11hip_rocprim26transform_input_iterator_tIlNS8_6detail15normal_iteratorINS8_10device_ptrIiEEEE6is_oddIiEEEPllNS8_4plusIlEEEE10hipError_tPvRmT1_T2_T3_mT4_P12ihipStream_tbEUlT_E0_NS1_11comp_targetILNS1_3genE0ELNS1_11target_archE4294967295ELNS1_3gpuE0ELNS1_3repE0EEENS1_30default_config_static_selectorELNS0_4arch9wavefront6targetE0EEEvSP_, .Lfunc_end65-_ZN7rocprim17ROCPRIM_400000_NS6detail17trampoline_kernelINS0_14default_configENS1_22reduce_config_selectorIlEEZNS1_11reduce_implILb1ES3_N6thrust23THRUST_200600_302600_NS11hip_rocprim26transform_input_iterator_tIlNS8_6detail15normal_iteratorINS8_10device_ptrIiEEEE6is_oddIiEEEPllNS8_4plusIlEEEE10hipError_tPvRmT1_T2_T3_mT4_P12ihipStream_tbEUlT_E0_NS1_11comp_targetILNS1_3genE0ELNS1_11target_archE4294967295ELNS1_3gpuE0ELNS1_3repE0EEENS1_30default_config_static_selectorELNS0_4arch9wavefront6targetE0EEEvSP_
                                        ; -- End function
	.set _ZN7rocprim17ROCPRIM_400000_NS6detail17trampoline_kernelINS0_14default_configENS1_22reduce_config_selectorIlEEZNS1_11reduce_implILb1ES3_N6thrust23THRUST_200600_302600_NS11hip_rocprim26transform_input_iterator_tIlNS8_6detail15normal_iteratorINS8_10device_ptrIiEEEE6is_oddIiEEEPllNS8_4plusIlEEEE10hipError_tPvRmT1_T2_T3_mT4_P12ihipStream_tbEUlT_E0_NS1_11comp_targetILNS1_3genE0ELNS1_11target_archE4294967295ELNS1_3gpuE0ELNS1_3repE0EEENS1_30default_config_static_selectorELNS0_4arch9wavefront6targetE0EEEvSP_.num_vgpr, 0
	.set _ZN7rocprim17ROCPRIM_400000_NS6detail17trampoline_kernelINS0_14default_configENS1_22reduce_config_selectorIlEEZNS1_11reduce_implILb1ES3_N6thrust23THRUST_200600_302600_NS11hip_rocprim26transform_input_iterator_tIlNS8_6detail15normal_iteratorINS8_10device_ptrIiEEEE6is_oddIiEEEPllNS8_4plusIlEEEE10hipError_tPvRmT1_T2_T3_mT4_P12ihipStream_tbEUlT_E0_NS1_11comp_targetILNS1_3genE0ELNS1_11target_archE4294967295ELNS1_3gpuE0ELNS1_3repE0EEENS1_30default_config_static_selectorELNS0_4arch9wavefront6targetE0EEEvSP_.num_agpr, 0
	.set _ZN7rocprim17ROCPRIM_400000_NS6detail17trampoline_kernelINS0_14default_configENS1_22reduce_config_selectorIlEEZNS1_11reduce_implILb1ES3_N6thrust23THRUST_200600_302600_NS11hip_rocprim26transform_input_iterator_tIlNS8_6detail15normal_iteratorINS8_10device_ptrIiEEEE6is_oddIiEEEPllNS8_4plusIlEEEE10hipError_tPvRmT1_T2_T3_mT4_P12ihipStream_tbEUlT_E0_NS1_11comp_targetILNS1_3genE0ELNS1_11target_archE4294967295ELNS1_3gpuE0ELNS1_3repE0EEENS1_30default_config_static_selectorELNS0_4arch9wavefront6targetE0EEEvSP_.numbered_sgpr, 0
	.set _ZN7rocprim17ROCPRIM_400000_NS6detail17trampoline_kernelINS0_14default_configENS1_22reduce_config_selectorIlEEZNS1_11reduce_implILb1ES3_N6thrust23THRUST_200600_302600_NS11hip_rocprim26transform_input_iterator_tIlNS8_6detail15normal_iteratorINS8_10device_ptrIiEEEE6is_oddIiEEEPllNS8_4plusIlEEEE10hipError_tPvRmT1_T2_T3_mT4_P12ihipStream_tbEUlT_E0_NS1_11comp_targetILNS1_3genE0ELNS1_11target_archE4294967295ELNS1_3gpuE0ELNS1_3repE0EEENS1_30default_config_static_selectorELNS0_4arch9wavefront6targetE0EEEvSP_.num_named_barrier, 0
	.set _ZN7rocprim17ROCPRIM_400000_NS6detail17trampoline_kernelINS0_14default_configENS1_22reduce_config_selectorIlEEZNS1_11reduce_implILb1ES3_N6thrust23THRUST_200600_302600_NS11hip_rocprim26transform_input_iterator_tIlNS8_6detail15normal_iteratorINS8_10device_ptrIiEEEE6is_oddIiEEEPllNS8_4plusIlEEEE10hipError_tPvRmT1_T2_T3_mT4_P12ihipStream_tbEUlT_E0_NS1_11comp_targetILNS1_3genE0ELNS1_11target_archE4294967295ELNS1_3gpuE0ELNS1_3repE0EEENS1_30default_config_static_selectorELNS0_4arch9wavefront6targetE0EEEvSP_.private_seg_size, 0
	.set _ZN7rocprim17ROCPRIM_400000_NS6detail17trampoline_kernelINS0_14default_configENS1_22reduce_config_selectorIlEEZNS1_11reduce_implILb1ES3_N6thrust23THRUST_200600_302600_NS11hip_rocprim26transform_input_iterator_tIlNS8_6detail15normal_iteratorINS8_10device_ptrIiEEEE6is_oddIiEEEPllNS8_4plusIlEEEE10hipError_tPvRmT1_T2_T3_mT4_P12ihipStream_tbEUlT_E0_NS1_11comp_targetILNS1_3genE0ELNS1_11target_archE4294967295ELNS1_3gpuE0ELNS1_3repE0EEENS1_30default_config_static_selectorELNS0_4arch9wavefront6targetE0EEEvSP_.uses_vcc, 0
	.set _ZN7rocprim17ROCPRIM_400000_NS6detail17trampoline_kernelINS0_14default_configENS1_22reduce_config_selectorIlEEZNS1_11reduce_implILb1ES3_N6thrust23THRUST_200600_302600_NS11hip_rocprim26transform_input_iterator_tIlNS8_6detail15normal_iteratorINS8_10device_ptrIiEEEE6is_oddIiEEEPllNS8_4plusIlEEEE10hipError_tPvRmT1_T2_T3_mT4_P12ihipStream_tbEUlT_E0_NS1_11comp_targetILNS1_3genE0ELNS1_11target_archE4294967295ELNS1_3gpuE0ELNS1_3repE0EEENS1_30default_config_static_selectorELNS0_4arch9wavefront6targetE0EEEvSP_.uses_flat_scratch, 0
	.set _ZN7rocprim17ROCPRIM_400000_NS6detail17trampoline_kernelINS0_14default_configENS1_22reduce_config_selectorIlEEZNS1_11reduce_implILb1ES3_N6thrust23THRUST_200600_302600_NS11hip_rocprim26transform_input_iterator_tIlNS8_6detail15normal_iteratorINS8_10device_ptrIiEEEE6is_oddIiEEEPllNS8_4plusIlEEEE10hipError_tPvRmT1_T2_T3_mT4_P12ihipStream_tbEUlT_E0_NS1_11comp_targetILNS1_3genE0ELNS1_11target_archE4294967295ELNS1_3gpuE0ELNS1_3repE0EEENS1_30default_config_static_selectorELNS0_4arch9wavefront6targetE0EEEvSP_.has_dyn_sized_stack, 0
	.set _ZN7rocprim17ROCPRIM_400000_NS6detail17trampoline_kernelINS0_14default_configENS1_22reduce_config_selectorIlEEZNS1_11reduce_implILb1ES3_N6thrust23THRUST_200600_302600_NS11hip_rocprim26transform_input_iterator_tIlNS8_6detail15normal_iteratorINS8_10device_ptrIiEEEE6is_oddIiEEEPllNS8_4plusIlEEEE10hipError_tPvRmT1_T2_T3_mT4_P12ihipStream_tbEUlT_E0_NS1_11comp_targetILNS1_3genE0ELNS1_11target_archE4294967295ELNS1_3gpuE0ELNS1_3repE0EEENS1_30default_config_static_selectorELNS0_4arch9wavefront6targetE0EEEvSP_.has_recursion, 0
	.set _ZN7rocprim17ROCPRIM_400000_NS6detail17trampoline_kernelINS0_14default_configENS1_22reduce_config_selectorIlEEZNS1_11reduce_implILb1ES3_N6thrust23THRUST_200600_302600_NS11hip_rocprim26transform_input_iterator_tIlNS8_6detail15normal_iteratorINS8_10device_ptrIiEEEE6is_oddIiEEEPllNS8_4plusIlEEEE10hipError_tPvRmT1_T2_T3_mT4_P12ihipStream_tbEUlT_E0_NS1_11comp_targetILNS1_3genE0ELNS1_11target_archE4294967295ELNS1_3gpuE0ELNS1_3repE0EEENS1_30default_config_static_selectorELNS0_4arch9wavefront6targetE0EEEvSP_.has_indirect_call, 0
	.section	.AMDGPU.csdata,"",@progbits
; Kernel info:
; codeLenInByte = 0
; TotalNumSgprs: 0
; NumVgprs: 0
; ScratchSize: 0
; MemoryBound: 0
; FloatMode: 240
; IeeeMode: 1
; LDSByteSize: 0 bytes/workgroup (compile time only)
; SGPRBlocks: 0
; VGPRBlocks: 0
; NumSGPRsForWavesPerEU: 1
; NumVGPRsForWavesPerEU: 1
; Occupancy: 16
; WaveLimiterHint : 0
; COMPUTE_PGM_RSRC2:SCRATCH_EN: 0
; COMPUTE_PGM_RSRC2:USER_SGPR: 2
; COMPUTE_PGM_RSRC2:TRAP_HANDLER: 0
; COMPUTE_PGM_RSRC2:TGID_X_EN: 1
; COMPUTE_PGM_RSRC2:TGID_Y_EN: 0
; COMPUTE_PGM_RSRC2:TGID_Z_EN: 0
; COMPUTE_PGM_RSRC2:TIDIG_COMP_CNT: 0
	.section	.text._ZN7rocprim17ROCPRIM_400000_NS6detail17trampoline_kernelINS0_14default_configENS1_22reduce_config_selectorIlEEZNS1_11reduce_implILb1ES3_N6thrust23THRUST_200600_302600_NS11hip_rocprim26transform_input_iterator_tIlNS8_6detail15normal_iteratorINS8_10device_ptrIiEEEE6is_oddIiEEEPllNS8_4plusIlEEEE10hipError_tPvRmT1_T2_T3_mT4_P12ihipStream_tbEUlT_E0_NS1_11comp_targetILNS1_3genE5ELNS1_11target_archE942ELNS1_3gpuE9ELNS1_3repE0EEENS1_30default_config_static_selectorELNS0_4arch9wavefront6targetE0EEEvSP_,"axG",@progbits,_ZN7rocprim17ROCPRIM_400000_NS6detail17trampoline_kernelINS0_14default_configENS1_22reduce_config_selectorIlEEZNS1_11reduce_implILb1ES3_N6thrust23THRUST_200600_302600_NS11hip_rocprim26transform_input_iterator_tIlNS8_6detail15normal_iteratorINS8_10device_ptrIiEEEE6is_oddIiEEEPllNS8_4plusIlEEEE10hipError_tPvRmT1_T2_T3_mT4_P12ihipStream_tbEUlT_E0_NS1_11comp_targetILNS1_3genE5ELNS1_11target_archE942ELNS1_3gpuE9ELNS1_3repE0EEENS1_30default_config_static_selectorELNS0_4arch9wavefront6targetE0EEEvSP_,comdat
	.protected	_ZN7rocprim17ROCPRIM_400000_NS6detail17trampoline_kernelINS0_14default_configENS1_22reduce_config_selectorIlEEZNS1_11reduce_implILb1ES3_N6thrust23THRUST_200600_302600_NS11hip_rocprim26transform_input_iterator_tIlNS8_6detail15normal_iteratorINS8_10device_ptrIiEEEE6is_oddIiEEEPllNS8_4plusIlEEEE10hipError_tPvRmT1_T2_T3_mT4_P12ihipStream_tbEUlT_E0_NS1_11comp_targetILNS1_3genE5ELNS1_11target_archE942ELNS1_3gpuE9ELNS1_3repE0EEENS1_30default_config_static_selectorELNS0_4arch9wavefront6targetE0EEEvSP_ ; -- Begin function _ZN7rocprim17ROCPRIM_400000_NS6detail17trampoline_kernelINS0_14default_configENS1_22reduce_config_selectorIlEEZNS1_11reduce_implILb1ES3_N6thrust23THRUST_200600_302600_NS11hip_rocprim26transform_input_iterator_tIlNS8_6detail15normal_iteratorINS8_10device_ptrIiEEEE6is_oddIiEEEPllNS8_4plusIlEEEE10hipError_tPvRmT1_T2_T3_mT4_P12ihipStream_tbEUlT_E0_NS1_11comp_targetILNS1_3genE5ELNS1_11target_archE942ELNS1_3gpuE9ELNS1_3repE0EEENS1_30default_config_static_selectorELNS0_4arch9wavefront6targetE0EEEvSP_
	.globl	_ZN7rocprim17ROCPRIM_400000_NS6detail17trampoline_kernelINS0_14default_configENS1_22reduce_config_selectorIlEEZNS1_11reduce_implILb1ES3_N6thrust23THRUST_200600_302600_NS11hip_rocprim26transform_input_iterator_tIlNS8_6detail15normal_iteratorINS8_10device_ptrIiEEEE6is_oddIiEEEPllNS8_4plusIlEEEE10hipError_tPvRmT1_T2_T3_mT4_P12ihipStream_tbEUlT_E0_NS1_11comp_targetILNS1_3genE5ELNS1_11target_archE942ELNS1_3gpuE9ELNS1_3repE0EEENS1_30default_config_static_selectorELNS0_4arch9wavefront6targetE0EEEvSP_
	.p2align	8
	.type	_ZN7rocprim17ROCPRIM_400000_NS6detail17trampoline_kernelINS0_14default_configENS1_22reduce_config_selectorIlEEZNS1_11reduce_implILb1ES3_N6thrust23THRUST_200600_302600_NS11hip_rocprim26transform_input_iterator_tIlNS8_6detail15normal_iteratorINS8_10device_ptrIiEEEE6is_oddIiEEEPllNS8_4plusIlEEEE10hipError_tPvRmT1_T2_T3_mT4_P12ihipStream_tbEUlT_E0_NS1_11comp_targetILNS1_3genE5ELNS1_11target_archE942ELNS1_3gpuE9ELNS1_3repE0EEENS1_30default_config_static_selectorELNS0_4arch9wavefront6targetE0EEEvSP_,@function
_ZN7rocprim17ROCPRIM_400000_NS6detail17trampoline_kernelINS0_14default_configENS1_22reduce_config_selectorIlEEZNS1_11reduce_implILb1ES3_N6thrust23THRUST_200600_302600_NS11hip_rocprim26transform_input_iterator_tIlNS8_6detail15normal_iteratorINS8_10device_ptrIiEEEE6is_oddIiEEEPllNS8_4plusIlEEEE10hipError_tPvRmT1_T2_T3_mT4_P12ihipStream_tbEUlT_E0_NS1_11comp_targetILNS1_3genE5ELNS1_11target_archE942ELNS1_3gpuE9ELNS1_3repE0EEENS1_30default_config_static_selectorELNS0_4arch9wavefront6targetE0EEEvSP_: ; @_ZN7rocprim17ROCPRIM_400000_NS6detail17trampoline_kernelINS0_14default_configENS1_22reduce_config_selectorIlEEZNS1_11reduce_implILb1ES3_N6thrust23THRUST_200600_302600_NS11hip_rocprim26transform_input_iterator_tIlNS8_6detail15normal_iteratorINS8_10device_ptrIiEEEE6is_oddIiEEEPllNS8_4plusIlEEEE10hipError_tPvRmT1_T2_T3_mT4_P12ihipStream_tbEUlT_E0_NS1_11comp_targetILNS1_3genE5ELNS1_11target_archE942ELNS1_3gpuE9ELNS1_3repE0EEENS1_30default_config_static_selectorELNS0_4arch9wavefront6targetE0EEEvSP_
; %bb.0:
	.section	.rodata,"a",@progbits
	.p2align	6, 0x0
	.amdhsa_kernel _ZN7rocprim17ROCPRIM_400000_NS6detail17trampoline_kernelINS0_14default_configENS1_22reduce_config_selectorIlEEZNS1_11reduce_implILb1ES3_N6thrust23THRUST_200600_302600_NS11hip_rocprim26transform_input_iterator_tIlNS8_6detail15normal_iteratorINS8_10device_ptrIiEEEE6is_oddIiEEEPllNS8_4plusIlEEEE10hipError_tPvRmT1_T2_T3_mT4_P12ihipStream_tbEUlT_E0_NS1_11comp_targetILNS1_3genE5ELNS1_11target_archE942ELNS1_3gpuE9ELNS1_3repE0EEENS1_30default_config_static_selectorELNS0_4arch9wavefront6targetE0EEEvSP_
		.amdhsa_group_segment_fixed_size 0
		.amdhsa_private_segment_fixed_size 0
		.amdhsa_kernarg_size 72
		.amdhsa_user_sgpr_count 2
		.amdhsa_user_sgpr_dispatch_ptr 0
		.amdhsa_user_sgpr_queue_ptr 0
		.amdhsa_user_sgpr_kernarg_segment_ptr 1
		.amdhsa_user_sgpr_dispatch_id 0
		.amdhsa_user_sgpr_private_segment_size 0
		.amdhsa_wavefront_size32 1
		.amdhsa_uses_dynamic_stack 0
		.amdhsa_enable_private_segment 0
		.amdhsa_system_sgpr_workgroup_id_x 1
		.amdhsa_system_sgpr_workgroup_id_y 0
		.amdhsa_system_sgpr_workgroup_id_z 0
		.amdhsa_system_sgpr_workgroup_info 0
		.amdhsa_system_vgpr_workitem_id 0
		.amdhsa_next_free_vgpr 1
		.amdhsa_next_free_sgpr 1
		.amdhsa_reserve_vcc 0
		.amdhsa_float_round_mode_32 0
		.amdhsa_float_round_mode_16_64 0
		.amdhsa_float_denorm_mode_32 3
		.amdhsa_float_denorm_mode_16_64 3
		.amdhsa_fp16_overflow 0
		.amdhsa_workgroup_processor_mode 1
		.amdhsa_memory_ordered 1
		.amdhsa_forward_progress 1
		.amdhsa_inst_pref_size 0
		.amdhsa_round_robin_scheduling 0
		.amdhsa_exception_fp_ieee_invalid_op 0
		.amdhsa_exception_fp_denorm_src 0
		.amdhsa_exception_fp_ieee_div_zero 0
		.amdhsa_exception_fp_ieee_overflow 0
		.amdhsa_exception_fp_ieee_underflow 0
		.amdhsa_exception_fp_ieee_inexact 0
		.amdhsa_exception_int_div_zero 0
	.end_amdhsa_kernel
	.section	.text._ZN7rocprim17ROCPRIM_400000_NS6detail17trampoline_kernelINS0_14default_configENS1_22reduce_config_selectorIlEEZNS1_11reduce_implILb1ES3_N6thrust23THRUST_200600_302600_NS11hip_rocprim26transform_input_iterator_tIlNS8_6detail15normal_iteratorINS8_10device_ptrIiEEEE6is_oddIiEEEPllNS8_4plusIlEEEE10hipError_tPvRmT1_T2_T3_mT4_P12ihipStream_tbEUlT_E0_NS1_11comp_targetILNS1_3genE5ELNS1_11target_archE942ELNS1_3gpuE9ELNS1_3repE0EEENS1_30default_config_static_selectorELNS0_4arch9wavefront6targetE0EEEvSP_,"axG",@progbits,_ZN7rocprim17ROCPRIM_400000_NS6detail17trampoline_kernelINS0_14default_configENS1_22reduce_config_selectorIlEEZNS1_11reduce_implILb1ES3_N6thrust23THRUST_200600_302600_NS11hip_rocprim26transform_input_iterator_tIlNS8_6detail15normal_iteratorINS8_10device_ptrIiEEEE6is_oddIiEEEPllNS8_4plusIlEEEE10hipError_tPvRmT1_T2_T3_mT4_P12ihipStream_tbEUlT_E0_NS1_11comp_targetILNS1_3genE5ELNS1_11target_archE942ELNS1_3gpuE9ELNS1_3repE0EEENS1_30default_config_static_selectorELNS0_4arch9wavefront6targetE0EEEvSP_,comdat
.Lfunc_end66:
	.size	_ZN7rocprim17ROCPRIM_400000_NS6detail17trampoline_kernelINS0_14default_configENS1_22reduce_config_selectorIlEEZNS1_11reduce_implILb1ES3_N6thrust23THRUST_200600_302600_NS11hip_rocprim26transform_input_iterator_tIlNS8_6detail15normal_iteratorINS8_10device_ptrIiEEEE6is_oddIiEEEPllNS8_4plusIlEEEE10hipError_tPvRmT1_T2_T3_mT4_P12ihipStream_tbEUlT_E0_NS1_11comp_targetILNS1_3genE5ELNS1_11target_archE942ELNS1_3gpuE9ELNS1_3repE0EEENS1_30default_config_static_selectorELNS0_4arch9wavefront6targetE0EEEvSP_, .Lfunc_end66-_ZN7rocprim17ROCPRIM_400000_NS6detail17trampoline_kernelINS0_14default_configENS1_22reduce_config_selectorIlEEZNS1_11reduce_implILb1ES3_N6thrust23THRUST_200600_302600_NS11hip_rocprim26transform_input_iterator_tIlNS8_6detail15normal_iteratorINS8_10device_ptrIiEEEE6is_oddIiEEEPllNS8_4plusIlEEEE10hipError_tPvRmT1_T2_T3_mT4_P12ihipStream_tbEUlT_E0_NS1_11comp_targetILNS1_3genE5ELNS1_11target_archE942ELNS1_3gpuE9ELNS1_3repE0EEENS1_30default_config_static_selectorELNS0_4arch9wavefront6targetE0EEEvSP_
                                        ; -- End function
	.set _ZN7rocprim17ROCPRIM_400000_NS6detail17trampoline_kernelINS0_14default_configENS1_22reduce_config_selectorIlEEZNS1_11reduce_implILb1ES3_N6thrust23THRUST_200600_302600_NS11hip_rocprim26transform_input_iterator_tIlNS8_6detail15normal_iteratorINS8_10device_ptrIiEEEE6is_oddIiEEEPllNS8_4plusIlEEEE10hipError_tPvRmT1_T2_T3_mT4_P12ihipStream_tbEUlT_E0_NS1_11comp_targetILNS1_3genE5ELNS1_11target_archE942ELNS1_3gpuE9ELNS1_3repE0EEENS1_30default_config_static_selectorELNS0_4arch9wavefront6targetE0EEEvSP_.num_vgpr, 0
	.set _ZN7rocprim17ROCPRIM_400000_NS6detail17trampoline_kernelINS0_14default_configENS1_22reduce_config_selectorIlEEZNS1_11reduce_implILb1ES3_N6thrust23THRUST_200600_302600_NS11hip_rocprim26transform_input_iterator_tIlNS8_6detail15normal_iteratorINS8_10device_ptrIiEEEE6is_oddIiEEEPllNS8_4plusIlEEEE10hipError_tPvRmT1_T2_T3_mT4_P12ihipStream_tbEUlT_E0_NS1_11comp_targetILNS1_3genE5ELNS1_11target_archE942ELNS1_3gpuE9ELNS1_3repE0EEENS1_30default_config_static_selectorELNS0_4arch9wavefront6targetE0EEEvSP_.num_agpr, 0
	.set _ZN7rocprim17ROCPRIM_400000_NS6detail17trampoline_kernelINS0_14default_configENS1_22reduce_config_selectorIlEEZNS1_11reduce_implILb1ES3_N6thrust23THRUST_200600_302600_NS11hip_rocprim26transform_input_iterator_tIlNS8_6detail15normal_iteratorINS8_10device_ptrIiEEEE6is_oddIiEEEPllNS8_4plusIlEEEE10hipError_tPvRmT1_T2_T3_mT4_P12ihipStream_tbEUlT_E0_NS1_11comp_targetILNS1_3genE5ELNS1_11target_archE942ELNS1_3gpuE9ELNS1_3repE0EEENS1_30default_config_static_selectorELNS0_4arch9wavefront6targetE0EEEvSP_.numbered_sgpr, 0
	.set _ZN7rocprim17ROCPRIM_400000_NS6detail17trampoline_kernelINS0_14default_configENS1_22reduce_config_selectorIlEEZNS1_11reduce_implILb1ES3_N6thrust23THRUST_200600_302600_NS11hip_rocprim26transform_input_iterator_tIlNS8_6detail15normal_iteratorINS8_10device_ptrIiEEEE6is_oddIiEEEPllNS8_4plusIlEEEE10hipError_tPvRmT1_T2_T3_mT4_P12ihipStream_tbEUlT_E0_NS1_11comp_targetILNS1_3genE5ELNS1_11target_archE942ELNS1_3gpuE9ELNS1_3repE0EEENS1_30default_config_static_selectorELNS0_4arch9wavefront6targetE0EEEvSP_.num_named_barrier, 0
	.set _ZN7rocprim17ROCPRIM_400000_NS6detail17trampoline_kernelINS0_14default_configENS1_22reduce_config_selectorIlEEZNS1_11reduce_implILb1ES3_N6thrust23THRUST_200600_302600_NS11hip_rocprim26transform_input_iterator_tIlNS8_6detail15normal_iteratorINS8_10device_ptrIiEEEE6is_oddIiEEEPllNS8_4plusIlEEEE10hipError_tPvRmT1_T2_T3_mT4_P12ihipStream_tbEUlT_E0_NS1_11comp_targetILNS1_3genE5ELNS1_11target_archE942ELNS1_3gpuE9ELNS1_3repE0EEENS1_30default_config_static_selectorELNS0_4arch9wavefront6targetE0EEEvSP_.private_seg_size, 0
	.set _ZN7rocprim17ROCPRIM_400000_NS6detail17trampoline_kernelINS0_14default_configENS1_22reduce_config_selectorIlEEZNS1_11reduce_implILb1ES3_N6thrust23THRUST_200600_302600_NS11hip_rocprim26transform_input_iterator_tIlNS8_6detail15normal_iteratorINS8_10device_ptrIiEEEE6is_oddIiEEEPllNS8_4plusIlEEEE10hipError_tPvRmT1_T2_T3_mT4_P12ihipStream_tbEUlT_E0_NS1_11comp_targetILNS1_3genE5ELNS1_11target_archE942ELNS1_3gpuE9ELNS1_3repE0EEENS1_30default_config_static_selectorELNS0_4arch9wavefront6targetE0EEEvSP_.uses_vcc, 0
	.set _ZN7rocprim17ROCPRIM_400000_NS6detail17trampoline_kernelINS0_14default_configENS1_22reduce_config_selectorIlEEZNS1_11reduce_implILb1ES3_N6thrust23THRUST_200600_302600_NS11hip_rocprim26transform_input_iterator_tIlNS8_6detail15normal_iteratorINS8_10device_ptrIiEEEE6is_oddIiEEEPllNS8_4plusIlEEEE10hipError_tPvRmT1_T2_T3_mT4_P12ihipStream_tbEUlT_E0_NS1_11comp_targetILNS1_3genE5ELNS1_11target_archE942ELNS1_3gpuE9ELNS1_3repE0EEENS1_30default_config_static_selectorELNS0_4arch9wavefront6targetE0EEEvSP_.uses_flat_scratch, 0
	.set _ZN7rocprim17ROCPRIM_400000_NS6detail17trampoline_kernelINS0_14default_configENS1_22reduce_config_selectorIlEEZNS1_11reduce_implILb1ES3_N6thrust23THRUST_200600_302600_NS11hip_rocprim26transform_input_iterator_tIlNS8_6detail15normal_iteratorINS8_10device_ptrIiEEEE6is_oddIiEEEPllNS8_4plusIlEEEE10hipError_tPvRmT1_T2_T3_mT4_P12ihipStream_tbEUlT_E0_NS1_11comp_targetILNS1_3genE5ELNS1_11target_archE942ELNS1_3gpuE9ELNS1_3repE0EEENS1_30default_config_static_selectorELNS0_4arch9wavefront6targetE0EEEvSP_.has_dyn_sized_stack, 0
	.set _ZN7rocprim17ROCPRIM_400000_NS6detail17trampoline_kernelINS0_14default_configENS1_22reduce_config_selectorIlEEZNS1_11reduce_implILb1ES3_N6thrust23THRUST_200600_302600_NS11hip_rocprim26transform_input_iterator_tIlNS8_6detail15normal_iteratorINS8_10device_ptrIiEEEE6is_oddIiEEEPllNS8_4plusIlEEEE10hipError_tPvRmT1_T2_T3_mT4_P12ihipStream_tbEUlT_E0_NS1_11comp_targetILNS1_3genE5ELNS1_11target_archE942ELNS1_3gpuE9ELNS1_3repE0EEENS1_30default_config_static_selectorELNS0_4arch9wavefront6targetE0EEEvSP_.has_recursion, 0
	.set _ZN7rocprim17ROCPRIM_400000_NS6detail17trampoline_kernelINS0_14default_configENS1_22reduce_config_selectorIlEEZNS1_11reduce_implILb1ES3_N6thrust23THRUST_200600_302600_NS11hip_rocprim26transform_input_iterator_tIlNS8_6detail15normal_iteratorINS8_10device_ptrIiEEEE6is_oddIiEEEPllNS8_4plusIlEEEE10hipError_tPvRmT1_T2_T3_mT4_P12ihipStream_tbEUlT_E0_NS1_11comp_targetILNS1_3genE5ELNS1_11target_archE942ELNS1_3gpuE9ELNS1_3repE0EEENS1_30default_config_static_selectorELNS0_4arch9wavefront6targetE0EEEvSP_.has_indirect_call, 0
	.section	.AMDGPU.csdata,"",@progbits
; Kernel info:
; codeLenInByte = 0
; TotalNumSgprs: 0
; NumVgprs: 0
; ScratchSize: 0
; MemoryBound: 0
; FloatMode: 240
; IeeeMode: 1
; LDSByteSize: 0 bytes/workgroup (compile time only)
; SGPRBlocks: 0
; VGPRBlocks: 0
; NumSGPRsForWavesPerEU: 1
; NumVGPRsForWavesPerEU: 1
; Occupancy: 16
; WaveLimiterHint : 0
; COMPUTE_PGM_RSRC2:SCRATCH_EN: 0
; COMPUTE_PGM_RSRC2:USER_SGPR: 2
; COMPUTE_PGM_RSRC2:TRAP_HANDLER: 0
; COMPUTE_PGM_RSRC2:TGID_X_EN: 1
; COMPUTE_PGM_RSRC2:TGID_Y_EN: 0
; COMPUTE_PGM_RSRC2:TGID_Z_EN: 0
; COMPUTE_PGM_RSRC2:TIDIG_COMP_CNT: 0
	.section	.text._ZN7rocprim17ROCPRIM_400000_NS6detail17trampoline_kernelINS0_14default_configENS1_22reduce_config_selectorIlEEZNS1_11reduce_implILb1ES3_N6thrust23THRUST_200600_302600_NS11hip_rocprim26transform_input_iterator_tIlNS8_6detail15normal_iteratorINS8_10device_ptrIiEEEE6is_oddIiEEEPllNS8_4plusIlEEEE10hipError_tPvRmT1_T2_T3_mT4_P12ihipStream_tbEUlT_E0_NS1_11comp_targetILNS1_3genE4ELNS1_11target_archE910ELNS1_3gpuE8ELNS1_3repE0EEENS1_30default_config_static_selectorELNS0_4arch9wavefront6targetE0EEEvSP_,"axG",@progbits,_ZN7rocprim17ROCPRIM_400000_NS6detail17trampoline_kernelINS0_14default_configENS1_22reduce_config_selectorIlEEZNS1_11reduce_implILb1ES3_N6thrust23THRUST_200600_302600_NS11hip_rocprim26transform_input_iterator_tIlNS8_6detail15normal_iteratorINS8_10device_ptrIiEEEE6is_oddIiEEEPllNS8_4plusIlEEEE10hipError_tPvRmT1_T2_T3_mT4_P12ihipStream_tbEUlT_E0_NS1_11comp_targetILNS1_3genE4ELNS1_11target_archE910ELNS1_3gpuE8ELNS1_3repE0EEENS1_30default_config_static_selectorELNS0_4arch9wavefront6targetE0EEEvSP_,comdat
	.protected	_ZN7rocprim17ROCPRIM_400000_NS6detail17trampoline_kernelINS0_14default_configENS1_22reduce_config_selectorIlEEZNS1_11reduce_implILb1ES3_N6thrust23THRUST_200600_302600_NS11hip_rocprim26transform_input_iterator_tIlNS8_6detail15normal_iteratorINS8_10device_ptrIiEEEE6is_oddIiEEEPllNS8_4plusIlEEEE10hipError_tPvRmT1_T2_T3_mT4_P12ihipStream_tbEUlT_E0_NS1_11comp_targetILNS1_3genE4ELNS1_11target_archE910ELNS1_3gpuE8ELNS1_3repE0EEENS1_30default_config_static_selectorELNS0_4arch9wavefront6targetE0EEEvSP_ ; -- Begin function _ZN7rocprim17ROCPRIM_400000_NS6detail17trampoline_kernelINS0_14default_configENS1_22reduce_config_selectorIlEEZNS1_11reduce_implILb1ES3_N6thrust23THRUST_200600_302600_NS11hip_rocprim26transform_input_iterator_tIlNS8_6detail15normal_iteratorINS8_10device_ptrIiEEEE6is_oddIiEEEPllNS8_4plusIlEEEE10hipError_tPvRmT1_T2_T3_mT4_P12ihipStream_tbEUlT_E0_NS1_11comp_targetILNS1_3genE4ELNS1_11target_archE910ELNS1_3gpuE8ELNS1_3repE0EEENS1_30default_config_static_selectorELNS0_4arch9wavefront6targetE0EEEvSP_
	.globl	_ZN7rocprim17ROCPRIM_400000_NS6detail17trampoline_kernelINS0_14default_configENS1_22reduce_config_selectorIlEEZNS1_11reduce_implILb1ES3_N6thrust23THRUST_200600_302600_NS11hip_rocprim26transform_input_iterator_tIlNS8_6detail15normal_iteratorINS8_10device_ptrIiEEEE6is_oddIiEEEPllNS8_4plusIlEEEE10hipError_tPvRmT1_T2_T3_mT4_P12ihipStream_tbEUlT_E0_NS1_11comp_targetILNS1_3genE4ELNS1_11target_archE910ELNS1_3gpuE8ELNS1_3repE0EEENS1_30default_config_static_selectorELNS0_4arch9wavefront6targetE0EEEvSP_
	.p2align	8
	.type	_ZN7rocprim17ROCPRIM_400000_NS6detail17trampoline_kernelINS0_14default_configENS1_22reduce_config_selectorIlEEZNS1_11reduce_implILb1ES3_N6thrust23THRUST_200600_302600_NS11hip_rocprim26transform_input_iterator_tIlNS8_6detail15normal_iteratorINS8_10device_ptrIiEEEE6is_oddIiEEEPllNS8_4plusIlEEEE10hipError_tPvRmT1_T2_T3_mT4_P12ihipStream_tbEUlT_E0_NS1_11comp_targetILNS1_3genE4ELNS1_11target_archE910ELNS1_3gpuE8ELNS1_3repE0EEENS1_30default_config_static_selectorELNS0_4arch9wavefront6targetE0EEEvSP_,@function
_ZN7rocprim17ROCPRIM_400000_NS6detail17trampoline_kernelINS0_14default_configENS1_22reduce_config_selectorIlEEZNS1_11reduce_implILb1ES3_N6thrust23THRUST_200600_302600_NS11hip_rocprim26transform_input_iterator_tIlNS8_6detail15normal_iteratorINS8_10device_ptrIiEEEE6is_oddIiEEEPllNS8_4plusIlEEEE10hipError_tPvRmT1_T2_T3_mT4_P12ihipStream_tbEUlT_E0_NS1_11comp_targetILNS1_3genE4ELNS1_11target_archE910ELNS1_3gpuE8ELNS1_3repE0EEENS1_30default_config_static_selectorELNS0_4arch9wavefront6targetE0EEEvSP_: ; @_ZN7rocprim17ROCPRIM_400000_NS6detail17trampoline_kernelINS0_14default_configENS1_22reduce_config_selectorIlEEZNS1_11reduce_implILb1ES3_N6thrust23THRUST_200600_302600_NS11hip_rocprim26transform_input_iterator_tIlNS8_6detail15normal_iteratorINS8_10device_ptrIiEEEE6is_oddIiEEEPllNS8_4plusIlEEEE10hipError_tPvRmT1_T2_T3_mT4_P12ihipStream_tbEUlT_E0_NS1_11comp_targetILNS1_3genE4ELNS1_11target_archE910ELNS1_3gpuE8ELNS1_3repE0EEENS1_30default_config_static_selectorELNS0_4arch9wavefront6targetE0EEEvSP_
; %bb.0:
	.section	.rodata,"a",@progbits
	.p2align	6, 0x0
	.amdhsa_kernel _ZN7rocprim17ROCPRIM_400000_NS6detail17trampoline_kernelINS0_14default_configENS1_22reduce_config_selectorIlEEZNS1_11reduce_implILb1ES3_N6thrust23THRUST_200600_302600_NS11hip_rocprim26transform_input_iterator_tIlNS8_6detail15normal_iteratorINS8_10device_ptrIiEEEE6is_oddIiEEEPllNS8_4plusIlEEEE10hipError_tPvRmT1_T2_T3_mT4_P12ihipStream_tbEUlT_E0_NS1_11comp_targetILNS1_3genE4ELNS1_11target_archE910ELNS1_3gpuE8ELNS1_3repE0EEENS1_30default_config_static_selectorELNS0_4arch9wavefront6targetE0EEEvSP_
		.amdhsa_group_segment_fixed_size 0
		.amdhsa_private_segment_fixed_size 0
		.amdhsa_kernarg_size 72
		.amdhsa_user_sgpr_count 2
		.amdhsa_user_sgpr_dispatch_ptr 0
		.amdhsa_user_sgpr_queue_ptr 0
		.amdhsa_user_sgpr_kernarg_segment_ptr 1
		.amdhsa_user_sgpr_dispatch_id 0
		.amdhsa_user_sgpr_private_segment_size 0
		.amdhsa_wavefront_size32 1
		.amdhsa_uses_dynamic_stack 0
		.amdhsa_enable_private_segment 0
		.amdhsa_system_sgpr_workgroup_id_x 1
		.amdhsa_system_sgpr_workgroup_id_y 0
		.amdhsa_system_sgpr_workgroup_id_z 0
		.amdhsa_system_sgpr_workgroup_info 0
		.amdhsa_system_vgpr_workitem_id 0
		.amdhsa_next_free_vgpr 1
		.amdhsa_next_free_sgpr 1
		.amdhsa_reserve_vcc 0
		.amdhsa_float_round_mode_32 0
		.amdhsa_float_round_mode_16_64 0
		.amdhsa_float_denorm_mode_32 3
		.amdhsa_float_denorm_mode_16_64 3
		.amdhsa_fp16_overflow 0
		.amdhsa_workgroup_processor_mode 1
		.amdhsa_memory_ordered 1
		.amdhsa_forward_progress 1
		.amdhsa_inst_pref_size 0
		.amdhsa_round_robin_scheduling 0
		.amdhsa_exception_fp_ieee_invalid_op 0
		.amdhsa_exception_fp_denorm_src 0
		.amdhsa_exception_fp_ieee_div_zero 0
		.amdhsa_exception_fp_ieee_overflow 0
		.amdhsa_exception_fp_ieee_underflow 0
		.amdhsa_exception_fp_ieee_inexact 0
		.amdhsa_exception_int_div_zero 0
	.end_amdhsa_kernel
	.section	.text._ZN7rocprim17ROCPRIM_400000_NS6detail17trampoline_kernelINS0_14default_configENS1_22reduce_config_selectorIlEEZNS1_11reduce_implILb1ES3_N6thrust23THRUST_200600_302600_NS11hip_rocprim26transform_input_iterator_tIlNS8_6detail15normal_iteratorINS8_10device_ptrIiEEEE6is_oddIiEEEPllNS8_4plusIlEEEE10hipError_tPvRmT1_T2_T3_mT4_P12ihipStream_tbEUlT_E0_NS1_11comp_targetILNS1_3genE4ELNS1_11target_archE910ELNS1_3gpuE8ELNS1_3repE0EEENS1_30default_config_static_selectorELNS0_4arch9wavefront6targetE0EEEvSP_,"axG",@progbits,_ZN7rocprim17ROCPRIM_400000_NS6detail17trampoline_kernelINS0_14default_configENS1_22reduce_config_selectorIlEEZNS1_11reduce_implILb1ES3_N6thrust23THRUST_200600_302600_NS11hip_rocprim26transform_input_iterator_tIlNS8_6detail15normal_iteratorINS8_10device_ptrIiEEEE6is_oddIiEEEPllNS8_4plusIlEEEE10hipError_tPvRmT1_T2_T3_mT4_P12ihipStream_tbEUlT_E0_NS1_11comp_targetILNS1_3genE4ELNS1_11target_archE910ELNS1_3gpuE8ELNS1_3repE0EEENS1_30default_config_static_selectorELNS0_4arch9wavefront6targetE0EEEvSP_,comdat
.Lfunc_end67:
	.size	_ZN7rocprim17ROCPRIM_400000_NS6detail17trampoline_kernelINS0_14default_configENS1_22reduce_config_selectorIlEEZNS1_11reduce_implILb1ES3_N6thrust23THRUST_200600_302600_NS11hip_rocprim26transform_input_iterator_tIlNS8_6detail15normal_iteratorINS8_10device_ptrIiEEEE6is_oddIiEEEPllNS8_4plusIlEEEE10hipError_tPvRmT1_T2_T3_mT4_P12ihipStream_tbEUlT_E0_NS1_11comp_targetILNS1_3genE4ELNS1_11target_archE910ELNS1_3gpuE8ELNS1_3repE0EEENS1_30default_config_static_selectorELNS0_4arch9wavefront6targetE0EEEvSP_, .Lfunc_end67-_ZN7rocprim17ROCPRIM_400000_NS6detail17trampoline_kernelINS0_14default_configENS1_22reduce_config_selectorIlEEZNS1_11reduce_implILb1ES3_N6thrust23THRUST_200600_302600_NS11hip_rocprim26transform_input_iterator_tIlNS8_6detail15normal_iteratorINS8_10device_ptrIiEEEE6is_oddIiEEEPllNS8_4plusIlEEEE10hipError_tPvRmT1_T2_T3_mT4_P12ihipStream_tbEUlT_E0_NS1_11comp_targetILNS1_3genE4ELNS1_11target_archE910ELNS1_3gpuE8ELNS1_3repE0EEENS1_30default_config_static_selectorELNS0_4arch9wavefront6targetE0EEEvSP_
                                        ; -- End function
	.set _ZN7rocprim17ROCPRIM_400000_NS6detail17trampoline_kernelINS0_14default_configENS1_22reduce_config_selectorIlEEZNS1_11reduce_implILb1ES3_N6thrust23THRUST_200600_302600_NS11hip_rocprim26transform_input_iterator_tIlNS8_6detail15normal_iteratorINS8_10device_ptrIiEEEE6is_oddIiEEEPllNS8_4plusIlEEEE10hipError_tPvRmT1_T2_T3_mT4_P12ihipStream_tbEUlT_E0_NS1_11comp_targetILNS1_3genE4ELNS1_11target_archE910ELNS1_3gpuE8ELNS1_3repE0EEENS1_30default_config_static_selectorELNS0_4arch9wavefront6targetE0EEEvSP_.num_vgpr, 0
	.set _ZN7rocprim17ROCPRIM_400000_NS6detail17trampoline_kernelINS0_14default_configENS1_22reduce_config_selectorIlEEZNS1_11reduce_implILb1ES3_N6thrust23THRUST_200600_302600_NS11hip_rocprim26transform_input_iterator_tIlNS8_6detail15normal_iteratorINS8_10device_ptrIiEEEE6is_oddIiEEEPllNS8_4plusIlEEEE10hipError_tPvRmT1_T2_T3_mT4_P12ihipStream_tbEUlT_E0_NS1_11comp_targetILNS1_3genE4ELNS1_11target_archE910ELNS1_3gpuE8ELNS1_3repE0EEENS1_30default_config_static_selectorELNS0_4arch9wavefront6targetE0EEEvSP_.num_agpr, 0
	.set _ZN7rocprim17ROCPRIM_400000_NS6detail17trampoline_kernelINS0_14default_configENS1_22reduce_config_selectorIlEEZNS1_11reduce_implILb1ES3_N6thrust23THRUST_200600_302600_NS11hip_rocprim26transform_input_iterator_tIlNS8_6detail15normal_iteratorINS8_10device_ptrIiEEEE6is_oddIiEEEPllNS8_4plusIlEEEE10hipError_tPvRmT1_T2_T3_mT4_P12ihipStream_tbEUlT_E0_NS1_11comp_targetILNS1_3genE4ELNS1_11target_archE910ELNS1_3gpuE8ELNS1_3repE0EEENS1_30default_config_static_selectorELNS0_4arch9wavefront6targetE0EEEvSP_.numbered_sgpr, 0
	.set _ZN7rocprim17ROCPRIM_400000_NS6detail17trampoline_kernelINS0_14default_configENS1_22reduce_config_selectorIlEEZNS1_11reduce_implILb1ES3_N6thrust23THRUST_200600_302600_NS11hip_rocprim26transform_input_iterator_tIlNS8_6detail15normal_iteratorINS8_10device_ptrIiEEEE6is_oddIiEEEPllNS8_4plusIlEEEE10hipError_tPvRmT1_T2_T3_mT4_P12ihipStream_tbEUlT_E0_NS1_11comp_targetILNS1_3genE4ELNS1_11target_archE910ELNS1_3gpuE8ELNS1_3repE0EEENS1_30default_config_static_selectorELNS0_4arch9wavefront6targetE0EEEvSP_.num_named_barrier, 0
	.set _ZN7rocprim17ROCPRIM_400000_NS6detail17trampoline_kernelINS0_14default_configENS1_22reduce_config_selectorIlEEZNS1_11reduce_implILb1ES3_N6thrust23THRUST_200600_302600_NS11hip_rocprim26transform_input_iterator_tIlNS8_6detail15normal_iteratorINS8_10device_ptrIiEEEE6is_oddIiEEEPllNS8_4plusIlEEEE10hipError_tPvRmT1_T2_T3_mT4_P12ihipStream_tbEUlT_E0_NS1_11comp_targetILNS1_3genE4ELNS1_11target_archE910ELNS1_3gpuE8ELNS1_3repE0EEENS1_30default_config_static_selectorELNS0_4arch9wavefront6targetE0EEEvSP_.private_seg_size, 0
	.set _ZN7rocprim17ROCPRIM_400000_NS6detail17trampoline_kernelINS0_14default_configENS1_22reduce_config_selectorIlEEZNS1_11reduce_implILb1ES3_N6thrust23THRUST_200600_302600_NS11hip_rocprim26transform_input_iterator_tIlNS8_6detail15normal_iteratorINS8_10device_ptrIiEEEE6is_oddIiEEEPllNS8_4plusIlEEEE10hipError_tPvRmT1_T2_T3_mT4_P12ihipStream_tbEUlT_E0_NS1_11comp_targetILNS1_3genE4ELNS1_11target_archE910ELNS1_3gpuE8ELNS1_3repE0EEENS1_30default_config_static_selectorELNS0_4arch9wavefront6targetE0EEEvSP_.uses_vcc, 0
	.set _ZN7rocprim17ROCPRIM_400000_NS6detail17trampoline_kernelINS0_14default_configENS1_22reduce_config_selectorIlEEZNS1_11reduce_implILb1ES3_N6thrust23THRUST_200600_302600_NS11hip_rocprim26transform_input_iterator_tIlNS8_6detail15normal_iteratorINS8_10device_ptrIiEEEE6is_oddIiEEEPllNS8_4plusIlEEEE10hipError_tPvRmT1_T2_T3_mT4_P12ihipStream_tbEUlT_E0_NS1_11comp_targetILNS1_3genE4ELNS1_11target_archE910ELNS1_3gpuE8ELNS1_3repE0EEENS1_30default_config_static_selectorELNS0_4arch9wavefront6targetE0EEEvSP_.uses_flat_scratch, 0
	.set _ZN7rocprim17ROCPRIM_400000_NS6detail17trampoline_kernelINS0_14default_configENS1_22reduce_config_selectorIlEEZNS1_11reduce_implILb1ES3_N6thrust23THRUST_200600_302600_NS11hip_rocprim26transform_input_iterator_tIlNS8_6detail15normal_iteratorINS8_10device_ptrIiEEEE6is_oddIiEEEPllNS8_4plusIlEEEE10hipError_tPvRmT1_T2_T3_mT4_P12ihipStream_tbEUlT_E0_NS1_11comp_targetILNS1_3genE4ELNS1_11target_archE910ELNS1_3gpuE8ELNS1_3repE0EEENS1_30default_config_static_selectorELNS0_4arch9wavefront6targetE0EEEvSP_.has_dyn_sized_stack, 0
	.set _ZN7rocprim17ROCPRIM_400000_NS6detail17trampoline_kernelINS0_14default_configENS1_22reduce_config_selectorIlEEZNS1_11reduce_implILb1ES3_N6thrust23THRUST_200600_302600_NS11hip_rocprim26transform_input_iterator_tIlNS8_6detail15normal_iteratorINS8_10device_ptrIiEEEE6is_oddIiEEEPllNS8_4plusIlEEEE10hipError_tPvRmT1_T2_T3_mT4_P12ihipStream_tbEUlT_E0_NS1_11comp_targetILNS1_3genE4ELNS1_11target_archE910ELNS1_3gpuE8ELNS1_3repE0EEENS1_30default_config_static_selectorELNS0_4arch9wavefront6targetE0EEEvSP_.has_recursion, 0
	.set _ZN7rocprim17ROCPRIM_400000_NS6detail17trampoline_kernelINS0_14default_configENS1_22reduce_config_selectorIlEEZNS1_11reduce_implILb1ES3_N6thrust23THRUST_200600_302600_NS11hip_rocprim26transform_input_iterator_tIlNS8_6detail15normal_iteratorINS8_10device_ptrIiEEEE6is_oddIiEEEPllNS8_4plusIlEEEE10hipError_tPvRmT1_T2_T3_mT4_P12ihipStream_tbEUlT_E0_NS1_11comp_targetILNS1_3genE4ELNS1_11target_archE910ELNS1_3gpuE8ELNS1_3repE0EEENS1_30default_config_static_selectorELNS0_4arch9wavefront6targetE0EEEvSP_.has_indirect_call, 0
	.section	.AMDGPU.csdata,"",@progbits
; Kernel info:
; codeLenInByte = 0
; TotalNumSgprs: 0
; NumVgprs: 0
; ScratchSize: 0
; MemoryBound: 0
; FloatMode: 240
; IeeeMode: 1
; LDSByteSize: 0 bytes/workgroup (compile time only)
; SGPRBlocks: 0
; VGPRBlocks: 0
; NumSGPRsForWavesPerEU: 1
; NumVGPRsForWavesPerEU: 1
; Occupancy: 16
; WaveLimiterHint : 0
; COMPUTE_PGM_RSRC2:SCRATCH_EN: 0
; COMPUTE_PGM_RSRC2:USER_SGPR: 2
; COMPUTE_PGM_RSRC2:TRAP_HANDLER: 0
; COMPUTE_PGM_RSRC2:TGID_X_EN: 1
; COMPUTE_PGM_RSRC2:TGID_Y_EN: 0
; COMPUTE_PGM_RSRC2:TGID_Z_EN: 0
; COMPUTE_PGM_RSRC2:TIDIG_COMP_CNT: 0
	.section	.text._ZN7rocprim17ROCPRIM_400000_NS6detail17trampoline_kernelINS0_14default_configENS1_22reduce_config_selectorIlEEZNS1_11reduce_implILb1ES3_N6thrust23THRUST_200600_302600_NS11hip_rocprim26transform_input_iterator_tIlNS8_6detail15normal_iteratorINS8_10device_ptrIiEEEE6is_oddIiEEEPllNS8_4plusIlEEEE10hipError_tPvRmT1_T2_T3_mT4_P12ihipStream_tbEUlT_E0_NS1_11comp_targetILNS1_3genE3ELNS1_11target_archE908ELNS1_3gpuE7ELNS1_3repE0EEENS1_30default_config_static_selectorELNS0_4arch9wavefront6targetE0EEEvSP_,"axG",@progbits,_ZN7rocprim17ROCPRIM_400000_NS6detail17trampoline_kernelINS0_14default_configENS1_22reduce_config_selectorIlEEZNS1_11reduce_implILb1ES3_N6thrust23THRUST_200600_302600_NS11hip_rocprim26transform_input_iterator_tIlNS8_6detail15normal_iteratorINS8_10device_ptrIiEEEE6is_oddIiEEEPllNS8_4plusIlEEEE10hipError_tPvRmT1_T2_T3_mT4_P12ihipStream_tbEUlT_E0_NS1_11comp_targetILNS1_3genE3ELNS1_11target_archE908ELNS1_3gpuE7ELNS1_3repE0EEENS1_30default_config_static_selectorELNS0_4arch9wavefront6targetE0EEEvSP_,comdat
	.protected	_ZN7rocprim17ROCPRIM_400000_NS6detail17trampoline_kernelINS0_14default_configENS1_22reduce_config_selectorIlEEZNS1_11reduce_implILb1ES3_N6thrust23THRUST_200600_302600_NS11hip_rocprim26transform_input_iterator_tIlNS8_6detail15normal_iteratorINS8_10device_ptrIiEEEE6is_oddIiEEEPllNS8_4plusIlEEEE10hipError_tPvRmT1_T2_T3_mT4_P12ihipStream_tbEUlT_E0_NS1_11comp_targetILNS1_3genE3ELNS1_11target_archE908ELNS1_3gpuE7ELNS1_3repE0EEENS1_30default_config_static_selectorELNS0_4arch9wavefront6targetE0EEEvSP_ ; -- Begin function _ZN7rocprim17ROCPRIM_400000_NS6detail17trampoline_kernelINS0_14default_configENS1_22reduce_config_selectorIlEEZNS1_11reduce_implILb1ES3_N6thrust23THRUST_200600_302600_NS11hip_rocprim26transform_input_iterator_tIlNS8_6detail15normal_iteratorINS8_10device_ptrIiEEEE6is_oddIiEEEPllNS8_4plusIlEEEE10hipError_tPvRmT1_T2_T3_mT4_P12ihipStream_tbEUlT_E0_NS1_11comp_targetILNS1_3genE3ELNS1_11target_archE908ELNS1_3gpuE7ELNS1_3repE0EEENS1_30default_config_static_selectorELNS0_4arch9wavefront6targetE0EEEvSP_
	.globl	_ZN7rocprim17ROCPRIM_400000_NS6detail17trampoline_kernelINS0_14default_configENS1_22reduce_config_selectorIlEEZNS1_11reduce_implILb1ES3_N6thrust23THRUST_200600_302600_NS11hip_rocprim26transform_input_iterator_tIlNS8_6detail15normal_iteratorINS8_10device_ptrIiEEEE6is_oddIiEEEPllNS8_4plusIlEEEE10hipError_tPvRmT1_T2_T3_mT4_P12ihipStream_tbEUlT_E0_NS1_11comp_targetILNS1_3genE3ELNS1_11target_archE908ELNS1_3gpuE7ELNS1_3repE0EEENS1_30default_config_static_selectorELNS0_4arch9wavefront6targetE0EEEvSP_
	.p2align	8
	.type	_ZN7rocprim17ROCPRIM_400000_NS6detail17trampoline_kernelINS0_14default_configENS1_22reduce_config_selectorIlEEZNS1_11reduce_implILb1ES3_N6thrust23THRUST_200600_302600_NS11hip_rocprim26transform_input_iterator_tIlNS8_6detail15normal_iteratorINS8_10device_ptrIiEEEE6is_oddIiEEEPllNS8_4plusIlEEEE10hipError_tPvRmT1_T2_T3_mT4_P12ihipStream_tbEUlT_E0_NS1_11comp_targetILNS1_3genE3ELNS1_11target_archE908ELNS1_3gpuE7ELNS1_3repE0EEENS1_30default_config_static_selectorELNS0_4arch9wavefront6targetE0EEEvSP_,@function
_ZN7rocprim17ROCPRIM_400000_NS6detail17trampoline_kernelINS0_14default_configENS1_22reduce_config_selectorIlEEZNS1_11reduce_implILb1ES3_N6thrust23THRUST_200600_302600_NS11hip_rocprim26transform_input_iterator_tIlNS8_6detail15normal_iteratorINS8_10device_ptrIiEEEE6is_oddIiEEEPllNS8_4plusIlEEEE10hipError_tPvRmT1_T2_T3_mT4_P12ihipStream_tbEUlT_E0_NS1_11comp_targetILNS1_3genE3ELNS1_11target_archE908ELNS1_3gpuE7ELNS1_3repE0EEENS1_30default_config_static_selectorELNS0_4arch9wavefront6targetE0EEEvSP_: ; @_ZN7rocprim17ROCPRIM_400000_NS6detail17trampoline_kernelINS0_14default_configENS1_22reduce_config_selectorIlEEZNS1_11reduce_implILb1ES3_N6thrust23THRUST_200600_302600_NS11hip_rocprim26transform_input_iterator_tIlNS8_6detail15normal_iteratorINS8_10device_ptrIiEEEE6is_oddIiEEEPllNS8_4plusIlEEEE10hipError_tPvRmT1_T2_T3_mT4_P12ihipStream_tbEUlT_E0_NS1_11comp_targetILNS1_3genE3ELNS1_11target_archE908ELNS1_3gpuE7ELNS1_3repE0EEENS1_30default_config_static_selectorELNS0_4arch9wavefront6targetE0EEEvSP_
; %bb.0:
	.section	.rodata,"a",@progbits
	.p2align	6, 0x0
	.amdhsa_kernel _ZN7rocprim17ROCPRIM_400000_NS6detail17trampoline_kernelINS0_14default_configENS1_22reduce_config_selectorIlEEZNS1_11reduce_implILb1ES3_N6thrust23THRUST_200600_302600_NS11hip_rocprim26transform_input_iterator_tIlNS8_6detail15normal_iteratorINS8_10device_ptrIiEEEE6is_oddIiEEEPllNS8_4plusIlEEEE10hipError_tPvRmT1_T2_T3_mT4_P12ihipStream_tbEUlT_E0_NS1_11comp_targetILNS1_3genE3ELNS1_11target_archE908ELNS1_3gpuE7ELNS1_3repE0EEENS1_30default_config_static_selectorELNS0_4arch9wavefront6targetE0EEEvSP_
		.amdhsa_group_segment_fixed_size 0
		.amdhsa_private_segment_fixed_size 0
		.amdhsa_kernarg_size 72
		.amdhsa_user_sgpr_count 2
		.amdhsa_user_sgpr_dispatch_ptr 0
		.amdhsa_user_sgpr_queue_ptr 0
		.amdhsa_user_sgpr_kernarg_segment_ptr 1
		.amdhsa_user_sgpr_dispatch_id 0
		.amdhsa_user_sgpr_private_segment_size 0
		.amdhsa_wavefront_size32 1
		.amdhsa_uses_dynamic_stack 0
		.amdhsa_enable_private_segment 0
		.amdhsa_system_sgpr_workgroup_id_x 1
		.amdhsa_system_sgpr_workgroup_id_y 0
		.amdhsa_system_sgpr_workgroup_id_z 0
		.amdhsa_system_sgpr_workgroup_info 0
		.amdhsa_system_vgpr_workitem_id 0
		.amdhsa_next_free_vgpr 1
		.amdhsa_next_free_sgpr 1
		.amdhsa_reserve_vcc 0
		.amdhsa_float_round_mode_32 0
		.amdhsa_float_round_mode_16_64 0
		.amdhsa_float_denorm_mode_32 3
		.amdhsa_float_denorm_mode_16_64 3
		.amdhsa_fp16_overflow 0
		.amdhsa_workgroup_processor_mode 1
		.amdhsa_memory_ordered 1
		.amdhsa_forward_progress 1
		.amdhsa_inst_pref_size 0
		.amdhsa_round_robin_scheduling 0
		.amdhsa_exception_fp_ieee_invalid_op 0
		.amdhsa_exception_fp_denorm_src 0
		.amdhsa_exception_fp_ieee_div_zero 0
		.amdhsa_exception_fp_ieee_overflow 0
		.amdhsa_exception_fp_ieee_underflow 0
		.amdhsa_exception_fp_ieee_inexact 0
		.amdhsa_exception_int_div_zero 0
	.end_amdhsa_kernel
	.section	.text._ZN7rocprim17ROCPRIM_400000_NS6detail17trampoline_kernelINS0_14default_configENS1_22reduce_config_selectorIlEEZNS1_11reduce_implILb1ES3_N6thrust23THRUST_200600_302600_NS11hip_rocprim26transform_input_iterator_tIlNS8_6detail15normal_iteratorINS8_10device_ptrIiEEEE6is_oddIiEEEPllNS8_4plusIlEEEE10hipError_tPvRmT1_T2_T3_mT4_P12ihipStream_tbEUlT_E0_NS1_11comp_targetILNS1_3genE3ELNS1_11target_archE908ELNS1_3gpuE7ELNS1_3repE0EEENS1_30default_config_static_selectorELNS0_4arch9wavefront6targetE0EEEvSP_,"axG",@progbits,_ZN7rocprim17ROCPRIM_400000_NS6detail17trampoline_kernelINS0_14default_configENS1_22reduce_config_selectorIlEEZNS1_11reduce_implILb1ES3_N6thrust23THRUST_200600_302600_NS11hip_rocprim26transform_input_iterator_tIlNS8_6detail15normal_iteratorINS8_10device_ptrIiEEEE6is_oddIiEEEPllNS8_4plusIlEEEE10hipError_tPvRmT1_T2_T3_mT4_P12ihipStream_tbEUlT_E0_NS1_11comp_targetILNS1_3genE3ELNS1_11target_archE908ELNS1_3gpuE7ELNS1_3repE0EEENS1_30default_config_static_selectorELNS0_4arch9wavefront6targetE0EEEvSP_,comdat
.Lfunc_end68:
	.size	_ZN7rocprim17ROCPRIM_400000_NS6detail17trampoline_kernelINS0_14default_configENS1_22reduce_config_selectorIlEEZNS1_11reduce_implILb1ES3_N6thrust23THRUST_200600_302600_NS11hip_rocprim26transform_input_iterator_tIlNS8_6detail15normal_iteratorINS8_10device_ptrIiEEEE6is_oddIiEEEPllNS8_4plusIlEEEE10hipError_tPvRmT1_T2_T3_mT4_P12ihipStream_tbEUlT_E0_NS1_11comp_targetILNS1_3genE3ELNS1_11target_archE908ELNS1_3gpuE7ELNS1_3repE0EEENS1_30default_config_static_selectorELNS0_4arch9wavefront6targetE0EEEvSP_, .Lfunc_end68-_ZN7rocprim17ROCPRIM_400000_NS6detail17trampoline_kernelINS0_14default_configENS1_22reduce_config_selectorIlEEZNS1_11reduce_implILb1ES3_N6thrust23THRUST_200600_302600_NS11hip_rocprim26transform_input_iterator_tIlNS8_6detail15normal_iteratorINS8_10device_ptrIiEEEE6is_oddIiEEEPllNS8_4plusIlEEEE10hipError_tPvRmT1_T2_T3_mT4_P12ihipStream_tbEUlT_E0_NS1_11comp_targetILNS1_3genE3ELNS1_11target_archE908ELNS1_3gpuE7ELNS1_3repE0EEENS1_30default_config_static_selectorELNS0_4arch9wavefront6targetE0EEEvSP_
                                        ; -- End function
	.set _ZN7rocprim17ROCPRIM_400000_NS6detail17trampoline_kernelINS0_14default_configENS1_22reduce_config_selectorIlEEZNS1_11reduce_implILb1ES3_N6thrust23THRUST_200600_302600_NS11hip_rocprim26transform_input_iterator_tIlNS8_6detail15normal_iteratorINS8_10device_ptrIiEEEE6is_oddIiEEEPllNS8_4plusIlEEEE10hipError_tPvRmT1_T2_T3_mT4_P12ihipStream_tbEUlT_E0_NS1_11comp_targetILNS1_3genE3ELNS1_11target_archE908ELNS1_3gpuE7ELNS1_3repE0EEENS1_30default_config_static_selectorELNS0_4arch9wavefront6targetE0EEEvSP_.num_vgpr, 0
	.set _ZN7rocprim17ROCPRIM_400000_NS6detail17trampoline_kernelINS0_14default_configENS1_22reduce_config_selectorIlEEZNS1_11reduce_implILb1ES3_N6thrust23THRUST_200600_302600_NS11hip_rocprim26transform_input_iterator_tIlNS8_6detail15normal_iteratorINS8_10device_ptrIiEEEE6is_oddIiEEEPllNS8_4plusIlEEEE10hipError_tPvRmT1_T2_T3_mT4_P12ihipStream_tbEUlT_E0_NS1_11comp_targetILNS1_3genE3ELNS1_11target_archE908ELNS1_3gpuE7ELNS1_3repE0EEENS1_30default_config_static_selectorELNS0_4arch9wavefront6targetE0EEEvSP_.num_agpr, 0
	.set _ZN7rocprim17ROCPRIM_400000_NS6detail17trampoline_kernelINS0_14default_configENS1_22reduce_config_selectorIlEEZNS1_11reduce_implILb1ES3_N6thrust23THRUST_200600_302600_NS11hip_rocprim26transform_input_iterator_tIlNS8_6detail15normal_iteratorINS8_10device_ptrIiEEEE6is_oddIiEEEPllNS8_4plusIlEEEE10hipError_tPvRmT1_T2_T3_mT4_P12ihipStream_tbEUlT_E0_NS1_11comp_targetILNS1_3genE3ELNS1_11target_archE908ELNS1_3gpuE7ELNS1_3repE0EEENS1_30default_config_static_selectorELNS0_4arch9wavefront6targetE0EEEvSP_.numbered_sgpr, 0
	.set _ZN7rocprim17ROCPRIM_400000_NS6detail17trampoline_kernelINS0_14default_configENS1_22reduce_config_selectorIlEEZNS1_11reduce_implILb1ES3_N6thrust23THRUST_200600_302600_NS11hip_rocprim26transform_input_iterator_tIlNS8_6detail15normal_iteratorINS8_10device_ptrIiEEEE6is_oddIiEEEPllNS8_4plusIlEEEE10hipError_tPvRmT1_T2_T3_mT4_P12ihipStream_tbEUlT_E0_NS1_11comp_targetILNS1_3genE3ELNS1_11target_archE908ELNS1_3gpuE7ELNS1_3repE0EEENS1_30default_config_static_selectorELNS0_4arch9wavefront6targetE0EEEvSP_.num_named_barrier, 0
	.set _ZN7rocprim17ROCPRIM_400000_NS6detail17trampoline_kernelINS0_14default_configENS1_22reduce_config_selectorIlEEZNS1_11reduce_implILb1ES3_N6thrust23THRUST_200600_302600_NS11hip_rocprim26transform_input_iterator_tIlNS8_6detail15normal_iteratorINS8_10device_ptrIiEEEE6is_oddIiEEEPllNS8_4plusIlEEEE10hipError_tPvRmT1_T2_T3_mT4_P12ihipStream_tbEUlT_E0_NS1_11comp_targetILNS1_3genE3ELNS1_11target_archE908ELNS1_3gpuE7ELNS1_3repE0EEENS1_30default_config_static_selectorELNS0_4arch9wavefront6targetE0EEEvSP_.private_seg_size, 0
	.set _ZN7rocprim17ROCPRIM_400000_NS6detail17trampoline_kernelINS0_14default_configENS1_22reduce_config_selectorIlEEZNS1_11reduce_implILb1ES3_N6thrust23THRUST_200600_302600_NS11hip_rocprim26transform_input_iterator_tIlNS8_6detail15normal_iteratorINS8_10device_ptrIiEEEE6is_oddIiEEEPllNS8_4plusIlEEEE10hipError_tPvRmT1_T2_T3_mT4_P12ihipStream_tbEUlT_E0_NS1_11comp_targetILNS1_3genE3ELNS1_11target_archE908ELNS1_3gpuE7ELNS1_3repE0EEENS1_30default_config_static_selectorELNS0_4arch9wavefront6targetE0EEEvSP_.uses_vcc, 0
	.set _ZN7rocprim17ROCPRIM_400000_NS6detail17trampoline_kernelINS0_14default_configENS1_22reduce_config_selectorIlEEZNS1_11reduce_implILb1ES3_N6thrust23THRUST_200600_302600_NS11hip_rocprim26transform_input_iterator_tIlNS8_6detail15normal_iteratorINS8_10device_ptrIiEEEE6is_oddIiEEEPllNS8_4plusIlEEEE10hipError_tPvRmT1_T2_T3_mT4_P12ihipStream_tbEUlT_E0_NS1_11comp_targetILNS1_3genE3ELNS1_11target_archE908ELNS1_3gpuE7ELNS1_3repE0EEENS1_30default_config_static_selectorELNS0_4arch9wavefront6targetE0EEEvSP_.uses_flat_scratch, 0
	.set _ZN7rocprim17ROCPRIM_400000_NS6detail17trampoline_kernelINS0_14default_configENS1_22reduce_config_selectorIlEEZNS1_11reduce_implILb1ES3_N6thrust23THRUST_200600_302600_NS11hip_rocprim26transform_input_iterator_tIlNS8_6detail15normal_iteratorINS8_10device_ptrIiEEEE6is_oddIiEEEPllNS8_4plusIlEEEE10hipError_tPvRmT1_T2_T3_mT4_P12ihipStream_tbEUlT_E0_NS1_11comp_targetILNS1_3genE3ELNS1_11target_archE908ELNS1_3gpuE7ELNS1_3repE0EEENS1_30default_config_static_selectorELNS0_4arch9wavefront6targetE0EEEvSP_.has_dyn_sized_stack, 0
	.set _ZN7rocprim17ROCPRIM_400000_NS6detail17trampoline_kernelINS0_14default_configENS1_22reduce_config_selectorIlEEZNS1_11reduce_implILb1ES3_N6thrust23THRUST_200600_302600_NS11hip_rocprim26transform_input_iterator_tIlNS8_6detail15normal_iteratorINS8_10device_ptrIiEEEE6is_oddIiEEEPllNS8_4plusIlEEEE10hipError_tPvRmT1_T2_T3_mT4_P12ihipStream_tbEUlT_E0_NS1_11comp_targetILNS1_3genE3ELNS1_11target_archE908ELNS1_3gpuE7ELNS1_3repE0EEENS1_30default_config_static_selectorELNS0_4arch9wavefront6targetE0EEEvSP_.has_recursion, 0
	.set _ZN7rocprim17ROCPRIM_400000_NS6detail17trampoline_kernelINS0_14default_configENS1_22reduce_config_selectorIlEEZNS1_11reduce_implILb1ES3_N6thrust23THRUST_200600_302600_NS11hip_rocprim26transform_input_iterator_tIlNS8_6detail15normal_iteratorINS8_10device_ptrIiEEEE6is_oddIiEEEPllNS8_4plusIlEEEE10hipError_tPvRmT1_T2_T3_mT4_P12ihipStream_tbEUlT_E0_NS1_11comp_targetILNS1_3genE3ELNS1_11target_archE908ELNS1_3gpuE7ELNS1_3repE0EEENS1_30default_config_static_selectorELNS0_4arch9wavefront6targetE0EEEvSP_.has_indirect_call, 0
	.section	.AMDGPU.csdata,"",@progbits
; Kernel info:
; codeLenInByte = 0
; TotalNumSgprs: 0
; NumVgprs: 0
; ScratchSize: 0
; MemoryBound: 0
; FloatMode: 240
; IeeeMode: 1
; LDSByteSize: 0 bytes/workgroup (compile time only)
; SGPRBlocks: 0
; VGPRBlocks: 0
; NumSGPRsForWavesPerEU: 1
; NumVGPRsForWavesPerEU: 1
; Occupancy: 16
; WaveLimiterHint : 0
; COMPUTE_PGM_RSRC2:SCRATCH_EN: 0
; COMPUTE_PGM_RSRC2:USER_SGPR: 2
; COMPUTE_PGM_RSRC2:TRAP_HANDLER: 0
; COMPUTE_PGM_RSRC2:TGID_X_EN: 1
; COMPUTE_PGM_RSRC2:TGID_Y_EN: 0
; COMPUTE_PGM_RSRC2:TGID_Z_EN: 0
; COMPUTE_PGM_RSRC2:TIDIG_COMP_CNT: 0
	.section	.text._ZN7rocprim17ROCPRIM_400000_NS6detail17trampoline_kernelINS0_14default_configENS1_22reduce_config_selectorIlEEZNS1_11reduce_implILb1ES3_N6thrust23THRUST_200600_302600_NS11hip_rocprim26transform_input_iterator_tIlNS8_6detail15normal_iteratorINS8_10device_ptrIiEEEE6is_oddIiEEEPllNS8_4plusIlEEEE10hipError_tPvRmT1_T2_T3_mT4_P12ihipStream_tbEUlT_E0_NS1_11comp_targetILNS1_3genE2ELNS1_11target_archE906ELNS1_3gpuE6ELNS1_3repE0EEENS1_30default_config_static_selectorELNS0_4arch9wavefront6targetE0EEEvSP_,"axG",@progbits,_ZN7rocprim17ROCPRIM_400000_NS6detail17trampoline_kernelINS0_14default_configENS1_22reduce_config_selectorIlEEZNS1_11reduce_implILb1ES3_N6thrust23THRUST_200600_302600_NS11hip_rocprim26transform_input_iterator_tIlNS8_6detail15normal_iteratorINS8_10device_ptrIiEEEE6is_oddIiEEEPllNS8_4plusIlEEEE10hipError_tPvRmT1_T2_T3_mT4_P12ihipStream_tbEUlT_E0_NS1_11comp_targetILNS1_3genE2ELNS1_11target_archE906ELNS1_3gpuE6ELNS1_3repE0EEENS1_30default_config_static_selectorELNS0_4arch9wavefront6targetE0EEEvSP_,comdat
	.protected	_ZN7rocprim17ROCPRIM_400000_NS6detail17trampoline_kernelINS0_14default_configENS1_22reduce_config_selectorIlEEZNS1_11reduce_implILb1ES3_N6thrust23THRUST_200600_302600_NS11hip_rocprim26transform_input_iterator_tIlNS8_6detail15normal_iteratorINS8_10device_ptrIiEEEE6is_oddIiEEEPllNS8_4plusIlEEEE10hipError_tPvRmT1_T2_T3_mT4_P12ihipStream_tbEUlT_E0_NS1_11comp_targetILNS1_3genE2ELNS1_11target_archE906ELNS1_3gpuE6ELNS1_3repE0EEENS1_30default_config_static_selectorELNS0_4arch9wavefront6targetE0EEEvSP_ ; -- Begin function _ZN7rocprim17ROCPRIM_400000_NS6detail17trampoline_kernelINS0_14default_configENS1_22reduce_config_selectorIlEEZNS1_11reduce_implILb1ES3_N6thrust23THRUST_200600_302600_NS11hip_rocprim26transform_input_iterator_tIlNS8_6detail15normal_iteratorINS8_10device_ptrIiEEEE6is_oddIiEEEPllNS8_4plusIlEEEE10hipError_tPvRmT1_T2_T3_mT4_P12ihipStream_tbEUlT_E0_NS1_11comp_targetILNS1_3genE2ELNS1_11target_archE906ELNS1_3gpuE6ELNS1_3repE0EEENS1_30default_config_static_selectorELNS0_4arch9wavefront6targetE0EEEvSP_
	.globl	_ZN7rocprim17ROCPRIM_400000_NS6detail17trampoline_kernelINS0_14default_configENS1_22reduce_config_selectorIlEEZNS1_11reduce_implILb1ES3_N6thrust23THRUST_200600_302600_NS11hip_rocprim26transform_input_iterator_tIlNS8_6detail15normal_iteratorINS8_10device_ptrIiEEEE6is_oddIiEEEPllNS8_4plusIlEEEE10hipError_tPvRmT1_T2_T3_mT4_P12ihipStream_tbEUlT_E0_NS1_11comp_targetILNS1_3genE2ELNS1_11target_archE906ELNS1_3gpuE6ELNS1_3repE0EEENS1_30default_config_static_selectorELNS0_4arch9wavefront6targetE0EEEvSP_
	.p2align	8
	.type	_ZN7rocprim17ROCPRIM_400000_NS6detail17trampoline_kernelINS0_14default_configENS1_22reduce_config_selectorIlEEZNS1_11reduce_implILb1ES3_N6thrust23THRUST_200600_302600_NS11hip_rocprim26transform_input_iterator_tIlNS8_6detail15normal_iteratorINS8_10device_ptrIiEEEE6is_oddIiEEEPllNS8_4plusIlEEEE10hipError_tPvRmT1_T2_T3_mT4_P12ihipStream_tbEUlT_E0_NS1_11comp_targetILNS1_3genE2ELNS1_11target_archE906ELNS1_3gpuE6ELNS1_3repE0EEENS1_30default_config_static_selectorELNS0_4arch9wavefront6targetE0EEEvSP_,@function
_ZN7rocprim17ROCPRIM_400000_NS6detail17trampoline_kernelINS0_14default_configENS1_22reduce_config_selectorIlEEZNS1_11reduce_implILb1ES3_N6thrust23THRUST_200600_302600_NS11hip_rocprim26transform_input_iterator_tIlNS8_6detail15normal_iteratorINS8_10device_ptrIiEEEE6is_oddIiEEEPllNS8_4plusIlEEEE10hipError_tPvRmT1_T2_T3_mT4_P12ihipStream_tbEUlT_E0_NS1_11comp_targetILNS1_3genE2ELNS1_11target_archE906ELNS1_3gpuE6ELNS1_3repE0EEENS1_30default_config_static_selectorELNS0_4arch9wavefront6targetE0EEEvSP_: ; @_ZN7rocprim17ROCPRIM_400000_NS6detail17trampoline_kernelINS0_14default_configENS1_22reduce_config_selectorIlEEZNS1_11reduce_implILb1ES3_N6thrust23THRUST_200600_302600_NS11hip_rocprim26transform_input_iterator_tIlNS8_6detail15normal_iteratorINS8_10device_ptrIiEEEE6is_oddIiEEEPllNS8_4plusIlEEEE10hipError_tPvRmT1_T2_T3_mT4_P12ihipStream_tbEUlT_E0_NS1_11comp_targetILNS1_3genE2ELNS1_11target_archE906ELNS1_3gpuE6ELNS1_3repE0EEENS1_30default_config_static_selectorELNS0_4arch9wavefront6targetE0EEEvSP_
; %bb.0:
	.section	.rodata,"a",@progbits
	.p2align	6, 0x0
	.amdhsa_kernel _ZN7rocprim17ROCPRIM_400000_NS6detail17trampoline_kernelINS0_14default_configENS1_22reduce_config_selectorIlEEZNS1_11reduce_implILb1ES3_N6thrust23THRUST_200600_302600_NS11hip_rocprim26transform_input_iterator_tIlNS8_6detail15normal_iteratorINS8_10device_ptrIiEEEE6is_oddIiEEEPllNS8_4plusIlEEEE10hipError_tPvRmT1_T2_T3_mT4_P12ihipStream_tbEUlT_E0_NS1_11comp_targetILNS1_3genE2ELNS1_11target_archE906ELNS1_3gpuE6ELNS1_3repE0EEENS1_30default_config_static_selectorELNS0_4arch9wavefront6targetE0EEEvSP_
		.amdhsa_group_segment_fixed_size 0
		.amdhsa_private_segment_fixed_size 0
		.amdhsa_kernarg_size 72
		.amdhsa_user_sgpr_count 2
		.amdhsa_user_sgpr_dispatch_ptr 0
		.amdhsa_user_sgpr_queue_ptr 0
		.amdhsa_user_sgpr_kernarg_segment_ptr 1
		.amdhsa_user_sgpr_dispatch_id 0
		.amdhsa_user_sgpr_private_segment_size 0
		.amdhsa_wavefront_size32 1
		.amdhsa_uses_dynamic_stack 0
		.amdhsa_enable_private_segment 0
		.amdhsa_system_sgpr_workgroup_id_x 1
		.amdhsa_system_sgpr_workgroup_id_y 0
		.amdhsa_system_sgpr_workgroup_id_z 0
		.amdhsa_system_sgpr_workgroup_info 0
		.amdhsa_system_vgpr_workitem_id 0
		.amdhsa_next_free_vgpr 1
		.amdhsa_next_free_sgpr 1
		.amdhsa_reserve_vcc 0
		.amdhsa_float_round_mode_32 0
		.amdhsa_float_round_mode_16_64 0
		.amdhsa_float_denorm_mode_32 3
		.amdhsa_float_denorm_mode_16_64 3
		.amdhsa_fp16_overflow 0
		.amdhsa_workgroup_processor_mode 1
		.amdhsa_memory_ordered 1
		.amdhsa_forward_progress 1
		.amdhsa_inst_pref_size 0
		.amdhsa_round_robin_scheduling 0
		.amdhsa_exception_fp_ieee_invalid_op 0
		.amdhsa_exception_fp_denorm_src 0
		.amdhsa_exception_fp_ieee_div_zero 0
		.amdhsa_exception_fp_ieee_overflow 0
		.amdhsa_exception_fp_ieee_underflow 0
		.amdhsa_exception_fp_ieee_inexact 0
		.amdhsa_exception_int_div_zero 0
	.end_amdhsa_kernel
	.section	.text._ZN7rocprim17ROCPRIM_400000_NS6detail17trampoline_kernelINS0_14default_configENS1_22reduce_config_selectorIlEEZNS1_11reduce_implILb1ES3_N6thrust23THRUST_200600_302600_NS11hip_rocprim26transform_input_iterator_tIlNS8_6detail15normal_iteratorINS8_10device_ptrIiEEEE6is_oddIiEEEPllNS8_4plusIlEEEE10hipError_tPvRmT1_T2_T3_mT4_P12ihipStream_tbEUlT_E0_NS1_11comp_targetILNS1_3genE2ELNS1_11target_archE906ELNS1_3gpuE6ELNS1_3repE0EEENS1_30default_config_static_selectorELNS0_4arch9wavefront6targetE0EEEvSP_,"axG",@progbits,_ZN7rocprim17ROCPRIM_400000_NS6detail17trampoline_kernelINS0_14default_configENS1_22reduce_config_selectorIlEEZNS1_11reduce_implILb1ES3_N6thrust23THRUST_200600_302600_NS11hip_rocprim26transform_input_iterator_tIlNS8_6detail15normal_iteratorINS8_10device_ptrIiEEEE6is_oddIiEEEPllNS8_4plusIlEEEE10hipError_tPvRmT1_T2_T3_mT4_P12ihipStream_tbEUlT_E0_NS1_11comp_targetILNS1_3genE2ELNS1_11target_archE906ELNS1_3gpuE6ELNS1_3repE0EEENS1_30default_config_static_selectorELNS0_4arch9wavefront6targetE0EEEvSP_,comdat
.Lfunc_end69:
	.size	_ZN7rocprim17ROCPRIM_400000_NS6detail17trampoline_kernelINS0_14default_configENS1_22reduce_config_selectorIlEEZNS1_11reduce_implILb1ES3_N6thrust23THRUST_200600_302600_NS11hip_rocprim26transform_input_iterator_tIlNS8_6detail15normal_iteratorINS8_10device_ptrIiEEEE6is_oddIiEEEPllNS8_4plusIlEEEE10hipError_tPvRmT1_T2_T3_mT4_P12ihipStream_tbEUlT_E0_NS1_11comp_targetILNS1_3genE2ELNS1_11target_archE906ELNS1_3gpuE6ELNS1_3repE0EEENS1_30default_config_static_selectorELNS0_4arch9wavefront6targetE0EEEvSP_, .Lfunc_end69-_ZN7rocprim17ROCPRIM_400000_NS6detail17trampoline_kernelINS0_14default_configENS1_22reduce_config_selectorIlEEZNS1_11reduce_implILb1ES3_N6thrust23THRUST_200600_302600_NS11hip_rocprim26transform_input_iterator_tIlNS8_6detail15normal_iteratorINS8_10device_ptrIiEEEE6is_oddIiEEEPllNS8_4plusIlEEEE10hipError_tPvRmT1_T2_T3_mT4_P12ihipStream_tbEUlT_E0_NS1_11comp_targetILNS1_3genE2ELNS1_11target_archE906ELNS1_3gpuE6ELNS1_3repE0EEENS1_30default_config_static_selectorELNS0_4arch9wavefront6targetE0EEEvSP_
                                        ; -- End function
	.set _ZN7rocprim17ROCPRIM_400000_NS6detail17trampoline_kernelINS0_14default_configENS1_22reduce_config_selectorIlEEZNS1_11reduce_implILb1ES3_N6thrust23THRUST_200600_302600_NS11hip_rocprim26transform_input_iterator_tIlNS8_6detail15normal_iteratorINS8_10device_ptrIiEEEE6is_oddIiEEEPllNS8_4plusIlEEEE10hipError_tPvRmT1_T2_T3_mT4_P12ihipStream_tbEUlT_E0_NS1_11comp_targetILNS1_3genE2ELNS1_11target_archE906ELNS1_3gpuE6ELNS1_3repE0EEENS1_30default_config_static_selectorELNS0_4arch9wavefront6targetE0EEEvSP_.num_vgpr, 0
	.set _ZN7rocprim17ROCPRIM_400000_NS6detail17trampoline_kernelINS0_14default_configENS1_22reduce_config_selectorIlEEZNS1_11reduce_implILb1ES3_N6thrust23THRUST_200600_302600_NS11hip_rocprim26transform_input_iterator_tIlNS8_6detail15normal_iteratorINS8_10device_ptrIiEEEE6is_oddIiEEEPllNS8_4plusIlEEEE10hipError_tPvRmT1_T2_T3_mT4_P12ihipStream_tbEUlT_E0_NS1_11comp_targetILNS1_3genE2ELNS1_11target_archE906ELNS1_3gpuE6ELNS1_3repE0EEENS1_30default_config_static_selectorELNS0_4arch9wavefront6targetE0EEEvSP_.num_agpr, 0
	.set _ZN7rocprim17ROCPRIM_400000_NS6detail17trampoline_kernelINS0_14default_configENS1_22reduce_config_selectorIlEEZNS1_11reduce_implILb1ES3_N6thrust23THRUST_200600_302600_NS11hip_rocprim26transform_input_iterator_tIlNS8_6detail15normal_iteratorINS8_10device_ptrIiEEEE6is_oddIiEEEPllNS8_4plusIlEEEE10hipError_tPvRmT1_T2_T3_mT4_P12ihipStream_tbEUlT_E0_NS1_11comp_targetILNS1_3genE2ELNS1_11target_archE906ELNS1_3gpuE6ELNS1_3repE0EEENS1_30default_config_static_selectorELNS0_4arch9wavefront6targetE0EEEvSP_.numbered_sgpr, 0
	.set _ZN7rocprim17ROCPRIM_400000_NS6detail17trampoline_kernelINS0_14default_configENS1_22reduce_config_selectorIlEEZNS1_11reduce_implILb1ES3_N6thrust23THRUST_200600_302600_NS11hip_rocprim26transform_input_iterator_tIlNS8_6detail15normal_iteratorINS8_10device_ptrIiEEEE6is_oddIiEEEPllNS8_4plusIlEEEE10hipError_tPvRmT1_T2_T3_mT4_P12ihipStream_tbEUlT_E0_NS1_11comp_targetILNS1_3genE2ELNS1_11target_archE906ELNS1_3gpuE6ELNS1_3repE0EEENS1_30default_config_static_selectorELNS0_4arch9wavefront6targetE0EEEvSP_.num_named_barrier, 0
	.set _ZN7rocprim17ROCPRIM_400000_NS6detail17trampoline_kernelINS0_14default_configENS1_22reduce_config_selectorIlEEZNS1_11reduce_implILb1ES3_N6thrust23THRUST_200600_302600_NS11hip_rocprim26transform_input_iterator_tIlNS8_6detail15normal_iteratorINS8_10device_ptrIiEEEE6is_oddIiEEEPllNS8_4plusIlEEEE10hipError_tPvRmT1_T2_T3_mT4_P12ihipStream_tbEUlT_E0_NS1_11comp_targetILNS1_3genE2ELNS1_11target_archE906ELNS1_3gpuE6ELNS1_3repE0EEENS1_30default_config_static_selectorELNS0_4arch9wavefront6targetE0EEEvSP_.private_seg_size, 0
	.set _ZN7rocprim17ROCPRIM_400000_NS6detail17trampoline_kernelINS0_14default_configENS1_22reduce_config_selectorIlEEZNS1_11reduce_implILb1ES3_N6thrust23THRUST_200600_302600_NS11hip_rocprim26transform_input_iterator_tIlNS8_6detail15normal_iteratorINS8_10device_ptrIiEEEE6is_oddIiEEEPllNS8_4plusIlEEEE10hipError_tPvRmT1_T2_T3_mT4_P12ihipStream_tbEUlT_E0_NS1_11comp_targetILNS1_3genE2ELNS1_11target_archE906ELNS1_3gpuE6ELNS1_3repE0EEENS1_30default_config_static_selectorELNS0_4arch9wavefront6targetE0EEEvSP_.uses_vcc, 0
	.set _ZN7rocprim17ROCPRIM_400000_NS6detail17trampoline_kernelINS0_14default_configENS1_22reduce_config_selectorIlEEZNS1_11reduce_implILb1ES3_N6thrust23THRUST_200600_302600_NS11hip_rocprim26transform_input_iterator_tIlNS8_6detail15normal_iteratorINS8_10device_ptrIiEEEE6is_oddIiEEEPllNS8_4plusIlEEEE10hipError_tPvRmT1_T2_T3_mT4_P12ihipStream_tbEUlT_E0_NS1_11comp_targetILNS1_3genE2ELNS1_11target_archE906ELNS1_3gpuE6ELNS1_3repE0EEENS1_30default_config_static_selectorELNS0_4arch9wavefront6targetE0EEEvSP_.uses_flat_scratch, 0
	.set _ZN7rocprim17ROCPRIM_400000_NS6detail17trampoline_kernelINS0_14default_configENS1_22reduce_config_selectorIlEEZNS1_11reduce_implILb1ES3_N6thrust23THRUST_200600_302600_NS11hip_rocprim26transform_input_iterator_tIlNS8_6detail15normal_iteratorINS8_10device_ptrIiEEEE6is_oddIiEEEPllNS8_4plusIlEEEE10hipError_tPvRmT1_T2_T3_mT4_P12ihipStream_tbEUlT_E0_NS1_11comp_targetILNS1_3genE2ELNS1_11target_archE906ELNS1_3gpuE6ELNS1_3repE0EEENS1_30default_config_static_selectorELNS0_4arch9wavefront6targetE0EEEvSP_.has_dyn_sized_stack, 0
	.set _ZN7rocprim17ROCPRIM_400000_NS6detail17trampoline_kernelINS0_14default_configENS1_22reduce_config_selectorIlEEZNS1_11reduce_implILb1ES3_N6thrust23THRUST_200600_302600_NS11hip_rocprim26transform_input_iterator_tIlNS8_6detail15normal_iteratorINS8_10device_ptrIiEEEE6is_oddIiEEEPllNS8_4plusIlEEEE10hipError_tPvRmT1_T2_T3_mT4_P12ihipStream_tbEUlT_E0_NS1_11comp_targetILNS1_3genE2ELNS1_11target_archE906ELNS1_3gpuE6ELNS1_3repE0EEENS1_30default_config_static_selectorELNS0_4arch9wavefront6targetE0EEEvSP_.has_recursion, 0
	.set _ZN7rocprim17ROCPRIM_400000_NS6detail17trampoline_kernelINS0_14default_configENS1_22reduce_config_selectorIlEEZNS1_11reduce_implILb1ES3_N6thrust23THRUST_200600_302600_NS11hip_rocprim26transform_input_iterator_tIlNS8_6detail15normal_iteratorINS8_10device_ptrIiEEEE6is_oddIiEEEPllNS8_4plusIlEEEE10hipError_tPvRmT1_T2_T3_mT4_P12ihipStream_tbEUlT_E0_NS1_11comp_targetILNS1_3genE2ELNS1_11target_archE906ELNS1_3gpuE6ELNS1_3repE0EEENS1_30default_config_static_selectorELNS0_4arch9wavefront6targetE0EEEvSP_.has_indirect_call, 0
	.section	.AMDGPU.csdata,"",@progbits
; Kernel info:
; codeLenInByte = 0
; TotalNumSgprs: 0
; NumVgprs: 0
; ScratchSize: 0
; MemoryBound: 0
; FloatMode: 240
; IeeeMode: 1
; LDSByteSize: 0 bytes/workgroup (compile time only)
; SGPRBlocks: 0
; VGPRBlocks: 0
; NumSGPRsForWavesPerEU: 1
; NumVGPRsForWavesPerEU: 1
; Occupancy: 16
; WaveLimiterHint : 0
; COMPUTE_PGM_RSRC2:SCRATCH_EN: 0
; COMPUTE_PGM_RSRC2:USER_SGPR: 2
; COMPUTE_PGM_RSRC2:TRAP_HANDLER: 0
; COMPUTE_PGM_RSRC2:TGID_X_EN: 1
; COMPUTE_PGM_RSRC2:TGID_Y_EN: 0
; COMPUTE_PGM_RSRC2:TGID_Z_EN: 0
; COMPUTE_PGM_RSRC2:TIDIG_COMP_CNT: 0
	.section	.text._ZN7rocprim17ROCPRIM_400000_NS6detail17trampoline_kernelINS0_14default_configENS1_22reduce_config_selectorIlEEZNS1_11reduce_implILb1ES3_N6thrust23THRUST_200600_302600_NS11hip_rocprim26transform_input_iterator_tIlNS8_6detail15normal_iteratorINS8_10device_ptrIiEEEE6is_oddIiEEEPllNS8_4plusIlEEEE10hipError_tPvRmT1_T2_T3_mT4_P12ihipStream_tbEUlT_E0_NS1_11comp_targetILNS1_3genE10ELNS1_11target_archE1201ELNS1_3gpuE5ELNS1_3repE0EEENS1_30default_config_static_selectorELNS0_4arch9wavefront6targetE0EEEvSP_,"axG",@progbits,_ZN7rocprim17ROCPRIM_400000_NS6detail17trampoline_kernelINS0_14default_configENS1_22reduce_config_selectorIlEEZNS1_11reduce_implILb1ES3_N6thrust23THRUST_200600_302600_NS11hip_rocprim26transform_input_iterator_tIlNS8_6detail15normal_iteratorINS8_10device_ptrIiEEEE6is_oddIiEEEPllNS8_4plusIlEEEE10hipError_tPvRmT1_T2_T3_mT4_P12ihipStream_tbEUlT_E0_NS1_11comp_targetILNS1_3genE10ELNS1_11target_archE1201ELNS1_3gpuE5ELNS1_3repE0EEENS1_30default_config_static_selectorELNS0_4arch9wavefront6targetE0EEEvSP_,comdat
	.protected	_ZN7rocprim17ROCPRIM_400000_NS6detail17trampoline_kernelINS0_14default_configENS1_22reduce_config_selectorIlEEZNS1_11reduce_implILb1ES3_N6thrust23THRUST_200600_302600_NS11hip_rocprim26transform_input_iterator_tIlNS8_6detail15normal_iteratorINS8_10device_ptrIiEEEE6is_oddIiEEEPllNS8_4plusIlEEEE10hipError_tPvRmT1_T2_T3_mT4_P12ihipStream_tbEUlT_E0_NS1_11comp_targetILNS1_3genE10ELNS1_11target_archE1201ELNS1_3gpuE5ELNS1_3repE0EEENS1_30default_config_static_selectorELNS0_4arch9wavefront6targetE0EEEvSP_ ; -- Begin function _ZN7rocprim17ROCPRIM_400000_NS6detail17trampoline_kernelINS0_14default_configENS1_22reduce_config_selectorIlEEZNS1_11reduce_implILb1ES3_N6thrust23THRUST_200600_302600_NS11hip_rocprim26transform_input_iterator_tIlNS8_6detail15normal_iteratorINS8_10device_ptrIiEEEE6is_oddIiEEEPllNS8_4plusIlEEEE10hipError_tPvRmT1_T2_T3_mT4_P12ihipStream_tbEUlT_E0_NS1_11comp_targetILNS1_3genE10ELNS1_11target_archE1201ELNS1_3gpuE5ELNS1_3repE0EEENS1_30default_config_static_selectorELNS0_4arch9wavefront6targetE0EEEvSP_
	.globl	_ZN7rocprim17ROCPRIM_400000_NS6detail17trampoline_kernelINS0_14default_configENS1_22reduce_config_selectorIlEEZNS1_11reduce_implILb1ES3_N6thrust23THRUST_200600_302600_NS11hip_rocprim26transform_input_iterator_tIlNS8_6detail15normal_iteratorINS8_10device_ptrIiEEEE6is_oddIiEEEPllNS8_4plusIlEEEE10hipError_tPvRmT1_T2_T3_mT4_P12ihipStream_tbEUlT_E0_NS1_11comp_targetILNS1_3genE10ELNS1_11target_archE1201ELNS1_3gpuE5ELNS1_3repE0EEENS1_30default_config_static_selectorELNS0_4arch9wavefront6targetE0EEEvSP_
	.p2align	8
	.type	_ZN7rocprim17ROCPRIM_400000_NS6detail17trampoline_kernelINS0_14default_configENS1_22reduce_config_selectorIlEEZNS1_11reduce_implILb1ES3_N6thrust23THRUST_200600_302600_NS11hip_rocprim26transform_input_iterator_tIlNS8_6detail15normal_iteratorINS8_10device_ptrIiEEEE6is_oddIiEEEPllNS8_4plusIlEEEE10hipError_tPvRmT1_T2_T3_mT4_P12ihipStream_tbEUlT_E0_NS1_11comp_targetILNS1_3genE10ELNS1_11target_archE1201ELNS1_3gpuE5ELNS1_3repE0EEENS1_30default_config_static_selectorELNS0_4arch9wavefront6targetE0EEEvSP_,@function
_ZN7rocprim17ROCPRIM_400000_NS6detail17trampoline_kernelINS0_14default_configENS1_22reduce_config_selectorIlEEZNS1_11reduce_implILb1ES3_N6thrust23THRUST_200600_302600_NS11hip_rocprim26transform_input_iterator_tIlNS8_6detail15normal_iteratorINS8_10device_ptrIiEEEE6is_oddIiEEEPllNS8_4plusIlEEEE10hipError_tPvRmT1_T2_T3_mT4_P12ihipStream_tbEUlT_E0_NS1_11comp_targetILNS1_3genE10ELNS1_11target_archE1201ELNS1_3gpuE5ELNS1_3repE0EEENS1_30default_config_static_selectorELNS0_4arch9wavefront6targetE0EEEvSP_: ; @_ZN7rocprim17ROCPRIM_400000_NS6detail17trampoline_kernelINS0_14default_configENS1_22reduce_config_selectorIlEEZNS1_11reduce_implILb1ES3_N6thrust23THRUST_200600_302600_NS11hip_rocprim26transform_input_iterator_tIlNS8_6detail15normal_iteratorINS8_10device_ptrIiEEEE6is_oddIiEEEPllNS8_4plusIlEEEE10hipError_tPvRmT1_T2_T3_mT4_P12ihipStream_tbEUlT_E0_NS1_11comp_targetILNS1_3genE10ELNS1_11target_archE1201ELNS1_3gpuE5ELNS1_3repE0EEENS1_30default_config_static_selectorELNS0_4arch9wavefront6targetE0EEEvSP_
; %bb.0:
	s_clause 0x2
	s_load_b256 s[12:19], s[0:1], 0x10
	s_load_b64 s[2:3], s[0:1], 0x0
	s_load_b128 s[20:23], s[0:1], 0x30
	s_lshl_b32 s0, ttmp9, 12
	s_mov_b32 s1, 0
	v_mbcnt_lo_u32_b32 v34, -1, 0
	v_lshlrev_b32_e32 v35, 2, v0
	s_mov_b32 s24, ttmp9
	s_mov_b32 s25, s1
	s_wait_kmcnt 0x0
	s_lshl_b64 s[4:5], s[12:13], 2
	s_lshr_b64 s[6:7], s[14:15], 12
	s_add_nc_u64 s[2:3], s[2:3], s[4:5]
	s_lshl_b64 s[4:5], s[0:1], 2
	s_cmp_lg_u64 s[6:7], s[24:25]
	s_add_nc_u64 s[26:27], s[2:3], s[4:5]
	s_cbranch_scc0 .LBB70_6
; %bb.1:
	v_add_co_u32 v1, s1, s26, v35
	s_delay_alu instid0(VALU_DEP_1)
	v_add_co_ci_u32_e64 v2, null, s27, 0, s1
	s_clause 0xf
	flat_load_b32 v3, v[1:2]
	flat_load_b32 v4, v[1:2] offset:1024
	flat_load_b32 v5, v[1:2] offset:2048
	;; [unrolled: 1-line block ×15, first 2 shown]
	s_wait_loadcnt_dscnt 0xf0f
	v_and_b32_e32 v2, 1, v3
	s_wait_loadcnt_dscnt 0xe0e
	v_and_b32_e32 v3, 1, v4
	;; [unrolled: 2-line block ×5, first 2 shown]
	v_add_nc_u32_e32 v2, v3, v2
	v_and_b32_e32 v3, 1, v7
	s_delay_alu instid0(VALU_DEP_2)
	v_add3_u32 v2, v2, v4, v5
	s_wait_loadcnt_dscnt 0x909
	v_and_b32_e32 v4, 1, v9
	s_wait_loadcnt_dscnt 0x808
	v_and_b32_e32 v5, 1, v10
	;; [unrolled: 2-line block ×3, first 2 shown]
	v_add3_u32 v2, v2, v3, v6
	v_and_b32_e32 v3, 1, v11
	s_delay_alu instid0(VALU_DEP_2) | instskip(SKIP_1) | instid1(VALU_DEP_2)
	v_add3_u32 v2, v2, v4, v5
	v_and_b32_e32 v4, 1, v12
	v_add_co_u32 v2, s1, v2, v3
	v_and_b32_e32 v3, 1, v13
	s_wait_alu 0xf1ff
	v_add_co_ci_u32_e64 v5, null, 0, 0, s1
	s_delay_alu instid0(VALU_DEP_3) | instskip(SKIP_1) | instid1(VALU_DEP_3)
	v_add_co_u32 v2, vcc_lo, v2, v4
	v_and_b32_e32 v4, 1, v14
	v_add_co_ci_u32_e64 v5, null, 0, v5, vcc_lo
	s_delay_alu instid0(VALU_DEP_3) | instskip(SKIP_2) | instid1(VALU_DEP_3)
	v_add_co_u32 v2, vcc_lo, v2, v3
	v_and_b32_e32 v3, 1, v15
	s_wait_alu 0xfffd
	v_add_co_ci_u32_e64 v5, null, 0, v5, vcc_lo
	s_delay_alu instid0(VALU_DEP_3) | instskip(SKIP_2) | instid1(VALU_DEP_3)
	v_add_co_u32 v2, vcc_lo, v2, v4
	v_and_b32_e32 v4, 1, v16
	s_wait_alu 0xfffd
	;; [unrolled: 5-line block ×3, first 2 shown]
	v_add_co_ci_u32_e64 v5, null, 0, v5, vcc_lo
	s_delay_alu instid0(VALU_DEP_3)
	v_add_co_u32 v2, vcc_lo, v2, v4
	s_mov_b32 s1, exec_lo
	s_wait_alu 0xfffd
	v_add_co_ci_u32_e64 v4, null, 0, v5, vcc_lo
	v_add_co_u32 v2, vcc_lo, v2, v3
	s_wait_alu 0xfffd
	s_delay_alu instid0(VALU_DEP_2) | instskip(NEXT) | instid1(VALU_DEP_2)
	v_add_co_ci_u32_e64 v3, null, 0, v4, vcc_lo
	v_add_co_u32 v1, vcc_lo, v2, v1
	v_mov_b32_e32 v4, 0
	s_wait_alu 0xfffd
	s_delay_alu instid0(VALU_DEP_3) | instskip(NEXT) | instid1(VALU_DEP_3)
	v_add_co_ci_u32_e64 v2, null, 0, v3, vcc_lo
	v_mov_b32_dpp v3, v1 quad_perm:[1,0,3,2] row_mask:0xf bank_mask:0xf
	s_delay_alu instid0(VALU_DEP_1) | instskip(SKIP_3) | instid1(VALU_DEP_3)
	v_add_co_u32 v1, vcc_lo, v1, v3
	v_mov_b32_dpp v3, v4 quad_perm:[1,0,3,2] row_mask:0xf bank_mask:0xf
	s_wait_alu 0xfffd
	v_add_co_ci_u32_e64 v2, null, 0, v2, vcc_lo
	v_mov_b32_dpp v5, v1 quad_perm:[2,3,0,1] row_mask:0xf bank_mask:0xf
	v_add_co_u32 v1, vcc_lo, 0, v1
	s_wait_alu 0xfffd
	s_delay_alu instid0(VALU_DEP_3) | instskip(NEXT) | instid1(VALU_DEP_2)
	v_add_co_ci_u32_e64 v2, null, v3, v2, vcc_lo
	v_add_co_u32 v1, vcc_lo, v1, v5
	s_delay_alu instid0(VALU_DEP_2) | instskip(SKIP_2) | instid1(VALU_DEP_3)
	v_mov_b32_dpp v3, v2 quad_perm:[2,3,0,1] row_mask:0xf bank_mask:0xf
	s_wait_alu 0xfffd
	v_add_co_ci_u32_e64 v2, null, 0, v2, vcc_lo
	v_mov_b32_dpp v5, v1 row_ror:4 row_mask:0xf bank_mask:0xf
	v_add_co_u32 v1, vcc_lo, v1, 0
	s_wait_alu 0xfffd
	s_delay_alu instid0(VALU_DEP_3) | instskip(NEXT) | instid1(VALU_DEP_2)
	v_add_co_ci_u32_e64 v2, null, v2, v3, vcc_lo
	v_add_co_u32 v1, vcc_lo, v1, v5
	s_delay_alu instid0(VALU_DEP_2) | instskip(SKIP_2) | instid1(VALU_DEP_3)
	v_mov_b32_dpp v3, v2 row_ror:4 row_mask:0xf bank_mask:0xf
	s_wait_alu 0xfffd
	v_add_co_ci_u32_e64 v2, null, 0, v2, vcc_lo
	v_mov_b32_dpp v5, v1 row_ror:8 row_mask:0xf bank_mask:0xf
	v_add_co_u32 v1, vcc_lo, v1, 0
	s_wait_alu 0xfffd
	s_delay_alu instid0(VALU_DEP_3) | instskip(NEXT) | instid1(VALU_DEP_2)
	v_add_co_ci_u32_e64 v2, null, v2, v3, vcc_lo
	v_add_co_u32 v1, vcc_lo, v1, v5
	s_delay_alu instid0(VALU_DEP_2)
	v_mov_b32_dpp v3, v2 row_ror:8 row_mask:0xf bank_mask:0xf
	s_wait_alu 0xfffd
	v_add_co_ci_u32_e64 v2, null, 0, v2, vcc_lo
	ds_swizzle_b32 v5, v1 offset:swizzle(BROADCAST,32,15)
	v_add_co_u32 v1, vcc_lo, v1, 0
	s_wait_alu 0xfffd
	v_add_co_ci_u32_e64 v2, null, v2, v3, vcc_lo
	ds_swizzle_b32 v3, v2 offset:swizzle(BROADCAST,32,15)
	s_wait_dscnt 0x1
	v_add_co_u32 v1, vcc_lo, v1, v5
	s_wait_alu 0xfffd
	v_add_co_ci_u32_e64 v2, null, 0, v2, vcc_lo
	ds_bpermute_b32 v1, v4, v1 offset:124
	s_wait_dscnt 0x1
	v_add_nc_u32_e32 v2, v3, v2
	ds_bpermute_b32 v2, v4, v2 offset:124
	v_cmpx_eq_u32_e32 0, v34
	s_cbranch_execz .LBB70_3
; %bb.2:
	v_lshrrev_b32_e32 v3, 2, v0
	s_delay_alu instid0(VALU_DEP_1)
	v_and_b32_e32 v3, 56, v3
	s_wait_dscnt 0x0
	ds_store_b64 v3, v[1:2]
.LBB70_3:
	s_wait_alu 0xfffe
	s_or_b32 exec_lo, exec_lo, s1
	s_delay_alu instid0(SALU_CYCLE_1)
	s_mov_b32 s1, exec_lo
	s_wait_dscnt 0x0
	s_barrier_signal -1
	s_barrier_wait -1
	global_inv scope:SCOPE_SE
	v_cmpx_gt_u32_e32 32, v0
	s_cbranch_execz .LBB70_5
; %bb.4:
	v_and_b32_e32 v3, 7, v34
	s_delay_alu instid0(VALU_DEP_1)
	v_lshlrev_b32_e32 v1, 3, v3
	v_cmp_ne_u32_e32 vcc_lo, 7, v3
	ds_load_b64 v[1:2], v1
	s_wait_alu 0xfffd
	v_add_co_ci_u32_e64 v4, null, 0, v34, vcc_lo
	v_cmp_gt_u32_e32 vcc_lo, 6, v3
	s_delay_alu instid0(VALU_DEP_2) | instskip(SKIP_2) | instid1(VALU_DEP_1)
	v_lshlrev_b32_e32 v4, 2, v4
	s_wait_alu 0xfffd
	v_cndmask_b32_e64 v3, 0, 2, vcc_lo
	v_add_lshl_u32 v3, v3, v34, 2
	s_wait_dscnt 0x0
	ds_bpermute_b32 v5, v4, v1
	ds_bpermute_b32 v4, v4, v2
	s_wait_dscnt 0x1
	v_add_co_u32 v1, vcc_lo, v1, v5
	s_wait_alu 0xfffd
	v_add_co_ci_u32_e64 v2, null, 0, v2, vcc_lo
	ds_bpermute_b32 v5, v3, v1
	v_add_co_u32 v1, vcc_lo, 0, v1
	s_wait_dscnt 0x1
	s_wait_alu 0xfffd
	v_add_co_ci_u32_e64 v2, null, v4, v2, vcc_lo
	v_lshlrev_b32_e32 v4, 2, v34
	ds_bpermute_b32 v3, v3, v2
	v_or_b32_e32 v4, 16, v4
	s_wait_dscnt 0x1
	v_add_co_u32 v1, vcc_lo, v1, v5
	s_wait_alu 0xfffd
	v_add_co_ci_u32_e64 v2, null, 0, v2, vcc_lo
	ds_bpermute_b32 v5, v4, v1
	v_add_co_u32 v1, vcc_lo, v1, 0
	s_wait_dscnt 0x1
	s_wait_alu 0xfffd
	v_add_co_ci_u32_e64 v2, null, v2, v3, vcc_lo
	ds_bpermute_b32 v3, v4, v2
	s_wait_dscnt 0x1
	v_add_co_u32 v1, vcc_lo, v1, v5
	s_wait_alu 0xfffd
	v_add_co_ci_u32_e64 v2, null, 0, v2, vcc_lo
	s_delay_alu instid0(VALU_DEP_2) | instskip(SKIP_2) | instid1(VALU_DEP_2)
	v_add_co_u32 v1, vcc_lo, v1, 0
	s_wait_dscnt 0x0
	s_wait_alu 0xfffd
	v_add_co_ci_u32_e64 v2, null, v2, v3, vcc_lo
.LBB70_5:
	s_wait_alu 0xfffe
	s_or_b32 exec_lo, exec_lo, s1
	s_branch .LBB70_60
.LBB70_6:
                                        ; implicit-def: $vgpr1_vgpr2
	s_cbranch_execz .LBB70_60
; %bb.7:
	v_mov_b32_e32 v1, 0
	s_sub_co_i32 s28, s14, s0
	s_delay_alu instid0(SALU_CYCLE_1) | instskip(NEXT) | instid1(VALU_DEP_2)
	v_cmp_gt_u32_e32 vcc_lo, s28, v0
	v_dual_mov_b32 v2, v1 :: v_dual_mov_b32 v3, v1
	v_dual_mov_b32 v4, v1 :: v_dual_mov_b32 v5, v1
	v_dual_mov_b32 v6, v1 :: v_dual_mov_b32 v7, v1
	v_dual_mov_b32 v8, v1 :: v_dual_mov_b32 v9, v1
	v_dual_mov_b32 v10, v1 :: v_dual_mov_b32 v11, v1
	v_dual_mov_b32 v12, v1 :: v_dual_mov_b32 v13, v1
	v_dual_mov_b32 v14, v1 :: v_dual_mov_b32 v15, v1
	v_dual_mov_b32 v16, v1 :: v_dual_mov_b32 v17, v1
	v_dual_mov_b32 v18, v1 :: v_dual_mov_b32 v19, v1
	v_dual_mov_b32 v20, v1 :: v_dual_mov_b32 v21, v1
	v_dual_mov_b32 v22, v1 :: v_dual_mov_b32 v23, v1
	v_dual_mov_b32 v24, v1 :: v_dual_mov_b32 v25, v1
	v_dual_mov_b32 v26, v1 :: v_dual_mov_b32 v27, v1
	v_dual_mov_b32 v28, v1 :: v_dual_mov_b32 v29, v1
	v_dual_mov_b32 v30, v1 :: v_dual_mov_b32 v31, v1
	v_mov_b32_e32 v32, v1
	s_and_saveexec_b32 s0, vcc_lo
	s_cbranch_execz .LBB70_9
; %bb.8:
	v_add_co_u32 v2, s1, s26, v35
	s_delay_alu instid0(VALU_DEP_1)
	v_add_co_ci_u32_e64 v3, null, s27, 0, s1
	v_dual_mov_b32 v5, v1 :: v_dual_mov_b32 v6, v1
	v_dual_mov_b32 v7, v1 :: v_dual_mov_b32 v8, v1
	flat_load_b32 v2, v[2:3]
	v_dual_mov_b32 v3, v1 :: v_dual_mov_b32 v4, v1
	v_dual_mov_b32 v9, v1 :: v_dual_mov_b32 v10, v1
	;; [unrolled: 1-line block ×13, first 2 shown]
	s_wait_loadcnt_dscnt 0x0
	v_dual_mov_b32 v33, v1 :: v_dual_and_b32 v2, 1, v2
	s_delay_alu instid0(VALU_DEP_1)
	v_mov_b32_e32 v1, v2
	v_mov_b32_e32 v2, v3
	;; [unrolled: 1-line block ×32, first 2 shown]
.LBB70_9:
	s_or_b32 exec_lo, exec_lo, s0
	v_or_b32_e32 v33, 0x100, v0
	s_delay_alu instid0(VALU_DEP_1)
	v_cmp_gt_u32_e32 vcc_lo, s28, v33
	s_and_saveexec_b32 s0, vcc_lo
	s_cbranch_execz .LBB70_11
; %bb.10:
	v_add_co_u32 v3, s1, s26, v35
	s_wait_alu 0xf1ff
	v_add_co_ci_u32_e64 v4, null, s27, 0, s1
	flat_load_b32 v3, v[3:4] offset:1024
	s_wait_loadcnt_dscnt 0x0
	v_dual_mov_b32 v4, 0 :: v_dual_and_b32 v3, 1, v3
.LBB70_11:
	s_wait_alu 0xfffe
	s_or_b32 exec_lo, exec_lo, s0
	v_or_b32_e32 v33, 0x200, v0
	s_delay_alu instid0(VALU_DEP_1)
	v_cmp_gt_u32_e64 s0, s28, v33
	s_and_saveexec_b32 s1, s0
	s_cbranch_execz .LBB70_13
; %bb.12:
	v_add_co_u32 v5, s2, s26, v35
	s_delay_alu instid0(VALU_DEP_1)
	v_add_co_ci_u32_e64 v6, null, s27, 0, s2
	flat_load_b32 v5, v[5:6] offset:2048
	s_wait_loadcnt_dscnt 0x0
	v_dual_mov_b32 v6, 0 :: v_dual_and_b32 v5, 1, v5
.LBB70_13:
	s_wait_alu 0xfffe
	s_or_b32 exec_lo, exec_lo, s1
	v_or_b32_e32 v33, 0x300, v0
	s_delay_alu instid0(VALU_DEP_1)
	v_cmp_gt_u32_e64 s1, s28, v33
	s_and_saveexec_b32 s2, s1
	s_cbranch_execz .LBB70_15
; %bb.14:
	v_add_co_u32 v7, s3, s26, v35
	s_wait_alu 0xf1ff
	v_add_co_ci_u32_e64 v8, null, s27, 0, s3
	flat_load_b32 v7, v[7:8] offset:3072
	s_wait_loadcnt_dscnt 0x0
	v_dual_mov_b32 v8, 0 :: v_dual_and_b32 v7, 1, v7
.LBB70_15:
	s_wait_alu 0xfffe
	s_or_b32 exec_lo, exec_lo, s2
	v_or_b32_e32 v33, 0x400, v0
	s_delay_alu instid0(VALU_DEP_1)
	v_cmp_gt_u32_e64 s2, s28, v33
	s_and_saveexec_b32 s3, s2
	s_cbranch_execz .LBB70_17
; %bb.16:
	v_add_co_u32 v9, s4, s26, v35
	s_delay_alu instid0(VALU_DEP_1)
	v_add_co_ci_u32_e64 v10, null, s27, 0, s4
	flat_load_b32 v9, v[9:10] offset:4096
	s_wait_loadcnt_dscnt 0x0
	v_dual_mov_b32 v10, 0 :: v_dual_and_b32 v9, 1, v9
.LBB70_17:
	s_wait_alu 0xfffe
	s_or_b32 exec_lo, exec_lo, s3
	v_or_b32_e32 v33, 0x500, v0
	s_delay_alu instid0(VALU_DEP_1)
	v_cmp_gt_u32_e64 s3, s28, v33
	s_and_saveexec_b32 s4, s3
	;; [unrolled: 30-line block ×6, first 2 shown]
	s_cbranch_execz .LBB70_35
; %bb.34:
	v_add_co_u32 v27, s13, s26, v35
	s_wait_alu 0xf1ff
	v_add_co_ci_u32_e64 v28, null, s27, 0, s13
	flat_load_b32 v27, v[27:28] offset:13312
	s_wait_loadcnt_dscnt 0x0
	v_dual_mov_b32 v28, 0 :: v_dual_and_b32 v27, 1, v27
.LBB70_35:
	s_wait_alu 0xfffe
	s_or_b32 exec_lo, exec_lo, s12
	v_or_b32_e32 v33, 0xe00, v0
	s_delay_alu instid0(VALU_DEP_1)
	v_cmp_gt_u32_e64 s12, s28, v33
	s_and_saveexec_b32 s13, s12
	s_cbranch_execz .LBB70_37
; %bb.36:
	v_add_co_u32 v29, s29, s26, v35
	s_wait_alu 0xf1ff
	v_add_co_ci_u32_e64 v30, null, s27, 0, s29
	flat_load_b32 v29, v[29:30] offset:14336
	s_wait_loadcnt_dscnt 0x0
	v_dual_mov_b32 v30, 0 :: v_dual_and_b32 v29, 1, v29
.LBB70_37:
	s_wait_alu 0xfffe
	s_or_b32 exec_lo, exec_lo, s13
	v_or_b32_e32 v33, 0xf00, v0
	s_delay_alu instid0(VALU_DEP_1)
	v_cmp_gt_u32_e64 s13, s28, v33
	s_and_saveexec_b32 s29, s13
	s_cbranch_execz .LBB70_39
; %bb.38:
	v_add_co_u32 v31, s26, s26, v35
	s_wait_alu 0xf1ff
	v_add_co_ci_u32_e64 v32, null, s27, 0, s26
	flat_load_b32 v31, v[31:32] offset:15360
	s_wait_loadcnt_dscnt 0x0
	v_dual_mov_b32 v32, 0 :: v_dual_and_b32 v31, 1, v31
.LBB70_39:
	s_wait_alu 0xfffe
	s_or_b32 exec_lo, exec_lo, s29
	v_dual_cndmask_b32 v3, 0, v3 :: v_dual_cndmask_b32 v4, 0, v4
	v_cndmask_b32_e64 v5, 0, v5, s0
	v_cndmask_b32_e64 v6, 0, v6, s0
	s_min_u32 s0, s28, 0x100
	s_delay_alu instid0(VALU_DEP_3) | instskip(SKIP_3) | instid1(VALU_DEP_3)
	v_add_co_u32 v1, vcc_lo, v3, v1
	s_wait_alu 0xfffd
	v_add_co_ci_u32_e64 v2, null, v4, v2, vcc_lo
	v_cndmask_b32_e64 v3, 0, v7, s1
	v_add_co_u32 v1, vcc_lo, v1, v5
	s_wait_alu 0xfffd
	s_delay_alu instid0(VALU_DEP_3)
	v_add_co_ci_u32_e64 v2, null, v2, v6, vcc_lo
	v_cndmask_b32_e64 v4, 0, v8, s1
	v_cndmask_b32_e64 v5, 0, v9, s2
	v_add_co_u32 v1, vcc_lo, v1, v3
	v_cndmask_b32_e64 v3, 0, v10, s2
	s_wait_alu 0xfffd
	v_add_co_ci_u32_e64 v2, null, v2, v4, vcc_lo
	v_cndmask_b32_e64 v4, 0, v11, s3
	v_add_co_u32 v1, vcc_lo, v1, v5
	s_wait_alu 0xfffd
	s_delay_alu instid0(VALU_DEP_3)
	v_add_co_ci_u32_e64 v2, null, v2, v3, vcc_lo
	v_cndmask_b32_e64 v3, 0, v12, s3
	v_cndmask_b32_e64 v5, 0, v13, s4
	v_add_co_u32 v1, vcc_lo, v1, v4
	v_cndmask_b32_e64 v4, 0, v15, s5
	s_wait_alu 0xfffd
	v_add_co_ci_u32_e64 v2, null, v2, v3, vcc_lo
	v_cndmask_b32_e64 v3, 0, v14, s4
	v_add_co_u32 v1, vcc_lo, v1, v5
	v_cndmask_b32_e64 v5, 0, v17, s6
	s_wait_alu 0xfffd
	s_delay_alu instid0(VALU_DEP_3) | instskip(SKIP_4) | instid1(VALU_DEP_3)
	v_add_co_ci_u32_e64 v2, null, v2, v3, vcc_lo
	v_cndmask_b32_e64 v3, 0, v16, s5
	v_add_co_u32 v1, vcc_lo, v1, v4
	v_cndmask_b32_e64 v4, 0, v19, s7
	s_wait_alu 0xfffd
	v_add_co_ci_u32_e64 v2, null, v2, v3, vcc_lo
	v_cndmask_b32_e64 v3, 0, v18, s6
	v_add_co_u32 v1, vcc_lo, v1, v5
	v_cndmask_b32_e64 v5, 0, v21, s8
	s_wait_alu 0xfffd
	s_delay_alu instid0(VALU_DEP_3) | instskip(SKIP_4) | instid1(VALU_DEP_3)
	v_add_co_ci_u32_e64 v2, null, v2, v3, vcc_lo
	;; [unrolled: 11-line block ×4, first 2 shown]
	v_cndmask_b32_e64 v3, 0, v28, s11
	v_add_co_u32 v1, vcc_lo, v1, v4
	v_cndmask_b32_e64 v4, 0, v29, s12
	s_wait_alu 0xfffd
	v_add_co_ci_u32_e64 v2, null, v2, v3, vcc_lo
	v_cmp_ne_u32_e32 vcc_lo, 31, v34
	v_cndmask_b32_e64 v3, 0, v30, s12
	s_wait_alu 0xfffd
	v_add_co_ci_u32_e64 v6, null, 0, v34, vcc_lo
	v_add_co_u32 v1, vcc_lo, v1, v4
	s_wait_alu 0xfffd
	v_add_co_ci_u32_e64 v2, null, v2, v3, vcc_lo
	v_cndmask_b32_e64 v3, 0, v32, s13
	s_delay_alu instid0(VALU_DEP_3)
	v_add_co_u32 v1, vcc_lo, v1, v5
	v_lshlrev_b32_e32 v4, 2, v6
	v_add_nc_u32_e32 v5, 1, v34
	s_wait_alu 0xfffd
	v_add_co_ci_u32_e64 v2, null, v2, v3, vcc_lo
	v_and_b32_e32 v3, 0xe0, v0
	s_wait_alu 0xfffe
	s_delay_alu instid0(VALU_DEP_1) | instskip(NEXT) | instid1(VALU_DEP_1)
	v_sub_nc_u32_e64 v3, s0, v3 clamp
	v_cmp_lt_u32_e32 vcc_lo, v5, v3
	v_mov_b32_e32 v5, v1
	ds_bpermute_b32 v6, v4, v1
	ds_bpermute_b32 v4, v4, v2
	s_and_saveexec_b32 s1, vcc_lo
	s_cbranch_execz .LBB70_41
; %bb.40:
	s_wait_dscnt 0x1
	v_add_co_u32 v5, vcc_lo, v1, v6
	s_wait_alu 0xfffd
	v_add_co_ci_u32_e64 v2, null, 0, v2, vcc_lo
	s_delay_alu instid0(VALU_DEP_2) | instskip(SKIP_2) | instid1(VALU_DEP_2)
	v_add_co_u32 v1, vcc_lo, v5, 0
	s_wait_dscnt 0x0
	s_wait_alu 0xfffd
	v_add_co_ci_u32_e64 v2, null, v2, v4, vcc_lo
.LBB70_41:
	s_wait_alu 0xfffe
	s_or_b32 exec_lo, exec_lo, s1
	v_cmp_gt_u32_e32 vcc_lo, 30, v34
	v_add_nc_u32_e32 v7, 2, v34
	s_mov_b32 s1, exec_lo
	s_wait_dscnt 0x0
	s_wait_alu 0xfffd
	v_cndmask_b32_e64 v4, 0, 2, vcc_lo
	s_delay_alu instid0(VALU_DEP_1)
	v_add_lshl_u32 v4, v4, v34, 2
	ds_bpermute_b32 v6, v4, v5
	ds_bpermute_b32 v4, v4, v2
	v_cmpx_lt_u32_e64 v7, v3
	s_cbranch_execz .LBB70_43
; %bb.42:
	s_wait_dscnt 0x1
	v_add_co_u32 v5, vcc_lo, v1, v6
	s_wait_alu 0xfffd
	v_add_co_ci_u32_e64 v2, null, 0, v2, vcc_lo
	s_delay_alu instid0(VALU_DEP_2) | instskip(SKIP_2) | instid1(VALU_DEP_2)
	v_add_co_u32 v1, vcc_lo, 0, v5
	s_wait_dscnt 0x0
	s_wait_alu 0xfffd
	v_add_co_ci_u32_e64 v2, null, v4, v2, vcc_lo
.LBB70_43:
	s_wait_alu 0xfffe
	s_or_b32 exec_lo, exec_lo, s1
	v_cmp_gt_u32_e32 vcc_lo, 28, v34
	v_add_nc_u32_e32 v7, 4, v34
	s_mov_b32 s1, exec_lo
	s_wait_dscnt 0x0
	s_wait_alu 0xfffd
	v_cndmask_b32_e64 v4, 0, 4, vcc_lo
	s_delay_alu instid0(VALU_DEP_1)
	v_add_lshl_u32 v4, v4, v34, 2
	ds_bpermute_b32 v6, v4, v5
	ds_bpermute_b32 v4, v4, v2
	v_cmpx_lt_u32_e64 v7, v3
	;; [unrolled: 25-line block ×3, first 2 shown]
	s_cbranch_execz .LBB70_47
; %bb.46:
	s_wait_dscnt 0x1
	v_add_co_u32 v5, vcc_lo, v1, v6
	s_wait_alu 0xfffd
	v_add_co_ci_u32_e64 v2, null, 0, v2, vcc_lo
	s_delay_alu instid0(VALU_DEP_2) | instskip(SKIP_2) | instid1(VALU_DEP_2)
	v_add_co_u32 v1, vcc_lo, 0, v5
	s_wait_dscnt 0x0
	s_wait_alu 0xfffd
	v_add_co_ci_u32_e64 v2, null, v4, v2, vcc_lo
.LBB70_47:
	s_wait_alu 0xfffe
	s_or_b32 exec_lo, exec_lo, s1
	s_wait_dscnt 0x0
	v_lshlrev_b32_e32 v4, 2, v34
	s_mov_b32 s1, exec_lo
	s_delay_alu instid0(VALU_DEP_1) | instskip(SKIP_3) | instid1(VALU_DEP_1)
	v_or_b32_e32 v7, 64, v4
	ds_bpermute_b32 v6, v7, v5
	ds_bpermute_b32 v5, v7, v2
	v_add_nc_u32_e32 v7, 16, v34
	v_cmpx_lt_u32_e64 v7, v3
	s_cbranch_execz .LBB70_49
; %bb.48:
	s_wait_dscnt 0x1
	v_add_co_u32 v1, vcc_lo, v1, v6
	s_wait_alu 0xfffd
	v_add_co_ci_u32_e64 v2, null, 0, v2, vcc_lo
	s_delay_alu instid0(VALU_DEP_2) | instskip(SKIP_2) | instid1(VALU_DEP_2)
	v_add_co_u32 v1, vcc_lo, v1, 0
	s_wait_dscnt 0x0
	s_wait_alu 0xfffd
	v_add_co_ci_u32_e64 v2, null, v2, v5, vcc_lo
.LBB70_49:
	s_wait_alu 0xfffe
	s_or_b32 exec_lo, exec_lo, s1
	s_delay_alu instid0(SALU_CYCLE_1)
	s_mov_b32 s1, exec_lo
	v_cmpx_eq_u32_e32 0, v34
; %bb.50:
	v_lshrrev_b32_e32 v3, 2, v0
	s_delay_alu instid0(VALU_DEP_1)
	v_and_b32_e32 v3, 56, v3
	ds_store_b64 v3, v[1:2] offset:64
; %bb.51:
	s_wait_alu 0xfffe
	s_or_b32 exec_lo, exec_lo, s1
	s_delay_alu instid0(SALU_CYCLE_1)
	s_mov_b32 s1, exec_lo
	s_wait_loadcnt_dscnt 0x0
	s_barrier_signal -1
	s_barrier_wait -1
	global_inv scope:SCOPE_SE
	v_cmpx_gt_u32_e32 8, v0
	s_cbranch_execz .LBB70_59
; %bb.52:
	v_lshlrev_b32_e32 v1, 3, v34
	v_and_b32_e32 v3, 7, v34
	s_add_co_i32 s0, s0, 31
	s_wait_alu 0xfffe
	s_lshr_b32 s0, s0, 5
	ds_load_b64 v[1:2], v1 offset:64
	v_cmp_ne_u32_e32 vcc_lo, 7, v3
	s_wait_alu 0xfffd
	v_add_co_ci_u32_e64 v5, null, 0, v34, vcc_lo
	s_delay_alu instid0(VALU_DEP_1)
	v_lshlrev_b32_e32 v5, 2, v5
	s_wait_dscnt 0x0
	ds_bpermute_b32 v7, v5, v1
	ds_bpermute_b32 v6, v5, v2
	v_add_nc_u32_e32 v5, 1, v3
	s_wait_alu 0xfffe
	s_delay_alu instid0(VALU_DEP_1)
	v_cmp_gt_u32_e32 vcc_lo, s0, v5
	v_mov_b32_e32 v5, v1
	s_and_saveexec_b32 s2, vcc_lo
	s_cbranch_execz .LBB70_54
; %bb.53:
	s_wait_dscnt 0x1
	v_add_co_u32 v5, vcc_lo, v1, v7
	s_wait_alu 0xfffd
	v_add_co_ci_u32_e64 v2, null, 0, v2, vcc_lo
	s_delay_alu instid0(VALU_DEP_2) | instskip(SKIP_2) | instid1(VALU_DEP_2)
	v_add_co_u32 v1, vcc_lo, 0, v5
	s_wait_dscnt 0x0
	s_wait_alu 0xfffd
	v_add_co_ci_u32_e64 v2, null, v6, v2, vcc_lo
.LBB70_54:
	s_wait_alu 0xfffe
	s_or_b32 exec_lo, exec_lo, s2
	v_cmp_gt_u32_e32 vcc_lo, 6, v3
	v_add_nc_u32_e32 v8, 2, v3
	s_mov_b32 s2, exec_lo
	s_wait_dscnt 0x0
	s_wait_alu 0xfffd
	v_cndmask_b32_e64 v6, 0, 2, vcc_lo
	s_delay_alu instid0(VALU_DEP_1)
	v_add_lshl_u32 v6, v6, v34, 2
	ds_bpermute_b32 v7, v6, v5
	ds_bpermute_b32 v6, v6, v2
	v_cmpx_gt_u32_e64 s0, v8
	s_cbranch_execz .LBB70_56
; %bb.55:
	s_wait_dscnt 0x1
	v_add_co_u32 v5, vcc_lo, v1, v7
	s_wait_alu 0xfffd
	v_add_co_ci_u32_e64 v2, null, 0, v2, vcc_lo
	s_delay_alu instid0(VALU_DEP_2) | instskip(SKIP_2) | instid1(VALU_DEP_2)
	v_add_co_u32 v1, vcc_lo, 0, v5
	s_wait_dscnt 0x0
	s_wait_alu 0xfffd
	v_add_co_ci_u32_e64 v2, null, v6, v2, vcc_lo
.LBB70_56:
	s_wait_alu 0xfffe
	s_or_b32 exec_lo, exec_lo, s2
	v_or_b32_e32 v4, 16, v4
	v_add_nc_u32_e32 v3, 4, v3
	ds_bpermute_b32 v5, v4, v5
	ds_bpermute_b32 v4, v4, v2
	v_cmp_gt_u32_e32 vcc_lo, s0, v3
	s_and_saveexec_b32 s0, vcc_lo
	s_cbranch_execz .LBB70_58
; %bb.57:
	s_wait_dscnt 0x1
	v_add_co_u32 v1, vcc_lo, v1, v5
	s_wait_alu 0xfffd
	v_add_co_ci_u32_e64 v2, null, 0, v2, vcc_lo
	s_delay_alu instid0(VALU_DEP_2) | instskip(SKIP_2) | instid1(VALU_DEP_2)
	v_add_co_u32 v1, vcc_lo, v1, 0
	s_wait_dscnt 0x0
	s_wait_alu 0xfffd
	v_add_co_ci_u32_e64 v2, null, v2, v4, vcc_lo
.LBB70_58:
	s_wait_alu 0xfffe
	s_or_b32 exec_lo, exec_lo, s0
.LBB70_59:
	s_wait_alu 0xfffe
	s_or_b32 exec_lo, exec_lo, s1
.LBB70_60:
	s_delay_alu instid0(SALU_CYCLE_1)
	s_mov_b32 s0, exec_lo
	v_cmpx_eq_u32_e32 0, v0
	s_cbranch_execz .LBB70_62
; %bb.61:
	s_mul_u64 s[0:1], s[20:21], s[18:19]
	v_mov_b32_e32 v0, 0
	s_wait_alu 0xfffe
	s_lshl_b64 s[0:1], s[0:1], 3
	s_cmp_eq_u64 s[14:15], 0
	s_wait_alu 0xfffe
	s_add_nc_u64 s[0:1], s[16:17], s[0:1]
	s_cselect_b32 s2, -1, 0
	s_wait_alu 0xfffe
	v_cndmask_b32_e64 v2, v2, s23, s2
	v_cndmask_b32_e64 v1, v1, s22, s2
	s_lshl_b64 s[2:3], s[24:25], 3
	s_wait_alu 0xfffe
	s_add_nc_u64 s[0:1], s[0:1], s[2:3]
	global_store_b64 v0, v[1:2], s[0:1]
.LBB70_62:
	s_endpgm
	.section	.rodata,"a",@progbits
	.p2align	6, 0x0
	.amdhsa_kernel _ZN7rocprim17ROCPRIM_400000_NS6detail17trampoline_kernelINS0_14default_configENS1_22reduce_config_selectorIlEEZNS1_11reduce_implILb1ES3_N6thrust23THRUST_200600_302600_NS11hip_rocprim26transform_input_iterator_tIlNS8_6detail15normal_iteratorINS8_10device_ptrIiEEEE6is_oddIiEEEPllNS8_4plusIlEEEE10hipError_tPvRmT1_T2_T3_mT4_P12ihipStream_tbEUlT_E0_NS1_11comp_targetILNS1_3genE10ELNS1_11target_archE1201ELNS1_3gpuE5ELNS1_3repE0EEENS1_30default_config_static_selectorELNS0_4arch9wavefront6targetE0EEEvSP_
		.amdhsa_group_segment_fixed_size 128
		.amdhsa_private_segment_fixed_size 0
		.amdhsa_kernarg_size 72
		.amdhsa_user_sgpr_count 2
		.amdhsa_user_sgpr_dispatch_ptr 0
		.amdhsa_user_sgpr_queue_ptr 0
		.amdhsa_user_sgpr_kernarg_segment_ptr 1
		.amdhsa_user_sgpr_dispatch_id 0
		.amdhsa_user_sgpr_private_segment_size 0
		.amdhsa_wavefront_size32 1
		.amdhsa_uses_dynamic_stack 0
		.amdhsa_enable_private_segment 0
		.amdhsa_system_sgpr_workgroup_id_x 1
		.amdhsa_system_sgpr_workgroup_id_y 0
		.amdhsa_system_sgpr_workgroup_id_z 0
		.amdhsa_system_sgpr_workgroup_info 0
		.amdhsa_system_vgpr_workitem_id 0
		.amdhsa_next_free_vgpr 36
		.amdhsa_next_free_sgpr 30
		.amdhsa_reserve_vcc 1
		.amdhsa_float_round_mode_32 0
		.amdhsa_float_round_mode_16_64 0
		.amdhsa_float_denorm_mode_32 3
		.amdhsa_float_denorm_mode_16_64 3
		.amdhsa_fp16_overflow 0
		.amdhsa_workgroup_processor_mode 1
		.amdhsa_memory_ordered 1
		.amdhsa_forward_progress 1
		.amdhsa_inst_pref_size 37
		.amdhsa_round_robin_scheduling 0
		.amdhsa_exception_fp_ieee_invalid_op 0
		.amdhsa_exception_fp_denorm_src 0
		.amdhsa_exception_fp_ieee_div_zero 0
		.amdhsa_exception_fp_ieee_overflow 0
		.amdhsa_exception_fp_ieee_underflow 0
		.amdhsa_exception_fp_ieee_inexact 0
		.amdhsa_exception_int_div_zero 0
	.end_amdhsa_kernel
	.section	.text._ZN7rocprim17ROCPRIM_400000_NS6detail17trampoline_kernelINS0_14default_configENS1_22reduce_config_selectorIlEEZNS1_11reduce_implILb1ES3_N6thrust23THRUST_200600_302600_NS11hip_rocprim26transform_input_iterator_tIlNS8_6detail15normal_iteratorINS8_10device_ptrIiEEEE6is_oddIiEEEPllNS8_4plusIlEEEE10hipError_tPvRmT1_T2_T3_mT4_P12ihipStream_tbEUlT_E0_NS1_11comp_targetILNS1_3genE10ELNS1_11target_archE1201ELNS1_3gpuE5ELNS1_3repE0EEENS1_30default_config_static_selectorELNS0_4arch9wavefront6targetE0EEEvSP_,"axG",@progbits,_ZN7rocprim17ROCPRIM_400000_NS6detail17trampoline_kernelINS0_14default_configENS1_22reduce_config_selectorIlEEZNS1_11reduce_implILb1ES3_N6thrust23THRUST_200600_302600_NS11hip_rocprim26transform_input_iterator_tIlNS8_6detail15normal_iteratorINS8_10device_ptrIiEEEE6is_oddIiEEEPllNS8_4plusIlEEEE10hipError_tPvRmT1_T2_T3_mT4_P12ihipStream_tbEUlT_E0_NS1_11comp_targetILNS1_3genE10ELNS1_11target_archE1201ELNS1_3gpuE5ELNS1_3repE0EEENS1_30default_config_static_selectorELNS0_4arch9wavefront6targetE0EEEvSP_,comdat
.Lfunc_end70:
	.size	_ZN7rocprim17ROCPRIM_400000_NS6detail17trampoline_kernelINS0_14default_configENS1_22reduce_config_selectorIlEEZNS1_11reduce_implILb1ES3_N6thrust23THRUST_200600_302600_NS11hip_rocprim26transform_input_iterator_tIlNS8_6detail15normal_iteratorINS8_10device_ptrIiEEEE6is_oddIiEEEPllNS8_4plusIlEEEE10hipError_tPvRmT1_T2_T3_mT4_P12ihipStream_tbEUlT_E0_NS1_11comp_targetILNS1_3genE10ELNS1_11target_archE1201ELNS1_3gpuE5ELNS1_3repE0EEENS1_30default_config_static_selectorELNS0_4arch9wavefront6targetE0EEEvSP_, .Lfunc_end70-_ZN7rocprim17ROCPRIM_400000_NS6detail17trampoline_kernelINS0_14default_configENS1_22reduce_config_selectorIlEEZNS1_11reduce_implILb1ES3_N6thrust23THRUST_200600_302600_NS11hip_rocprim26transform_input_iterator_tIlNS8_6detail15normal_iteratorINS8_10device_ptrIiEEEE6is_oddIiEEEPllNS8_4plusIlEEEE10hipError_tPvRmT1_T2_T3_mT4_P12ihipStream_tbEUlT_E0_NS1_11comp_targetILNS1_3genE10ELNS1_11target_archE1201ELNS1_3gpuE5ELNS1_3repE0EEENS1_30default_config_static_selectorELNS0_4arch9wavefront6targetE0EEEvSP_
                                        ; -- End function
	.set _ZN7rocprim17ROCPRIM_400000_NS6detail17trampoline_kernelINS0_14default_configENS1_22reduce_config_selectorIlEEZNS1_11reduce_implILb1ES3_N6thrust23THRUST_200600_302600_NS11hip_rocprim26transform_input_iterator_tIlNS8_6detail15normal_iteratorINS8_10device_ptrIiEEEE6is_oddIiEEEPllNS8_4plusIlEEEE10hipError_tPvRmT1_T2_T3_mT4_P12ihipStream_tbEUlT_E0_NS1_11comp_targetILNS1_3genE10ELNS1_11target_archE1201ELNS1_3gpuE5ELNS1_3repE0EEENS1_30default_config_static_selectorELNS0_4arch9wavefront6targetE0EEEvSP_.num_vgpr, 36
	.set _ZN7rocprim17ROCPRIM_400000_NS6detail17trampoline_kernelINS0_14default_configENS1_22reduce_config_selectorIlEEZNS1_11reduce_implILb1ES3_N6thrust23THRUST_200600_302600_NS11hip_rocprim26transform_input_iterator_tIlNS8_6detail15normal_iteratorINS8_10device_ptrIiEEEE6is_oddIiEEEPllNS8_4plusIlEEEE10hipError_tPvRmT1_T2_T3_mT4_P12ihipStream_tbEUlT_E0_NS1_11comp_targetILNS1_3genE10ELNS1_11target_archE1201ELNS1_3gpuE5ELNS1_3repE0EEENS1_30default_config_static_selectorELNS0_4arch9wavefront6targetE0EEEvSP_.num_agpr, 0
	.set _ZN7rocprim17ROCPRIM_400000_NS6detail17trampoline_kernelINS0_14default_configENS1_22reduce_config_selectorIlEEZNS1_11reduce_implILb1ES3_N6thrust23THRUST_200600_302600_NS11hip_rocprim26transform_input_iterator_tIlNS8_6detail15normal_iteratorINS8_10device_ptrIiEEEE6is_oddIiEEEPllNS8_4plusIlEEEE10hipError_tPvRmT1_T2_T3_mT4_P12ihipStream_tbEUlT_E0_NS1_11comp_targetILNS1_3genE10ELNS1_11target_archE1201ELNS1_3gpuE5ELNS1_3repE0EEENS1_30default_config_static_selectorELNS0_4arch9wavefront6targetE0EEEvSP_.numbered_sgpr, 30
	.set _ZN7rocprim17ROCPRIM_400000_NS6detail17trampoline_kernelINS0_14default_configENS1_22reduce_config_selectorIlEEZNS1_11reduce_implILb1ES3_N6thrust23THRUST_200600_302600_NS11hip_rocprim26transform_input_iterator_tIlNS8_6detail15normal_iteratorINS8_10device_ptrIiEEEE6is_oddIiEEEPllNS8_4plusIlEEEE10hipError_tPvRmT1_T2_T3_mT4_P12ihipStream_tbEUlT_E0_NS1_11comp_targetILNS1_3genE10ELNS1_11target_archE1201ELNS1_3gpuE5ELNS1_3repE0EEENS1_30default_config_static_selectorELNS0_4arch9wavefront6targetE0EEEvSP_.num_named_barrier, 0
	.set _ZN7rocprim17ROCPRIM_400000_NS6detail17trampoline_kernelINS0_14default_configENS1_22reduce_config_selectorIlEEZNS1_11reduce_implILb1ES3_N6thrust23THRUST_200600_302600_NS11hip_rocprim26transform_input_iterator_tIlNS8_6detail15normal_iteratorINS8_10device_ptrIiEEEE6is_oddIiEEEPllNS8_4plusIlEEEE10hipError_tPvRmT1_T2_T3_mT4_P12ihipStream_tbEUlT_E0_NS1_11comp_targetILNS1_3genE10ELNS1_11target_archE1201ELNS1_3gpuE5ELNS1_3repE0EEENS1_30default_config_static_selectorELNS0_4arch9wavefront6targetE0EEEvSP_.private_seg_size, 0
	.set _ZN7rocprim17ROCPRIM_400000_NS6detail17trampoline_kernelINS0_14default_configENS1_22reduce_config_selectorIlEEZNS1_11reduce_implILb1ES3_N6thrust23THRUST_200600_302600_NS11hip_rocprim26transform_input_iterator_tIlNS8_6detail15normal_iteratorINS8_10device_ptrIiEEEE6is_oddIiEEEPllNS8_4plusIlEEEE10hipError_tPvRmT1_T2_T3_mT4_P12ihipStream_tbEUlT_E0_NS1_11comp_targetILNS1_3genE10ELNS1_11target_archE1201ELNS1_3gpuE5ELNS1_3repE0EEENS1_30default_config_static_selectorELNS0_4arch9wavefront6targetE0EEEvSP_.uses_vcc, 1
	.set _ZN7rocprim17ROCPRIM_400000_NS6detail17trampoline_kernelINS0_14default_configENS1_22reduce_config_selectorIlEEZNS1_11reduce_implILb1ES3_N6thrust23THRUST_200600_302600_NS11hip_rocprim26transform_input_iterator_tIlNS8_6detail15normal_iteratorINS8_10device_ptrIiEEEE6is_oddIiEEEPllNS8_4plusIlEEEE10hipError_tPvRmT1_T2_T3_mT4_P12ihipStream_tbEUlT_E0_NS1_11comp_targetILNS1_3genE10ELNS1_11target_archE1201ELNS1_3gpuE5ELNS1_3repE0EEENS1_30default_config_static_selectorELNS0_4arch9wavefront6targetE0EEEvSP_.uses_flat_scratch, 1
	.set _ZN7rocprim17ROCPRIM_400000_NS6detail17trampoline_kernelINS0_14default_configENS1_22reduce_config_selectorIlEEZNS1_11reduce_implILb1ES3_N6thrust23THRUST_200600_302600_NS11hip_rocprim26transform_input_iterator_tIlNS8_6detail15normal_iteratorINS8_10device_ptrIiEEEE6is_oddIiEEEPllNS8_4plusIlEEEE10hipError_tPvRmT1_T2_T3_mT4_P12ihipStream_tbEUlT_E0_NS1_11comp_targetILNS1_3genE10ELNS1_11target_archE1201ELNS1_3gpuE5ELNS1_3repE0EEENS1_30default_config_static_selectorELNS0_4arch9wavefront6targetE0EEEvSP_.has_dyn_sized_stack, 0
	.set _ZN7rocprim17ROCPRIM_400000_NS6detail17trampoline_kernelINS0_14default_configENS1_22reduce_config_selectorIlEEZNS1_11reduce_implILb1ES3_N6thrust23THRUST_200600_302600_NS11hip_rocprim26transform_input_iterator_tIlNS8_6detail15normal_iteratorINS8_10device_ptrIiEEEE6is_oddIiEEEPllNS8_4plusIlEEEE10hipError_tPvRmT1_T2_T3_mT4_P12ihipStream_tbEUlT_E0_NS1_11comp_targetILNS1_3genE10ELNS1_11target_archE1201ELNS1_3gpuE5ELNS1_3repE0EEENS1_30default_config_static_selectorELNS0_4arch9wavefront6targetE0EEEvSP_.has_recursion, 0
	.set _ZN7rocprim17ROCPRIM_400000_NS6detail17trampoline_kernelINS0_14default_configENS1_22reduce_config_selectorIlEEZNS1_11reduce_implILb1ES3_N6thrust23THRUST_200600_302600_NS11hip_rocprim26transform_input_iterator_tIlNS8_6detail15normal_iteratorINS8_10device_ptrIiEEEE6is_oddIiEEEPllNS8_4plusIlEEEE10hipError_tPvRmT1_T2_T3_mT4_P12ihipStream_tbEUlT_E0_NS1_11comp_targetILNS1_3genE10ELNS1_11target_archE1201ELNS1_3gpuE5ELNS1_3repE0EEENS1_30default_config_static_selectorELNS0_4arch9wavefront6targetE0EEEvSP_.has_indirect_call, 0
	.section	.AMDGPU.csdata,"",@progbits
; Kernel info:
; codeLenInByte = 4736
; TotalNumSgprs: 32
; NumVgprs: 36
; ScratchSize: 0
; MemoryBound: 0
; FloatMode: 240
; IeeeMode: 1
; LDSByteSize: 128 bytes/workgroup (compile time only)
; SGPRBlocks: 0
; VGPRBlocks: 4
; NumSGPRsForWavesPerEU: 32
; NumVGPRsForWavesPerEU: 36
; Occupancy: 16
; WaveLimiterHint : 1
; COMPUTE_PGM_RSRC2:SCRATCH_EN: 0
; COMPUTE_PGM_RSRC2:USER_SGPR: 2
; COMPUTE_PGM_RSRC2:TRAP_HANDLER: 0
; COMPUTE_PGM_RSRC2:TGID_X_EN: 1
; COMPUTE_PGM_RSRC2:TGID_Y_EN: 0
; COMPUTE_PGM_RSRC2:TGID_Z_EN: 0
; COMPUTE_PGM_RSRC2:TIDIG_COMP_CNT: 0
	.section	.text._ZN7rocprim17ROCPRIM_400000_NS6detail17trampoline_kernelINS0_14default_configENS1_22reduce_config_selectorIlEEZNS1_11reduce_implILb1ES3_N6thrust23THRUST_200600_302600_NS11hip_rocprim26transform_input_iterator_tIlNS8_6detail15normal_iteratorINS8_10device_ptrIiEEEE6is_oddIiEEEPllNS8_4plusIlEEEE10hipError_tPvRmT1_T2_T3_mT4_P12ihipStream_tbEUlT_E0_NS1_11comp_targetILNS1_3genE10ELNS1_11target_archE1200ELNS1_3gpuE4ELNS1_3repE0EEENS1_30default_config_static_selectorELNS0_4arch9wavefront6targetE0EEEvSP_,"axG",@progbits,_ZN7rocprim17ROCPRIM_400000_NS6detail17trampoline_kernelINS0_14default_configENS1_22reduce_config_selectorIlEEZNS1_11reduce_implILb1ES3_N6thrust23THRUST_200600_302600_NS11hip_rocprim26transform_input_iterator_tIlNS8_6detail15normal_iteratorINS8_10device_ptrIiEEEE6is_oddIiEEEPllNS8_4plusIlEEEE10hipError_tPvRmT1_T2_T3_mT4_P12ihipStream_tbEUlT_E0_NS1_11comp_targetILNS1_3genE10ELNS1_11target_archE1200ELNS1_3gpuE4ELNS1_3repE0EEENS1_30default_config_static_selectorELNS0_4arch9wavefront6targetE0EEEvSP_,comdat
	.protected	_ZN7rocprim17ROCPRIM_400000_NS6detail17trampoline_kernelINS0_14default_configENS1_22reduce_config_selectorIlEEZNS1_11reduce_implILb1ES3_N6thrust23THRUST_200600_302600_NS11hip_rocprim26transform_input_iterator_tIlNS8_6detail15normal_iteratorINS8_10device_ptrIiEEEE6is_oddIiEEEPllNS8_4plusIlEEEE10hipError_tPvRmT1_T2_T3_mT4_P12ihipStream_tbEUlT_E0_NS1_11comp_targetILNS1_3genE10ELNS1_11target_archE1200ELNS1_3gpuE4ELNS1_3repE0EEENS1_30default_config_static_selectorELNS0_4arch9wavefront6targetE0EEEvSP_ ; -- Begin function _ZN7rocprim17ROCPRIM_400000_NS6detail17trampoline_kernelINS0_14default_configENS1_22reduce_config_selectorIlEEZNS1_11reduce_implILb1ES3_N6thrust23THRUST_200600_302600_NS11hip_rocprim26transform_input_iterator_tIlNS8_6detail15normal_iteratorINS8_10device_ptrIiEEEE6is_oddIiEEEPllNS8_4plusIlEEEE10hipError_tPvRmT1_T2_T3_mT4_P12ihipStream_tbEUlT_E0_NS1_11comp_targetILNS1_3genE10ELNS1_11target_archE1200ELNS1_3gpuE4ELNS1_3repE0EEENS1_30default_config_static_selectorELNS0_4arch9wavefront6targetE0EEEvSP_
	.globl	_ZN7rocprim17ROCPRIM_400000_NS6detail17trampoline_kernelINS0_14default_configENS1_22reduce_config_selectorIlEEZNS1_11reduce_implILb1ES3_N6thrust23THRUST_200600_302600_NS11hip_rocprim26transform_input_iterator_tIlNS8_6detail15normal_iteratorINS8_10device_ptrIiEEEE6is_oddIiEEEPllNS8_4plusIlEEEE10hipError_tPvRmT1_T2_T3_mT4_P12ihipStream_tbEUlT_E0_NS1_11comp_targetILNS1_3genE10ELNS1_11target_archE1200ELNS1_3gpuE4ELNS1_3repE0EEENS1_30default_config_static_selectorELNS0_4arch9wavefront6targetE0EEEvSP_
	.p2align	8
	.type	_ZN7rocprim17ROCPRIM_400000_NS6detail17trampoline_kernelINS0_14default_configENS1_22reduce_config_selectorIlEEZNS1_11reduce_implILb1ES3_N6thrust23THRUST_200600_302600_NS11hip_rocprim26transform_input_iterator_tIlNS8_6detail15normal_iteratorINS8_10device_ptrIiEEEE6is_oddIiEEEPllNS8_4plusIlEEEE10hipError_tPvRmT1_T2_T3_mT4_P12ihipStream_tbEUlT_E0_NS1_11comp_targetILNS1_3genE10ELNS1_11target_archE1200ELNS1_3gpuE4ELNS1_3repE0EEENS1_30default_config_static_selectorELNS0_4arch9wavefront6targetE0EEEvSP_,@function
_ZN7rocprim17ROCPRIM_400000_NS6detail17trampoline_kernelINS0_14default_configENS1_22reduce_config_selectorIlEEZNS1_11reduce_implILb1ES3_N6thrust23THRUST_200600_302600_NS11hip_rocprim26transform_input_iterator_tIlNS8_6detail15normal_iteratorINS8_10device_ptrIiEEEE6is_oddIiEEEPllNS8_4plusIlEEEE10hipError_tPvRmT1_T2_T3_mT4_P12ihipStream_tbEUlT_E0_NS1_11comp_targetILNS1_3genE10ELNS1_11target_archE1200ELNS1_3gpuE4ELNS1_3repE0EEENS1_30default_config_static_selectorELNS0_4arch9wavefront6targetE0EEEvSP_: ; @_ZN7rocprim17ROCPRIM_400000_NS6detail17trampoline_kernelINS0_14default_configENS1_22reduce_config_selectorIlEEZNS1_11reduce_implILb1ES3_N6thrust23THRUST_200600_302600_NS11hip_rocprim26transform_input_iterator_tIlNS8_6detail15normal_iteratorINS8_10device_ptrIiEEEE6is_oddIiEEEPllNS8_4plusIlEEEE10hipError_tPvRmT1_T2_T3_mT4_P12ihipStream_tbEUlT_E0_NS1_11comp_targetILNS1_3genE10ELNS1_11target_archE1200ELNS1_3gpuE4ELNS1_3repE0EEENS1_30default_config_static_selectorELNS0_4arch9wavefront6targetE0EEEvSP_
; %bb.0:
	.section	.rodata,"a",@progbits
	.p2align	6, 0x0
	.amdhsa_kernel _ZN7rocprim17ROCPRIM_400000_NS6detail17trampoline_kernelINS0_14default_configENS1_22reduce_config_selectorIlEEZNS1_11reduce_implILb1ES3_N6thrust23THRUST_200600_302600_NS11hip_rocprim26transform_input_iterator_tIlNS8_6detail15normal_iteratorINS8_10device_ptrIiEEEE6is_oddIiEEEPllNS8_4plusIlEEEE10hipError_tPvRmT1_T2_T3_mT4_P12ihipStream_tbEUlT_E0_NS1_11comp_targetILNS1_3genE10ELNS1_11target_archE1200ELNS1_3gpuE4ELNS1_3repE0EEENS1_30default_config_static_selectorELNS0_4arch9wavefront6targetE0EEEvSP_
		.amdhsa_group_segment_fixed_size 0
		.amdhsa_private_segment_fixed_size 0
		.amdhsa_kernarg_size 72
		.amdhsa_user_sgpr_count 2
		.amdhsa_user_sgpr_dispatch_ptr 0
		.amdhsa_user_sgpr_queue_ptr 0
		.amdhsa_user_sgpr_kernarg_segment_ptr 1
		.amdhsa_user_sgpr_dispatch_id 0
		.amdhsa_user_sgpr_private_segment_size 0
		.amdhsa_wavefront_size32 1
		.amdhsa_uses_dynamic_stack 0
		.amdhsa_enable_private_segment 0
		.amdhsa_system_sgpr_workgroup_id_x 1
		.amdhsa_system_sgpr_workgroup_id_y 0
		.amdhsa_system_sgpr_workgroup_id_z 0
		.amdhsa_system_sgpr_workgroup_info 0
		.amdhsa_system_vgpr_workitem_id 0
		.amdhsa_next_free_vgpr 1
		.amdhsa_next_free_sgpr 1
		.amdhsa_reserve_vcc 0
		.amdhsa_float_round_mode_32 0
		.amdhsa_float_round_mode_16_64 0
		.amdhsa_float_denorm_mode_32 3
		.amdhsa_float_denorm_mode_16_64 3
		.amdhsa_fp16_overflow 0
		.amdhsa_workgroup_processor_mode 1
		.amdhsa_memory_ordered 1
		.amdhsa_forward_progress 1
		.amdhsa_inst_pref_size 0
		.amdhsa_round_robin_scheduling 0
		.amdhsa_exception_fp_ieee_invalid_op 0
		.amdhsa_exception_fp_denorm_src 0
		.amdhsa_exception_fp_ieee_div_zero 0
		.amdhsa_exception_fp_ieee_overflow 0
		.amdhsa_exception_fp_ieee_underflow 0
		.amdhsa_exception_fp_ieee_inexact 0
		.amdhsa_exception_int_div_zero 0
	.end_amdhsa_kernel
	.section	.text._ZN7rocprim17ROCPRIM_400000_NS6detail17trampoline_kernelINS0_14default_configENS1_22reduce_config_selectorIlEEZNS1_11reduce_implILb1ES3_N6thrust23THRUST_200600_302600_NS11hip_rocprim26transform_input_iterator_tIlNS8_6detail15normal_iteratorINS8_10device_ptrIiEEEE6is_oddIiEEEPllNS8_4plusIlEEEE10hipError_tPvRmT1_T2_T3_mT4_P12ihipStream_tbEUlT_E0_NS1_11comp_targetILNS1_3genE10ELNS1_11target_archE1200ELNS1_3gpuE4ELNS1_3repE0EEENS1_30default_config_static_selectorELNS0_4arch9wavefront6targetE0EEEvSP_,"axG",@progbits,_ZN7rocprim17ROCPRIM_400000_NS6detail17trampoline_kernelINS0_14default_configENS1_22reduce_config_selectorIlEEZNS1_11reduce_implILb1ES3_N6thrust23THRUST_200600_302600_NS11hip_rocprim26transform_input_iterator_tIlNS8_6detail15normal_iteratorINS8_10device_ptrIiEEEE6is_oddIiEEEPllNS8_4plusIlEEEE10hipError_tPvRmT1_T2_T3_mT4_P12ihipStream_tbEUlT_E0_NS1_11comp_targetILNS1_3genE10ELNS1_11target_archE1200ELNS1_3gpuE4ELNS1_3repE0EEENS1_30default_config_static_selectorELNS0_4arch9wavefront6targetE0EEEvSP_,comdat
.Lfunc_end71:
	.size	_ZN7rocprim17ROCPRIM_400000_NS6detail17trampoline_kernelINS0_14default_configENS1_22reduce_config_selectorIlEEZNS1_11reduce_implILb1ES3_N6thrust23THRUST_200600_302600_NS11hip_rocprim26transform_input_iterator_tIlNS8_6detail15normal_iteratorINS8_10device_ptrIiEEEE6is_oddIiEEEPllNS8_4plusIlEEEE10hipError_tPvRmT1_T2_T3_mT4_P12ihipStream_tbEUlT_E0_NS1_11comp_targetILNS1_3genE10ELNS1_11target_archE1200ELNS1_3gpuE4ELNS1_3repE0EEENS1_30default_config_static_selectorELNS0_4arch9wavefront6targetE0EEEvSP_, .Lfunc_end71-_ZN7rocprim17ROCPRIM_400000_NS6detail17trampoline_kernelINS0_14default_configENS1_22reduce_config_selectorIlEEZNS1_11reduce_implILb1ES3_N6thrust23THRUST_200600_302600_NS11hip_rocprim26transform_input_iterator_tIlNS8_6detail15normal_iteratorINS8_10device_ptrIiEEEE6is_oddIiEEEPllNS8_4plusIlEEEE10hipError_tPvRmT1_T2_T3_mT4_P12ihipStream_tbEUlT_E0_NS1_11comp_targetILNS1_3genE10ELNS1_11target_archE1200ELNS1_3gpuE4ELNS1_3repE0EEENS1_30default_config_static_selectorELNS0_4arch9wavefront6targetE0EEEvSP_
                                        ; -- End function
	.set _ZN7rocprim17ROCPRIM_400000_NS6detail17trampoline_kernelINS0_14default_configENS1_22reduce_config_selectorIlEEZNS1_11reduce_implILb1ES3_N6thrust23THRUST_200600_302600_NS11hip_rocprim26transform_input_iterator_tIlNS8_6detail15normal_iteratorINS8_10device_ptrIiEEEE6is_oddIiEEEPllNS8_4plusIlEEEE10hipError_tPvRmT1_T2_T3_mT4_P12ihipStream_tbEUlT_E0_NS1_11comp_targetILNS1_3genE10ELNS1_11target_archE1200ELNS1_3gpuE4ELNS1_3repE0EEENS1_30default_config_static_selectorELNS0_4arch9wavefront6targetE0EEEvSP_.num_vgpr, 0
	.set _ZN7rocprim17ROCPRIM_400000_NS6detail17trampoline_kernelINS0_14default_configENS1_22reduce_config_selectorIlEEZNS1_11reduce_implILb1ES3_N6thrust23THRUST_200600_302600_NS11hip_rocprim26transform_input_iterator_tIlNS8_6detail15normal_iteratorINS8_10device_ptrIiEEEE6is_oddIiEEEPllNS8_4plusIlEEEE10hipError_tPvRmT1_T2_T3_mT4_P12ihipStream_tbEUlT_E0_NS1_11comp_targetILNS1_3genE10ELNS1_11target_archE1200ELNS1_3gpuE4ELNS1_3repE0EEENS1_30default_config_static_selectorELNS0_4arch9wavefront6targetE0EEEvSP_.num_agpr, 0
	.set _ZN7rocprim17ROCPRIM_400000_NS6detail17trampoline_kernelINS0_14default_configENS1_22reduce_config_selectorIlEEZNS1_11reduce_implILb1ES3_N6thrust23THRUST_200600_302600_NS11hip_rocprim26transform_input_iterator_tIlNS8_6detail15normal_iteratorINS8_10device_ptrIiEEEE6is_oddIiEEEPllNS8_4plusIlEEEE10hipError_tPvRmT1_T2_T3_mT4_P12ihipStream_tbEUlT_E0_NS1_11comp_targetILNS1_3genE10ELNS1_11target_archE1200ELNS1_3gpuE4ELNS1_3repE0EEENS1_30default_config_static_selectorELNS0_4arch9wavefront6targetE0EEEvSP_.numbered_sgpr, 0
	.set _ZN7rocprim17ROCPRIM_400000_NS6detail17trampoline_kernelINS0_14default_configENS1_22reduce_config_selectorIlEEZNS1_11reduce_implILb1ES3_N6thrust23THRUST_200600_302600_NS11hip_rocprim26transform_input_iterator_tIlNS8_6detail15normal_iteratorINS8_10device_ptrIiEEEE6is_oddIiEEEPllNS8_4plusIlEEEE10hipError_tPvRmT1_T2_T3_mT4_P12ihipStream_tbEUlT_E0_NS1_11comp_targetILNS1_3genE10ELNS1_11target_archE1200ELNS1_3gpuE4ELNS1_3repE0EEENS1_30default_config_static_selectorELNS0_4arch9wavefront6targetE0EEEvSP_.num_named_barrier, 0
	.set _ZN7rocprim17ROCPRIM_400000_NS6detail17trampoline_kernelINS0_14default_configENS1_22reduce_config_selectorIlEEZNS1_11reduce_implILb1ES3_N6thrust23THRUST_200600_302600_NS11hip_rocprim26transform_input_iterator_tIlNS8_6detail15normal_iteratorINS8_10device_ptrIiEEEE6is_oddIiEEEPllNS8_4plusIlEEEE10hipError_tPvRmT1_T2_T3_mT4_P12ihipStream_tbEUlT_E0_NS1_11comp_targetILNS1_3genE10ELNS1_11target_archE1200ELNS1_3gpuE4ELNS1_3repE0EEENS1_30default_config_static_selectorELNS0_4arch9wavefront6targetE0EEEvSP_.private_seg_size, 0
	.set _ZN7rocprim17ROCPRIM_400000_NS6detail17trampoline_kernelINS0_14default_configENS1_22reduce_config_selectorIlEEZNS1_11reduce_implILb1ES3_N6thrust23THRUST_200600_302600_NS11hip_rocprim26transform_input_iterator_tIlNS8_6detail15normal_iteratorINS8_10device_ptrIiEEEE6is_oddIiEEEPllNS8_4plusIlEEEE10hipError_tPvRmT1_T2_T3_mT4_P12ihipStream_tbEUlT_E0_NS1_11comp_targetILNS1_3genE10ELNS1_11target_archE1200ELNS1_3gpuE4ELNS1_3repE0EEENS1_30default_config_static_selectorELNS0_4arch9wavefront6targetE0EEEvSP_.uses_vcc, 0
	.set _ZN7rocprim17ROCPRIM_400000_NS6detail17trampoline_kernelINS0_14default_configENS1_22reduce_config_selectorIlEEZNS1_11reduce_implILb1ES3_N6thrust23THRUST_200600_302600_NS11hip_rocprim26transform_input_iterator_tIlNS8_6detail15normal_iteratorINS8_10device_ptrIiEEEE6is_oddIiEEEPllNS8_4plusIlEEEE10hipError_tPvRmT1_T2_T3_mT4_P12ihipStream_tbEUlT_E0_NS1_11comp_targetILNS1_3genE10ELNS1_11target_archE1200ELNS1_3gpuE4ELNS1_3repE0EEENS1_30default_config_static_selectorELNS0_4arch9wavefront6targetE0EEEvSP_.uses_flat_scratch, 0
	.set _ZN7rocprim17ROCPRIM_400000_NS6detail17trampoline_kernelINS0_14default_configENS1_22reduce_config_selectorIlEEZNS1_11reduce_implILb1ES3_N6thrust23THRUST_200600_302600_NS11hip_rocprim26transform_input_iterator_tIlNS8_6detail15normal_iteratorINS8_10device_ptrIiEEEE6is_oddIiEEEPllNS8_4plusIlEEEE10hipError_tPvRmT1_T2_T3_mT4_P12ihipStream_tbEUlT_E0_NS1_11comp_targetILNS1_3genE10ELNS1_11target_archE1200ELNS1_3gpuE4ELNS1_3repE0EEENS1_30default_config_static_selectorELNS0_4arch9wavefront6targetE0EEEvSP_.has_dyn_sized_stack, 0
	.set _ZN7rocprim17ROCPRIM_400000_NS6detail17trampoline_kernelINS0_14default_configENS1_22reduce_config_selectorIlEEZNS1_11reduce_implILb1ES3_N6thrust23THRUST_200600_302600_NS11hip_rocprim26transform_input_iterator_tIlNS8_6detail15normal_iteratorINS8_10device_ptrIiEEEE6is_oddIiEEEPllNS8_4plusIlEEEE10hipError_tPvRmT1_T2_T3_mT4_P12ihipStream_tbEUlT_E0_NS1_11comp_targetILNS1_3genE10ELNS1_11target_archE1200ELNS1_3gpuE4ELNS1_3repE0EEENS1_30default_config_static_selectorELNS0_4arch9wavefront6targetE0EEEvSP_.has_recursion, 0
	.set _ZN7rocprim17ROCPRIM_400000_NS6detail17trampoline_kernelINS0_14default_configENS1_22reduce_config_selectorIlEEZNS1_11reduce_implILb1ES3_N6thrust23THRUST_200600_302600_NS11hip_rocprim26transform_input_iterator_tIlNS8_6detail15normal_iteratorINS8_10device_ptrIiEEEE6is_oddIiEEEPllNS8_4plusIlEEEE10hipError_tPvRmT1_T2_T3_mT4_P12ihipStream_tbEUlT_E0_NS1_11comp_targetILNS1_3genE10ELNS1_11target_archE1200ELNS1_3gpuE4ELNS1_3repE0EEENS1_30default_config_static_selectorELNS0_4arch9wavefront6targetE0EEEvSP_.has_indirect_call, 0
	.section	.AMDGPU.csdata,"",@progbits
; Kernel info:
; codeLenInByte = 0
; TotalNumSgprs: 0
; NumVgprs: 0
; ScratchSize: 0
; MemoryBound: 0
; FloatMode: 240
; IeeeMode: 1
; LDSByteSize: 0 bytes/workgroup (compile time only)
; SGPRBlocks: 0
; VGPRBlocks: 0
; NumSGPRsForWavesPerEU: 1
; NumVGPRsForWavesPerEU: 1
; Occupancy: 16
; WaveLimiterHint : 0
; COMPUTE_PGM_RSRC2:SCRATCH_EN: 0
; COMPUTE_PGM_RSRC2:USER_SGPR: 2
; COMPUTE_PGM_RSRC2:TRAP_HANDLER: 0
; COMPUTE_PGM_RSRC2:TGID_X_EN: 1
; COMPUTE_PGM_RSRC2:TGID_Y_EN: 0
; COMPUTE_PGM_RSRC2:TGID_Z_EN: 0
; COMPUTE_PGM_RSRC2:TIDIG_COMP_CNT: 0
	.section	.text._ZN7rocprim17ROCPRIM_400000_NS6detail17trampoline_kernelINS0_14default_configENS1_22reduce_config_selectorIlEEZNS1_11reduce_implILb1ES3_N6thrust23THRUST_200600_302600_NS11hip_rocprim26transform_input_iterator_tIlNS8_6detail15normal_iteratorINS8_10device_ptrIiEEEE6is_oddIiEEEPllNS8_4plusIlEEEE10hipError_tPvRmT1_T2_T3_mT4_P12ihipStream_tbEUlT_E0_NS1_11comp_targetILNS1_3genE9ELNS1_11target_archE1100ELNS1_3gpuE3ELNS1_3repE0EEENS1_30default_config_static_selectorELNS0_4arch9wavefront6targetE0EEEvSP_,"axG",@progbits,_ZN7rocprim17ROCPRIM_400000_NS6detail17trampoline_kernelINS0_14default_configENS1_22reduce_config_selectorIlEEZNS1_11reduce_implILb1ES3_N6thrust23THRUST_200600_302600_NS11hip_rocprim26transform_input_iterator_tIlNS8_6detail15normal_iteratorINS8_10device_ptrIiEEEE6is_oddIiEEEPllNS8_4plusIlEEEE10hipError_tPvRmT1_T2_T3_mT4_P12ihipStream_tbEUlT_E0_NS1_11comp_targetILNS1_3genE9ELNS1_11target_archE1100ELNS1_3gpuE3ELNS1_3repE0EEENS1_30default_config_static_selectorELNS0_4arch9wavefront6targetE0EEEvSP_,comdat
	.protected	_ZN7rocprim17ROCPRIM_400000_NS6detail17trampoline_kernelINS0_14default_configENS1_22reduce_config_selectorIlEEZNS1_11reduce_implILb1ES3_N6thrust23THRUST_200600_302600_NS11hip_rocprim26transform_input_iterator_tIlNS8_6detail15normal_iteratorINS8_10device_ptrIiEEEE6is_oddIiEEEPllNS8_4plusIlEEEE10hipError_tPvRmT1_T2_T3_mT4_P12ihipStream_tbEUlT_E0_NS1_11comp_targetILNS1_3genE9ELNS1_11target_archE1100ELNS1_3gpuE3ELNS1_3repE0EEENS1_30default_config_static_selectorELNS0_4arch9wavefront6targetE0EEEvSP_ ; -- Begin function _ZN7rocprim17ROCPRIM_400000_NS6detail17trampoline_kernelINS0_14default_configENS1_22reduce_config_selectorIlEEZNS1_11reduce_implILb1ES3_N6thrust23THRUST_200600_302600_NS11hip_rocprim26transform_input_iterator_tIlNS8_6detail15normal_iteratorINS8_10device_ptrIiEEEE6is_oddIiEEEPllNS8_4plusIlEEEE10hipError_tPvRmT1_T2_T3_mT4_P12ihipStream_tbEUlT_E0_NS1_11comp_targetILNS1_3genE9ELNS1_11target_archE1100ELNS1_3gpuE3ELNS1_3repE0EEENS1_30default_config_static_selectorELNS0_4arch9wavefront6targetE0EEEvSP_
	.globl	_ZN7rocprim17ROCPRIM_400000_NS6detail17trampoline_kernelINS0_14default_configENS1_22reduce_config_selectorIlEEZNS1_11reduce_implILb1ES3_N6thrust23THRUST_200600_302600_NS11hip_rocprim26transform_input_iterator_tIlNS8_6detail15normal_iteratorINS8_10device_ptrIiEEEE6is_oddIiEEEPllNS8_4plusIlEEEE10hipError_tPvRmT1_T2_T3_mT4_P12ihipStream_tbEUlT_E0_NS1_11comp_targetILNS1_3genE9ELNS1_11target_archE1100ELNS1_3gpuE3ELNS1_3repE0EEENS1_30default_config_static_selectorELNS0_4arch9wavefront6targetE0EEEvSP_
	.p2align	8
	.type	_ZN7rocprim17ROCPRIM_400000_NS6detail17trampoline_kernelINS0_14default_configENS1_22reduce_config_selectorIlEEZNS1_11reduce_implILb1ES3_N6thrust23THRUST_200600_302600_NS11hip_rocprim26transform_input_iterator_tIlNS8_6detail15normal_iteratorINS8_10device_ptrIiEEEE6is_oddIiEEEPllNS8_4plusIlEEEE10hipError_tPvRmT1_T2_T3_mT4_P12ihipStream_tbEUlT_E0_NS1_11comp_targetILNS1_3genE9ELNS1_11target_archE1100ELNS1_3gpuE3ELNS1_3repE0EEENS1_30default_config_static_selectorELNS0_4arch9wavefront6targetE0EEEvSP_,@function
_ZN7rocprim17ROCPRIM_400000_NS6detail17trampoline_kernelINS0_14default_configENS1_22reduce_config_selectorIlEEZNS1_11reduce_implILb1ES3_N6thrust23THRUST_200600_302600_NS11hip_rocprim26transform_input_iterator_tIlNS8_6detail15normal_iteratorINS8_10device_ptrIiEEEE6is_oddIiEEEPllNS8_4plusIlEEEE10hipError_tPvRmT1_T2_T3_mT4_P12ihipStream_tbEUlT_E0_NS1_11comp_targetILNS1_3genE9ELNS1_11target_archE1100ELNS1_3gpuE3ELNS1_3repE0EEENS1_30default_config_static_selectorELNS0_4arch9wavefront6targetE0EEEvSP_: ; @_ZN7rocprim17ROCPRIM_400000_NS6detail17trampoline_kernelINS0_14default_configENS1_22reduce_config_selectorIlEEZNS1_11reduce_implILb1ES3_N6thrust23THRUST_200600_302600_NS11hip_rocprim26transform_input_iterator_tIlNS8_6detail15normal_iteratorINS8_10device_ptrIiEEEE6is_oddIiEEEPllNS8_4plusIlEEEE10hipError_tPvRmT1_T2_T3_mT4_P12ihipStream_tbEUlT_E0_NS1_11comp_targetILNS1_3genE9ELNS1_11target_archE1100ELNS1_3gpuE3ELNS1_3repE0EEENS1_30default_config_static_selectorELNS0_4arch9wavefront6targetE0EEEvSP_
; %bb.0:
	.section	.rodata,"a",@progbits
	.p2align	6, 0x0
	.amdhsa_kernel _ZN7rocprim17ROCPRIM_400000_NS6detail17trampoline_kernelINS0_14default_configENS1_22reduce_config_selectorIlEEZNS1_11reduce_implILb1ES3_N6thrust23THRUST_200600_302600_NS11hip_rocprim26transform_input_iterator_tIlNS8_6detail15normal_iteratorINS8_10device_ptrIiEEEE6is_oddIiEEEPllNS8_4plusIlEEEE10hipError_tPvRmT1_T2_T3_mT4_P12ihipStream_tbEUlT_E0_NS1_11comp_targetILNS1_3genE9ELNS1_11target_archE1100ELNS1_3gpuE3ELNS1_3repE0EEENS1_30default_config_static_selectorELNS0_4arch9wavefront6targetE0EEEvSP_
		.amdhsa_group_segment_fixed_size 0
		.amdhsa_private_segment_fixed_size 0
		.amdhsa_kernarg_size 72
		.amdhsa_user_sgpr_count 2
		.amdhsa_user_sgpr_dispatch_ptr 0
		.amdhsa_user_sgpr_queue_ptr 0
		.amdhsa_user_sgpr_kernarg_segment_ptr 1
		.amdhsa_user_sgpr_dispatch_id 0
		.amdhsa_user_sgpr_private_segment_size 0
		.amdhsa_wavefront_size32 1
		.amdhsa_uses_dynamic_stack 0
		.amdhsa_enable_private_segment 0
		.amdhsa_system_sgpr_workgroup_id_x 1
		.amdhsa_system_sgpr_workgroup_id_y 0
		.amdhsa_system_sgpr_workgroup_id_z 0
		.amdhsa_system_sgpr_workgroup_info 0
		.amdhsa_system_vgpr_workitem_id 0
		.amdhsa_next_free_vgpr 1
		.amdhsa_next_free_sgpr 1
		.amdhsa_reserve_vcc 0
		.amdhsa_float_round_mode_32 0
		.amdhsa_float_round_mode_16_64 0
		.amdhsa_float_denorm_mode_32 3
		.amdhsa_float_denorm_mode_16_64 3
		.amdhsa_fp16_overflow 0
		.amdhsa_workgroup_processor_mode 1
		.amdhsa_memory_ordered 1
		.amdhsa_forward_progress 1
		.amdhsa_inst_pref_size 0
		.amdhsa_round_robin_scheduling 0
		.amdhsa_exception_fp_ieee_invalid_op 0
		.amdhsa_exception_fp_denorm_src 0
		.amdhsa_exception_fp_ieee_div_zero 0
		.amdhsa_exception_fp_ieee_overflow 0
		.amdhsa_exception_fp_ieee_underflow 0
		.amdhsa_exception_fp_ieee_inexact 0
		.amdhsa_exception_int_div_zero 0
	.end_amdhsa_kernel
	.section	.text._ZN7rocprim17ROCPRIM_400000_NS6detail17trampoline_kernelINS0_14default_configENS1_22reduce_config_selectorIlEEZNS1_11reduce_implILb1ES3_N6thrust23THRUST_200600_302600_NS11hip_rocprim26transform_input_iterator_tIlNS8_6detail15normal_iteratorINS8_10device_ptrIiEEEE6is_oddIiEEEPllNS8_4plusIlEEEE10hipError_tPvRmT1_T2_T3_mT4_P12ihipStream_tbEUlT_E0_NS1_11comp_targetILNS1_3genE9ELNS1_11target_archE1100ELNS1_3gpuE3ELNS1_3repE0EEENS1_30default_config_static_selectorELNS0_4arch9wavefront6targetE0EEEvSP_,"axG",@progbits,_ZN7rocprim17ROCPRIM_400000_NS6detail17trampoline_kernelINS0_14default_configENS1_22reduce_config_selectorIlEEZNS1_11reduce_implILb1ES3_N6thrust23THRUST_200600_302600_NS11hip_rocprim26transform_input_iterator_tIlNS8_6detail15normal_iteratorINS8_10device_ptrIiEEEE6is_oddIiEEEPllNS8_4plusIlEEEE10hipError_tPvRmT1_T2_T3_mT4_P12ihipStream_tbEUlT_E0_NS1_11comp_targetILNS1_3genE9ELNS1_11target_archE1100ELNS1_3gpuE3ELNS1_3repE0EEENS1_30default_config_static_selectorELNS0_4arch9wavefront6targetE0EEEvSP_,comdat
.Lfunc_end72:
	.size	_ZN7rocprim17ROCPRIM_400000_NS6detail17trampoline_kernelINS0_14default_configENS1_22reduce_config_selectorIlEEZNS1_11reduce_implILb1ES3_N6thrust23THRUST_200600_302600_NS11hip_rocprim26transform_input_iterator_tIlNS8_6detail15normal_iteratorINS8_10device_ptrIiEEEE6is_oddIiEEEPllNS8_4plusIlEEEE10hipError_tPvRmT1_T2_T3_mT4_P12ihipStream_tbEUlT_E0_NS1_11comp_targetILNS1_3genE9ELNS1_11target_archE1100ELNS1_3gpuE3ELNS1_3repE0EEENS1_30default_config_static_selectorELNS0_4arch9wavefront6targetE0EEEvSP_, .Lfunc_end72-_ZN7rocprim17ROCPRIM_400000_NS6detail17trampoline_kernelINS0_14default_configENS1_22reduce_config_selectorIlEEZNS1_11reduce_implILb1ES3_N6thrust23THRUST_200600_302600_NS11hip_rocprim26transform_input_iterator_tIlNS8_6detail15normal_iteratorINS8_10device_ptrIiEEEE6is_oddIiEEEPllNS8_4plusIlEEEE10hipError_tPvRmT1_T2_T3_mT4_P12ihipStream_tbEUlT_E0_NS1_11comp_targetILNS1_3genE9ELNS1_11target_archE1100ELNS1_3gpuE3ELNS1_3repE0EEENS1_30default_config_static_selectorELNS0_4arch9wavefront6targetE0EEEvSP_
                                        ; -- End function
	.set _ZN7rocprim17ROCPRIM_400000_NS6detail17trampoline_kernelINS0_14default_configENS1_22reduce_config_selectorIlEEZNS1_11reduce_implILb1ES3_N6thrust23THRUST_200600_302600_NS11hip_rocprim26transform_input_iterator_tIlNS8_6detail15normal_iteratorINS8_10device_ptrIiEEEE6is_oddIiEEEPllNS8_4plusIlEEEE10hipError_tPvRmT1_T2_T3_mT4_P12ihipStream_tbEUlT_E0_NS1_11comp_targetILNS1_3genE9ELNS1_11target_archE1100ELNS1_3gpuE3ELNS1_3repE0EEENS1_30default_config_static_selectorELNS0_4arch9wavefront6targetE0EEEvSP_.num_vgpr, 0
	.set _ZN7rocprim17ROCPRIM_400000_NS6detail17trampoline_kernelINS0_14default_configENS1_22reduce_config_selectorIlEEZNS1_11reduce_implILb1ES3_N6thrust23THRUST_200600_302600_NS11hip_rocprim26transform_input_iterator_tIlNS8_6detail15normal_iteratorINS8_10device_ptrIiEEEE6is_oddIiEEEPllNS8_4plusIlEEEE10hipError_tPvRmT1_T2_T3_mT4_P12ihipStream_tbEUlT_E0_NS1_11comp_targetILNS1_3genE9ELNS1_11target_archE1100ELNS1_3gpuE3ELNS1_3repE0EEENS1_30default_config_static_selectorELNS0_4arch9wavefront6targetE0EEEvSP_.num_agpr, 0
	.set _ZN7rocprim17ROCPRIM_400000_NS6detail17trampoline_kernelINS0_14default_configENS1_22reduce_config_selectorIlEEZNS1_11reduce_implILb1ES3_N6thrust23THRUST_200600_302600_NS11hip_rocprim26transform_input_iterator_tIlNS8_6detail15normal_iteratorINS8_10device_ptrIiEEEE6is_oddIiEEEPllNS8_4plusIlEEEE10hipError_tPvRmT1_T2_T3_mT4_P12ihipStream_tbEUlT_E0_NS1_11comp_targetILNS1_3genE9ELNS1_11target_archE1100ELNS1_3gpuE3ELNS1_3repE0EEENS1_30default_config_static_selectorELNS0_4arch9wavefront6targetE0EEEvSP_.numbered_sgpr, 0
	.set _ZN7rocprim17ROCPRIM_400000_NS6detail17trampoline_kernelINS0_14default_configENS1_22reduce_config_selectorIlEEZNS1_11reduce_implILb1ES3_N6thrust23THRUST_200600_302600_NS11hip_rocprim26transform_input_iterator_tIlNS8_6detail15normal_iteratorINS8_10device_ptrIiEEEE6is_oddIiEEEPllNS8_4plusIlEEEE10hipError_tPvRmT1_T2_T3_mT4_P12ihipStream_tbEUlT_E0_NS1_11comp_targetILNS1_3genE9ELNS1_11target_archE1100ELNS1_3gpuE3ELNS1_3repE0EEENS1_30default_config_static_selectorELNS0_4arch9wavefront6targetE0EEEvSP_.num_named_barrier, 0
	.set _ZN7rocprim17ROCPRIM_400000_NS6detail17trampoline_kernelINS0_14default_configENS1_22reduce_config_selectorIlEEZNS1_11reduce_implILb1ES3_N6thrust23THRUST_200600_302600_NS11hip_rocprim26transform_input_iterator_tIlNS8_6detail15normal_iteratorINS8_10device_ptrIiEEEE6is_oddIiEEEPllNS8_4plusIlEEEE10hipError_tPvRmT1_T2_T3_mT4_P12ihipStream_tbEUlT_E0_NS1_11comp_targetILNS1_3genE9ELNS1_11target_archE1100ELNS1_3gpuE3ELNS1_3repE0EEENS1_30default_config_static_selectorELNS0_4arch9wavefront6targetE0EEEvSP_.private_seg_size, 0
	.set _ZN7rocprim17ROCPRIM_400000_NS6detail17trampoline_kernelINS0_14default_configENS1_22reduce_config_selectorIlEEZNS1_11reduce_implILb1ES3_N6thrust23THRUST_200600_302600_NS11hip_rocprim26transform_input_iterator_tIlNS8_6detail15normal_iteratorINS8_10device_ptrIiEEEE6is_oddIiEEEPllNS8_4plusIlEEEE10hipError_tPvRmT1_T2_T3_mT4_P12ihipStream_tbEUlT_E0_NS1_11comp_targetILNS1_3genE9ELNS1_11target_archE1100ELNS1_3gpuE3ELNS1_3repE0EEENS1_30default_config_static_selectorELNS0_4arch9wavefront6targetE0EEEvSP_.uses_vcc, 0
	.set _ZN7rocprim17ROCPRIM_400000_NS6detail17trampoline_kernelINS0_14default_configENS1_22reduce_config_selectorIlEEZNS1_11reduce_implILb1ES3_N6thrust23THRUST_200600_302600_NS11hip_rocprim26transform_input_iterator_tIlNS8_6detail15normal_iteratorINS8_10device_ptrIiEEEE6is_oddIiEEEPllNS8_4plusIlEEEE10hipError_tPvRmT1_T2_T3_mT4_P12ihipStream_tbEUlT_E0_NS1_11comp_targetILNS1_3genE9ELNS1_11target_archE1100ELNS1_3gpuE3ELNS1_3repE0EEENS1_30default_config_static_selectorELNS0_4arch9wavefront6targetE0EEEvSP_.uses_flat_scratch, 0
	.set _ZN7rocprim17ROCPRIM_400000_NS6detail17trampoline_kernelINS0_14default_configENS1_22reduce_config_selectorIlEEZNS1_11reduce_implILb1ES3_N6thrust23THRUST_200600_302600_NS11hip_rocprim26transform_input_iterator_tIlNS8_6detail15normal_iteratorINS8_10device_ptrIiEEEE6is_oddIiEEEPllNS8_4plusIlEEEE10hipError_tPvRmT1_T2_T3_mT4_P12ihipStream_tbEUlT_E0_NS1_11comp_targetILNS1_3genE9ELNS1_11target_archE1100ELNS1_3gpuE3ELNS1_3repE0EEENS1_30default_config_static_selectorELNS0_4arch9wavefront6targetE0EEEvSP_.has_dyn_sized_stack, 0
	.set _ZN7rocprim17ROCPRIM_400000_NS6detail17trampoline_kernelINS0_14default_configENS1_22reduce_config_selectorIlEEZNS1_11reduce_implILb1ES3_N6thrust23THRUST_200600_302600_NS11hip_rocprim26transform_input_iterator_tIlNS8_6detail15normal_iteratorINS8_10device_ptrIiEEEE6is_oddIiEEEPllNS8_4plusIlEEEE10hipError_tPvRmT1_T2_T3_mT4_P12ihipStream_tbEUlT_E0_NS1_11comp_targetILNS1_3genE9ELNS1_11target_archE1100ELNS1_3gpuE3ELNS1_3repE0EEENS1_30default_config_static_selectorELNS0_4arch9wavefront6targetE0EEEvSP_.has_recursion, 0
	.set _ZN7rocprim17ROCPRIM_400000_NS6detail17trampoline_kernelINS0_14default_configENS1_22reduce_config_selectorIlEEZNS1_11reduce_implILb1ES3_N6thrust23THRUST_200600_302600_NS11hip_rocprim26transform_input_iterator_tIlNS8_6detail15normal_iteratorINS8_10device_ptrIiEEEE6is_oddIiEEEPllNS8_4plusIlEEEE10hipError_tPvRmT1_T2_T3_mT4_P12ihipStream_tbEUlT_E0_NS1_11comp_targetILNS1_3genE9ELNS1_11target_archE1100ELNS1_3gpuE3ELNS1_3repE0EEENS1_30default_config_static_selectorELNS0_4arch9wavefront6targetE0EEEvSP_.has_indirect_call, 0
	.section	.AMDGPU.csdata,"",@progbits
; Kernel info:
; codeLenInByte = 0
; TotalNumSgprs: 0
; NumVgprs: 0
; ScratchSize: 0
; MemoryBound: 0
; FloatMode: 240
; IeeeMode: 1
; LDSByteSize: 0 bytes/workgroup (compile time only)
; SGPRBlocks: 0
; VGPRBlocks: 0
; NumSGPRsForWavesPerEU: 1
; NumVGPRsForWavesPerEU: 1
; Occupancy: 16
; WaveLimiterHint : 0
; COMPUTE_PGM_RSRC2:SCRATCH_EN: 0
; COMPUTE_PGM_RSRC2:USER_SGPR: 2
; COMPUTE_PGM_RSRC2:TRAP_HANDLER: 0
; COMPUTE_PGM_RSRC2:TGID_X_EN: 1
; COMPUTE_PGM_RSRC2:TGID_Y_EN: 0
; COMPUTE_PGM_RSRC2:TGID_Z_EN: 0
; COMPUTE_PGM_RSRC2:TIDIG_COMP_CNT: 0
	.section	.text._ZN7rocprim17ROCPRIM_400000_NS6detail17trampoline_kernelINS0_14default_configENS1_22reduce_config_selectorIlEEZNS1_11reduce_implILb1ES3_N6thrust23THRUST_200600_302600_NS11hip_rocprim26transform_input_iterator_tIlNS8_6detail15normal_iteratorINS8_10device_ptrIiEEEE6is_oddIiEEEPllNS8_4plusIlEEEE10hipError_tPvRmT1_T2_T3_mT4_P12ihipStream_tbEUlT_E0_NS1_11comp_targetILNS1_3genE8ELNS1_11target_archE1030ELNS1_3gpuE2ELNS1_3repE0EEENS1_30default_config_static_selectorELNS0_4arch9wavefront6targetE0EEEvSP_,"axG",@progbits,_ZN7rocprim17ROCPRIM_400000_NS6detail17trampoline_kernelINS0_14default_configENS1_22reduce_config_selectorIlEEZNS1_11reduce_implILb1ES3_N6thrust23THRUST_200600_302600_NS11hip_rocprim26transform_input_iterator_tIlNS8_6detail15normal_iteratorINS8_10device_ptrIiEEEE6is_oddIiEEEPllNS8_4plusIlEEEE10hipError_tPvRmT1_T2_T3_mT4_P12ihipStream_tbEUlT_E0_NS1_11comp_targetILNS1_3genE8ELNS1_11target_archE1030ELNS1_3gpuE2ELNS1_3repE0EEENS1_30default_config_static_selectorELNS0_4arch9wavefront6targetE0EEEvSP_,comdat
	.protected	_ZN7rocprim17ROCPRIM_400000_NS6detail17trampoline_kernelINS0_14default_configENS1_22reduce_config_selectorIlEEZNS1_11reduce_implILb1ES3_N6thrust23THRUST_200600_302600_NS11hip_rocprim26transform_input_iterator_tIlNS8_6detail15normal_iteratorINS8_10device_ptrIiEEEE6is_oddIiEEEPllNS8_4plusIlEEEE10hipError_tPvRmT1_T2_T3_mT4_P12ihipStream_tbEUlT_E0_NS1_11comp_targetILNS1_3genE8ELNS1_11target_archE1030ELNS1_3gpuE2ELNS1_3repE0EEENS1_30default_config_static_selectorELNS0_4arch9wavefront6targetE0EEEvSP_ ; -- Begin function _ZN7rocprim17ROCPRIM_400000_NS6detail17trampoline_kernelINS0_14default_configENS1_22reduce_config_selectorIlEEZNS1_11reduce_implILb1ES3_N6thrust23THRUST_200600_302600_NS11hip_rocprim26transform_input_iterator_tIlNS8_6detail15normal_iteratorINS8_10device_ptrIiEEEE6is_oddIiEEEPllNS8_4plusIlEEEE10hipError_tPvRmT1_T2_T3_mT4_P12ihipStream_tbEUlT_E0_NS1_11comp_targetILNS1_3genE8ELNS1_11target_archE1030ELNS1_3gpuE2ELNS1_3repE0EEENS1_30default_config_static_selectorELNS0_4arch9wavefront6targetE0EEEvSP_
	.globl	_ZN7rocprim17ROCPRIM_400000_NS6detail17trampoline_kernelINS0_14default_configENS1_22reduce_config_selectorIlEEZNS1_11reduce_implILb1ES3_N6thrust23THRUST_200600_302600_NS11hip_rocprim26transform_input_iterator_tIlNS8_6detail15normal_iteratorINS8_10device_ptrIiEEEE6is_oddIiEEEPllNS8_4plusIlEEEE10hipError_tPvRmT1_T2_T3_mT4_P12ihipStream_tbEUlT_E0_NS1_11comp_targetILNS1_3genE8ELNS1_11target_archE1030ELNS1_3gpuE2ELNS1_3repE0EEENS1_30default_config_static_selectorELNS0_4arch9wavefront6targetE0EEEvSP_
	.p2align	8
	.type	_ZN7rocprim17ROCPRIM_400000_NS6detail17trampoline_kernelINS0_14default_configENS1_22reduce_config_selectorIlEEZNS1_11reduce_implILb1ES3_N6thrust23THRUST_200600_302600_NS11hip_rocprim26transform_input_iterator_tIlNS8_6detail15normal_iteratorINS8_10device_ptrIiEEEE6is_oddIiEEEPllNS8_4plusIlEEEE10hipError_tPvRmT1_T2_T3_mT4_P12ihipStream_tbEUlT_E0_NS1_11comp_targetILNS1_3genE8ELNS1_11target_archE1030ELNS1_3gpuE2ELNS1_3repE0EEENS1_30default_config_static_selectorELNS0_4arch9wavefront6targetE0EEEvSP_,@function
_ZN7rocprim17ROCPRIM_400000_NS6detail17trampoline_kernelINS0_14default_configENS1_22reduce_config_selectorIlEEZNS1_11reduce_implILb1ES3_N6thrust23THRUST_200600_302600_NS11hip_rocprim26transform_input_iterator_tIlNS8_6detail15normal_iteratorINS8_10device_ptrIiEEEE6is_oddIiEEEPllNS8_4plusIlEEEE10hipError_tPvRmT1_T2_T3_mT4_P12ihipStream_tbEUlT_E0_NS1_11comp_targetILNS1_3genE8ELNS1_11target_archE1030ELNS1_3gpuE2ELNS1_3repE0EEENS1_30default_config_static_selectorELNS0_4arch9wavefront6targetE0EEEvSP_: ; @_ZN7rocprim17ROCPRIM_400000_NS6detail17trampoline_kernelINS0_14default_configENS1_22reduce_config_selectorIlEEZNS1_11reduce_implILb1ES3_N6thrust23THRUST_200600_302600_NS11hip_rocprim26transform_input_iterator_tIlNS8_6detail15normal_iteratorINS8_10device_ptrIiEEEE6is_oddIiEEEPllNS8_4plusIlEEEE10hipError_tPvRmT1_T2_T3_mT4_P12ihipStream_tbEUlT_E0_NS1_11comp_targetILNS1_3genE8ELNS1_11target_archE1030ELNS1_3gpuE2ELNS1_3repE0EEENS1_30default_config_static_selectorELNS0_4arch9wavefront6targetE0EEEvSP_
; %bb.0:
	.section	.rodata,"a",@progbits
	.p2align	6, 0x0
	.amdhsa_kernel _ZN7rocprim17ROCPRIM_400000_NS6detail17trampoline_kernelINS0_14default_configENS1_22reduce_config_selectorIlEEZNS1_11reduce_implILb1ES3_N6thrust23THRUST_200600_302600_NS11hip_rocprim26transform_input_iterator_tIlNS8_6detail15normal_iteratorINS8_10device_ptrIiEEEE6is_oddIiEEEPllNS8_4plusIlEEEE10hipError_tPvRmT1_T2_T3_mT4_P12ihipStream_tbEUlT_E0_NS1_11comp_targetILNS1_3genE8ELNS1_11target_archE1030ELNS1_3gpuE2ELNS1_3repE0EEENS1_30default_config_static_selectorELNS0_4arch9wavefront6targetE0EEEvSP_
		.amdhsa_group_segment_fixed_size 0
		.amdhsa_private_segment_fixed_size 0
		.amdhsa_kernarg_size 72
		.amdhsa_user_sgpr_count 2
		.amdhsa_user_sgpr_dispatch_ptr 0
		.amdhsa_user_sgpr_queue_ptr 0
		.amdhsa_user_sgpr_kernarg_segment_ptr 1
		.amdhsa_user_sgpr_dispatch_id 0
		.amdhsa_user_sgpr_private_segment_size 0
		.amdhsa_wavefront_size32 1
		.amdhsa_uses_dynamic_stack 0
		.amdhsa_enable_private_segment 0
		.amdhsa_system_sgpr_workgroup_id_x 1
		.amdhsa_system_sgpr_workgroup_id_y 0
		.amdhsa_system_sgpr_workgroup_id_z 0
		.amdhsa_system_sgpr_workgroup_info 0
		.amdhsa_system_vgpr_workitem_id 0
		.amdhsa_next_free_vgpr 1
		.amdhsa_next_free_sgpr 1
		.amdhsa_reserve_vcc 0
		.amdhsa_float_round_mode_32 0
		.amdhsa_float_round_mode_16_64 0
		.amdhsa_float_denorm_mode_32 3
		.amdhsa_float_denorm_mode_16_64 3
		.amdhsa_fp16_overflow 0
		.amdhsa_workgroup_processor_mode 1
		.amdhsa_memory_ordered 1
		.amdhsa_forward_progress 1
		.amdhsa_inst_pref_size 0
		.amdhsa_round_robin_scheduling 0
		.amdhsa_exception_fp_ieee_invalid_op 0
		.amdhsa_exception_fp_denorm_src 0
		.amdhsa_exception_fp_ieee_div_zero 0
		.amdhsa_exception_fp_ieee_overflow 0
		.amdhsa_exception_fp_ieee_underflow 0
		.amdhsa_exception_fp_ieee_inexact 0
		.amdhsa_exception_int_div_zero 0
	.end_amdhsa_kernel
	.section	.text._ZN7rocprim17ROCPRIM_400000_NS6detail17trampoline_kernelINS0_14default_configENS1_22reduce_config_selectorIlEEZNS1_11reduce_implILb1ES3_N6thrust23THRUST_200600_302600_NS11hip_rocprim26transform_input_iterator_tIlNS8_6detail15normal_iteratorINS8_10device_ptrIiEEEE6is_oddIiEEEPllNS8_4plusIlEEEE10hipError_tPvRmT1_T2_T3_mT4_P12ihipStream_tbEUlT_E0_NS1_11comp_targetILNS1_3genE8ELNS1_11target_archE1030ELNS1_3gpuE2ELNS1_3repE0EEENS1_30default_config_static_selectorELNS0_4arch9wavefront6targetE0EEEvSP_,"axG",@progbits,_ZN7rocprim17ROCPRIM_400000_NS6detail17trampoline_kernelINS0_14default_configENS1_22reduce_config_selectorIlEEZNS1_11reduce_implILb1ES3_N6thrust23THRUST_200600_302600_NS11hip_rocprim26transform_input_iterator_tIlNS8_6detail15normal_iteratorINS8_10device_ptrIiEEEE6is_oddIiEEEPllNS8_4plusIlEEEE10hipError_tPvRmT1_T2_T3_mT4_P12ihipStream_tbEUlT_E0_NS1_11comp_targetILNS1_3genE8ELNS1_11target_archE1030ELNS1_3gpuE2ELNS1_3repE0EEENS1_30default_config_static_selectorELNS0_4arch9wavefront6targetE0EEEvSP_,comdat
.Lfunc_end73:
	.size	_ZN7rocprim17ROCPRIM_400000_NS6detail17trampoline_kernelINS0_14default_configENS1_22reduce_config_selectorIlEEZNS1_11reduce_implILb1ES3_N6thrust23THRUST_200600_302600_NS11hip_rocprim26transform_input_iterator_tIlNS8_6detail15normal_iteratorINS8_10device_ptrIiEEEE6is_oddIiEEEPllNS8_4plusIlEEEE10hipError_tPvRmT1_T2_T3_mT4_P12ihipStream_tbEUlT_E0_NS1_11comp_targetILNS1_3genE8ELNS1_11target_archE1030ELNS1_3gpuE2ELNS1_3repE0EEENS1_30default_config_static_selectorELNS0_4arch9wavefront6targetE0EEEvSP_, .Lfunc_end73-_ZN7rocprim17ROCPRIM_400000_NS6detail17trampoline_kernelINS0_14default_configENS1_22reduce_config_selectorIlEEZNS1_11reduce_implILb1ES3_N6thrust23THRUST_200600_302600_NS11hip_rocprim26transform_input_iterator_tIlNS8_6detail15normal_iteratorINS8_10device_ptrIiEEEE6is_oddIiEEEPllNS8_4plusIlEEEE10hipError_tPvRmT1_T2_T3_mT4_P12ihipStream_tbEUlT_E0_NS1_11comp_targetILNS1_3genE8ELNS1_11target_archE1030ELNS1_3gpuE2ELNS1_3repE0EEENS1_30default_config_static_selectorELNS0_4arch9wavefront6targetE0EEEvSP_
                                        ; -- End function
	.set _ZN7rocprim17ROCPRIM_400000_NS6detail17trampoline_kernelINS0_14default_configENS1_22reduce_config_selectorIlEEZNS1_11reduce_implILb1ES3_N6thrust23THRUST_200600_302600_NS11hip_rocprim26transform_input_iterator_tIlNS8_6detail15normal_iteratorINS8_10device_ptrIiEEEE6is_oddIiEEEPllNS8_4plusIlEEEE10hipError_tPvRmT1_T2_T3_mT4_P12ihipStream_tbEUlT_E0_NS1_11comp_targetILNS1_3genE8ELNS1_11target_archE1030ELNS1_3gpuE2ELNS1_3repE0EEENS1_30default_config_static_selectorELNS0_4arch9wavefront6targetE0EEEvSP_.num_vgpr, 0
	.set _ZN7rocprim17ROCPRIM_400000_NS6detail17trampoline_kernelINS0_14default_configENS1_22reduce_config_selectorIlEEZNS1_11reduce_implILb1ES3_N6thrust23THRUST_200600_302600_NS11hip_rocprim26transform_input_iterator_tIlNS8_6detail15normal_iteratorINS8_10device_ptrIiEEEE6is_oddIiEEEPllNS8_4plusIlEEEE10hipError_tPvRmT1_T2_T3_mT4_P12ihipStream_tbEUlT_E0_NS1_11comp_targetILNS1_3genE8ELNS1_11target_archE1030ELNS1_3gpuE2ELNS1_3repE0EEENS1_30default_config_static_selectorELNS0_4arch9wavefront6targetE0EEEvSP_.num_agpr, 0
	.set _ZN7rocprim17ROCPRIM_400000_NS6detail17trampoline_kernelINS0_14default_configENS1_22reduce_config_selectorIlEEZNS1_11reduce_implILb1ES3_N6thrust23THRUST_200600_302600_NS11hip_rocprim26transform_input_iterator_tIlNS8_6detail15normal_iteratorINS8_10device_ptrIiEEEE6is_oddIiEEEPllNS8_4plusIlEEEE10hipError_tPvRmT1_T2_T3_mT4_P12ihipStream_tbEUlT_E0_NS1_11comp_targetILNS1_3genE8ELNS1_11target_archE1030ELNS1_3gpuE2ELNS1_3repE0EEENS1_30default_config_static_selectorELNS0_4arch9wavefront6targetE0EEEvSP_.numbered_sgpr, 0
	.set _ZN7rocprim17ROCPRIM_400000_NS6detail17trampoline_kernelINS0_14default_configENS1_22reduce_config_selectorIlEEZNS1_11reduce_implILb1ES3_N6thrust23THRUST_200600_302600_NS11hip_rocprim26transform_input_iterator_tIlNS8_6detail15normal_iteratorINS8_10device_ptrIiEEEE6is_oddIiEEEPllNS8_4plusIlEEEE10hipError_tPvRmT1_T2_T3_mT4_P12ihipStream_tbEUlT_E0_NS1_11comp_targetILNS1_3genE8ELNS1_11target_archE1030ELNS1_3gpuE2ELNS1_3repE0EEENS1_30default_config_static_selectorELNS0_4arch9wavefront6targetE0EEEvSP_.num_named_barrier, 0
	.set _ZN7rocprim17ROCPRIM_400000_NS6detail17trampoline_kernelINS0_14default_configENS1_22reduce_config_selectorIlEEZNS1_11reduce_implILb1ES3_N6thrust23THRUST_200600_302600_NS11hip_rocprim26transform_input_iterator_tIlNS8_6detail15normal_iteratorINS8_10device_ptrIiEEEE6is_oddIiEEEPllNS8_4plusIlEEEE10hipError_tPvRmT1_T2_T3_mT4_P12ihipStream_tbEUlT_E0_NS1_11comp_targetILNS1_3genE8ELNS1_11target_archE1030ELNS1_3gpuE2ELNS1_3repE0EEENS1_30default_config_static_selectorELNS0_4arch9wavefront6targetE0EEEvSP_.private_seg_size, 0
	.set _ZN7rocprim17ROCPRIM_400000_NS6detail17trampoline_kernelINS0_14default_configENS1_22reduce_config_selectorIlEEZNS1_11reduce_implILb1ES3_N6thrust23THRUST_200600_302600_NS11hip_rocprim26transform_input_iterator_tIlNS8_6detail15normal_iteratorINS8_10device_ptrIiEEEE6is_oddIiEEEPllNS8_4plusIlEEEE10hipError_tPvRmT1_T2_T3_mT4_P12ihipStream_tbEUlT_E0_NS1_11comp_targetILNS1_3genE8ELNS1_11target_archE1030ELNS1_3gpuE2ELNS1_3repE0EEENS1_30default_config_static_selectorELNS0_4arch9wavefront6targetE0EEEvSP_.uses_vcc, 0
	.set _ZN7rocprim17ROCPRIM_400000_NS6detail17trampoline_kernelINS0_14default_configENS1_22reduce_config_selectorIlEEZNS1_11reduce_implILb1ES3_N6thrust23THRUST_200600_302600_NS11hip_rocprim26transform_input_iterator_tIlNS8_6detail15normal_iteratorINS8_10device_ptrIiEEEE6is_oddIiEEEPllNS8_4plusIlEEEE10hipError_tPvRmT1_T2_T3_mT4_P12ihipStream_tbEUlT_E0_NS1_11comp_targetILNS1_3genE8ELNS1_11target_archE1030ELNS1_3gpuE2ELNS1_3repE0EEENS1_30default_config_static_selectorELNS0_4arch9wavefront6targetE0EEEvSP_.uses_flat_scratch, 0
	.set _ZN7rocprim17ROCPRIM_400000_NS6detail17trampoline_kernelINS0_14default_configENS1_22reduce_config_selectorIlEEZNS1_11reduce_implILb1ES3_N6thrust23THRUST_200600_302600_NS11hip_rocprim26transform_input_iterator_tIlNS8_6detail15normal_iteratorINS8_10device_ptrIiEEEE6is_oddIiEEEPllNS8_4plusIlEEEE10hipError_tPvRmT1_T2_T3_mT4_P12ihipStream_tbEUlT_E0_NS1_11comp_targetILNS1_3genE8ELNS1_11target_archE1030ELNS1_3gpuE2ELNS1_3repE0EEENS1_30default_config_static_selectorELNS0_4arch9wavefront6targetE0EEEvSP_.has_dyn_sized_stack, 0
	.set _ZN7rocprim17ROCPRIM_400000_NS6detail17trampoline_kernelINS0_14default_configENS1_22reduce_config_selectorIlEEZNS1_11reduce_implILb1ES3_N6thrust23THRUST_200600_302600_NS11hip_rocprim26transform_input_iterator_tIlNS8_6detail15normal_iteratorINS8_10device_ptrIiEEEE6is_oddIiEEEPllNS8_4plusIlEEEE10hipError_tPvRmT1_T2_T3_mT4_P12ihipStream_tbEUlT_E0_NS1_11comp_targetILNS1_3genE8ELNS1_11target_archE1030ELNS1_3gpuE2ELNS1_3repE0EEENS1_30default_config_static_selectorELNS0_4arch9wavefront6targetE0EEEvSP_.has_recursion, 0
	.set _ZN7rocprim17ROCPRIM_400000_NS6detail17trampoline_kernelINS0_14default_configENS1_22reduce_config_selectorIlEEZNS1_11reduce_implILb1ES3_N6thrust23THRUST_200600_302600_NS11hip_rocprim26transform_input_iterator_tIlNS8_6detail15normal_iteratorINS8_10device_ptrIiEEEE6is_oddIiEEEPllNS8_4plusIlEEEE10hipError_tPvRmT1_T2_T3_mT4_P12ihipStream_tbEUlT_E0_NS1_11comp_targetILNS1_3genE8ELNS1_11target_archE1030ELNS1_3gpuE2ELNS1_3repE0EEENS1_30default_config_static_selectorELNS0_4arch9wavefront6targetE0EEEvSP_.has_indirect_call, 0
	.section	.AMDGPU.csdata,"",@progbits
; Kernel info:
; codeLenInByte = 0
; TotalNumSgprs: 0
; NumVgprs: 0
; ScratchSize: 0
; MemoryBound: 0
; FloatMode: 240
; IeeeMode: 1
; LDSByteSize: 0 bytes/workgroup (compile time only)
; SGPRBlocks: 0
; VGPRBlocks: 0
; NumSGPRsForWavesPerEU: 1
; NumVGPRsForWavesPerEU: 1
; Occupancy: 16
; WaveLimiterHint : 0
; COMPUTE_PGM_RSRC2:SCRATCH_EN: 0
; COMPUTE_PGM_RSRC2:USER_SGPR: 2
; COMPUTE_PGM_RSRC2:TRAP_HANDLER: 0
; COMPUTE_PGM_RSRC2:TGID_X_EN: 1
; COMPUTE_PGM_RSRC2:TGID_Y_EN: 0
; COMPUTE_PGM_RSRC2:TGID_Z_EN: 0
; COMPUTE_PGM_RSRC2:TIDIG_COMP_CNT: 0
	.section	.text._ZN7rocprim17ROCPRIM_400000_NS6detail17trampoline_kernelINS0_14default_configENS1_22reduce_config_selectorIlEEZNS1_11reduce_implILb1ES3_N6thrust23THRUST_200600_302600_NS11hip_rocprim26transform_input_iterator_tIlNS8_6detail15normal_iteratorINS8_10device_ptrIiEEEE6is_oddIiEEEPllNS8_4plusIlEEEE10hipError_tPvRmT1_T2_T3_mT4_P12ihipStream_tbEUlT_E1_NS1_11comp_targetILNS1_3genE0ELNS1_11target_archE4294967295ELNS1_3gpuE0ELNS1_3repE0EEENS1_30default_config_static_selectorELNS0_4arch9wavefront6targetE0EEEvSP_,"axG",@progbits,_ZN7rocprim17ROCPRIM_400000_NS6detail17trampoline_kernelINS0_14default_configENS1_22reduce_config_selectorIlEEZNS1_11reduce_implILb1ES3_N6thrust23THRUST_200600_302600_NS11hip_rocprim26transform_input_iterator_tIlNS8_6detail15normal_iteratorINS8_10device_ptrIiEEEE6is_oddIiEEEPllNS8_4plusIlEEEE10hipError_tPvRmT1_T2_T3_mT4_P12ihipStream_tbEUlT_E1_NS1_11comp_targetILNS1_3genE0ELNS1_11target_archE4294967295ELNS1_3gpuE0ELNS1_3repE0EEENS1_30default_config_static_selectorELNS0_4arch9wavefront6targetE0EEEvSP_,comdat
	.protected	_ZN7rocprim17ROCPRIM_400000_NS6detail17trampoline_kernelINS0_14default_configENS1_22reduce_config_selectorIlEEZNS1_11reduce_implILb1ES3_N6thrust23THRUST_200600_302600_NS11hip_rocprim26transform_input_iterator_tIlNS8_6detail15normal_iteratorINS8_10device_ptrIiEEEE6is_oddIiEEEPllNS8_4plusIlEEEE10hipError_tPvRmT1_T2_T3_mT4_P12ihipStream_tbEUlT_E1_NS1_11comp_targetILNS1_3genE0ELNS1_11target_archE4294967295ELNS1_3gpuE0ELNS1_3repE0EEENS1_30default_config_static_selectorELNS0_4arch9wavefront6targetE0EEEvSP_ ; -- Begin function _ZN7rocprim17ROCPRIM_400000_NS6detail17trampoline_kernelINS0_14default_configENS1_22reduce_config_selectorIlEEZNS1_11reduce_implILb1ES3_N6thrust23THRUST_200600_302600_NS11hip_rocprim26transform_input_iterator_tIlNS8_6detail15normal_iteratorINS8_10device_ptrIiEEEE6is_oddIiEEEPllNS8_4plusIlEEEE10hipError_tPvRmT1_T2_T3_mT4_P12ihipStream_tbEUlT_E1_NS1_11comp_targetILNS1_3genE0ELNS1_11target_archE4294967295ELNS1_3gpuE0ELNS1_3repE0EEENS1_30default_config_static_selectorELNS0_4arch9wavefront6targetE0EEEvSP_
	.globl	_ZN7rocprim17ROCPRIM_400000_NS6detail17trampoline_kernelINS0_14default_configENS1_22reduce_config_selectorIlEEZNS1_11reduce_implILb1ES3_N6thrust23THRUST_200600_302600_NS11hip_rocprim26transform_input_iterator_tIlNS8_6detail15normal_iteratorINS8_10device_ptrIiEEEE6is_oddIiEEEPllNS8_4plusIlEEEE10hipError_tPvRmT1_T2_T3_mT4_P12ihipStream_tbEUlT_E1_NS1_11comp_targetILNS1_3genE0ELNS1_11target_archE4294967295ELNS1_3gpuE0ELNS1_3repE0EEENS1_30default_config_static_selectorELNS0_4arch9wavefront6targetE0EEEvSP_
	.p2align	8
	.type	_ZN7rocprim17ROCPRIM_400000_NS6detail17trampoline_kernelINS0_14default_configENS1_22reduce_config_selectorIlEEZNS1_11reduce_implILb1ES3_N6thrust23THRUST_200600_302600_NS11hip_rocprim26transform_input_iterator_tIlNS8_6detail15normal_iteratorINS8_10device_ptrIiEEEE6is_oddIiEEEPllNS8_4plusIlEEEE10hipError_tPvRmT1_T2_T3_mT4_P12ihipStream_tbEUlT_E1_NS1_11comp_targetILNS1_3genE0ELNS1_11target_archE4294967295ELNS1_3gpuE0ELNS1_3repE0EEENS1_30default_config_static_selectorELNS0_4arch9wavefront6targetE0EEEvSP_,@function
_ZN7rocprim17ROCPRIM_400000_NS6detail17trampoline_kernelINS0_14default_configENS1_22reduce_config_selectorIlEEZNS1_11reduce_implILb1ES3_N6thrust23THRUST_200600_302600_NS11hip_rocprim26transform_input_iterator_tIlNS8_6detail15normal_iteratorINS8_10device_ptrIiEEEE6is_oddIiEEEPllNS8_4plusIlEEEE10hipError_tPvRmT1_T2_T3_mT4_P12ihipStream_tbEUlT_E1_NS1_11comp_targetILNS1_3genE0ELNS1_11target_archE4294967295ELNS1_3gpuE0ELNS1_3repE0EEENS1_30default_config_static_selectorELNS0_4arch9wavefront6targetE0EEEvSP_: ; @_ZN7rocprim17ROCPRIM_400000_NS6detail17trampoline_kernelINS0_14default_configENS1_22reduce_config_selectorIlEEZNS1_11reduce_implILb1ES3_N6thrust23THRUST_200600_302600_NS11hip_rocprim26transform_input_iterator_tIlNS8_6detail15normal_iteratorINS8_10device_ptrIiEEEE6is_oddIiEEEPllNS8_4plusIlEEEE10hipError_tPvRmT1_T2_T3_mT4_P12ihipStream_tbEUlT_E1_NS1_11comp_targetILNS1_3genE0ELNS1_11target_archE4294967295ELNS1_3gpuE0ELNS1_3repE0EEENS1_30default_config_static_selectorELNS0_4arch9wavefront6targetE0EEEvSP_
; %bb.0:
	.section	.rodata,"a",@progbits
	.p2align	6, 0x0
	.amdhsa_kernel _ZN7rocprim17ROCPRIM_400000_NS6detail17trampoline_kernelINS0_14default_configENS1_22reduce_config_selectorIlEEZNS1_11reduce_implILb1ES3_N6thrust23THRUST_200600_302600_NS11hip_rocprim26transform_input_iterator_tIlNS8_6detail15normal_iteratorINS8_10device_ptrIiEEEE6is_oddIiEEEPllNS8_4plusIlEEEE10hipError_tPvRmT1_T2_T3_mT4_P12ihipStream_tbEUlT_E1_NS1_11comp_targetILNS1_3genE0ELNS1_11target_archE4294967295ELNS1_3gpuE0ELNS1_3repE0EEENS1_30default_config_static_selectorELNS0_4arch9wavefront6targetE0EEEvSP_
		.amdhsa_group_segment_fixed_size 0
		.amdhsa_private_segment_fixed_size 0
		.amdhsa_kernarg_size 56
		.amdhsa_user_sgpr_count 2
		.amdhsa_user_sgpr_dispatch_ptr 0
		.amdhsa_user_sgpr_queue_ptr 0
		.amdhsa_user_sgpr_kernarg_segment_ptr 1
		.amdhsa_user_sgpr_dispatch_id 0
		.amdhsa_user_sgpr_private_segment_size 0
		.amdhsa_wavefront_size32 1
		.amdhsa_uses_dynamic_stack 0
		.amdhsa_enable_private_segment 0
		.amdhsa_system_sgpr_workgroup_id_x 1
		.amdhsa_system_sgpr_workgroup_id_y 0
		.amdhsa_system_sgpr_workgroup_id_z 0
		.amdhsa_system_sgpr_workgroup_info 0
		.amdhsa_system_vgpr_workitem_id 0
		.amdhsa_next_free_vgpr 1
		.amdhsa_next_free_sgpr 1
		.amdhsa_reserve_vcc 0
		.amdhsa_float_round_mode_32 0
		.amdhsa_float_round_mode_16_64 0
		.amdhsa_float_denorm_mode_32 3
		.amdhsa_float_denorm_mode_16_64 3
		.amdhsa_fp16_overflow 0
		.amdhsa_workgroup_processor_mode 1
		.amdhsa_memory_ordered 1
		.amdhsa_forward_progress 1
		.amdhsa_inst_pref_size 0
		.amdhsa_round_robin_scheduling 0
		.amdhsa_exception_fp_ieee_invalid_op 0
		.amdhsa_exception_fp_denorm_src 0
		.amdhsa_exception_fp_ieee_div_zero 0
		.amdhsa_exception_fp_ieee_overflow 0
		.amdhsa_exception_fp_ieee_underflow 0
		.amdhsa_exception_fp_ieee_inexact 0
		.amdhsa_exception_int_div_zero 0
	.end_amdhsa_kernel
	.section	.text._ZN7rocprim17ROCPRIM_400000_NS6detail17trampoline_kernelINS0_14default_configENS1_22reduce_config_selectorIlEEZNS1_11reduce_implILb1ES3_N6thrust23THRUST_200600_302600_NS11hip_rocprim26transform_input_iterator_tIlNS8_6detail15normal_iteratorINS8_10device_ptrIiEEEE6is_oddIiEEEPllNS8_4plusIlEEEE10hipError_tPvRmT1_T2_T3_mT4_P12ihipStream_tbEUlT_E1_NS1_11comp_targetILNS1_3genE0ELNS1_11target_archE4294967295ELNS1_3gpuE0ELNS1_3repE0EEENS1_30default_config_static_selectorELNS0_4arch9wavefront6targetE0EEEvSP_,"axG",@progbits,_ZN7rocprim17ROCPRIM_400000_NS6detail17trampoline_kernelINS0_14default_configENS1_22reduce_config_selectorIlEEZNS1_11reduce_implILb1ES3_N6thrust23THRUST_200600_302600_NS11hip_rocprim26transform_input_iterator_tIlNS8_6detail15normal_iteratorINS8_10device_ptrIiEEEE6is_oddIiEEEPllNS8_4plusIlEEEE10hipError_tPvRmT1_T2_T3_mT4_P12ihipStream_tbEUlT_E1_NS1_11comp_targetILNS1_3genE0ELNS1_11target_archE4294967295ELNS1_3gpuE0ELNS1_3repE0EEENS1_30default_config_static_selectorELNS0_4arch9wavefront6targetE0EEEvSP_,comdat
.Lfunc_end74:
	.size	_ZN7rocprim17ROCPRIM_400000_NS6detail17trampoline_kernelINS0_14default_configENS1_22reduce_config_selectorIlEEZNS1_11reduce_implILb1ES3_N6thrust23THRUST_200600_302600_NS11hip_rocprim26transform_input_iterator_tIlNS8_6detail15normal_iteratorINS8_10device_ptrIiEEEE6is_oddIiEEEPllNS8_4plusIlEEEE10hipError_tPvRmT1_T2_T3_mT4_P12ihipStream_tbEUlT_E1_NS1_11comp_targetILNS1_3genE0ELNS1_11target_archE4294967295ELNS1_3gpuE0ELNS1_3repE0EEENS1_30default_config_static_selectorELNS0_4arch9wavefront6targetE0EEEvSP_, .Lfunc_end74-_ZN7rocprim17ROCPRIM_400000_NS6detail17trampoline_kernelINS0_14default_configENS1_22reduce_config_selectorIlEEZNS1_11reduce_implILb1ES3_N6thrust23THRUST_200600_302600_NS11hip_rocprim26transform_input_iterator_tIlNS8_6detail15normal_iteratorINS8_10device_ptrIiEEEE6is_oddIiEEEPllNS8_4plusIlEEEE10hipError_tPvRmT1_T2_T3_mT4_P12ihipStream_tbEUlT_E1_NS1_11comp_targetILNS1_3genE0ELNS1_11target_archE4294967295ELNS1_3gpuE0ELNS1_3repE0EEENS1_30default_config_static_selectorELNS0_4arch9wavefront6targetE0EEEvSP_
                                        ; -- End function
	.set _ZN7rocprim17ROCPRIM_400000_NS6detail17trampoline_kernelINS0_14default_configENS1_22reduce_config_selectorIlEEZNS1_11reduce_implILb1ES3_N6thrust23THRUST_200600_302600_NS11hip_rocprim26transform_input_iterator_tIlNS8_6detail15normal_iteratorINS8_10device_ptrIiEEEE6is_oddIiEEEPllNS8_4plusIlEEEE10hipError_tPvRmT1_T2_T3_mT4_P12ihipStream_tbEUlT_E1_NS1_11comp_targetILNS1_3genE0ELNS1_11target_archE4294967295ELNS1_3gpuE0ELNS1_3repE0EEENS1_30default_config_static_selectorELNS0_4arch9wavefront6targetE0EEEvSP_.num_vgpr, 0
	.set _ZN7rocprim17ROCPRIM_400000_NS6detail17trampoline_kernelINS0_14default_configENS1_22reduce_config_selectorIlEEZNS1_11reduce_implILb1ES3_N6thrust23THRUST_200600_302600_NS11hip_rocprim26transform_input_iterator_tIlNS8_6detail15normal_iteratorINS8_10device_ptrIiEEEE6is_oddIiEEEPllNS8_4plusIlEEEE10hipError_tPvRmT1_T2_T3_mT4_P12ihipStream_tbEUlT_E1_NS1_11comp_targetILNS1_3genE0ELNS1_11target_archE4294967295ELNS1_3gpuE0ELNS1_3repE0EEENS1_30default_config_static_selectorELNS0_4arch9wavefront6targetE0EEEvSP_.num_agpr, 0
	.set _ZN7rocprim17ROCPRIM_400000_NS6detail17trampoline_kernelINS0_14default_configENS1_22reduce_config_selectorIlEEZNS1_11reduce_implILb1ES3_N6thrust23THRUST_200600_302600_NS11hip_rocprim26transform_input_iterator_tIlNS8_6detail15normal_iteratorINS8_10device_ptrIiEEEE6is_oddIiEEEPllNS8_4plusIlEEEE10hipError_tPvRmT1_T2_T3_mT4_P12ihipStream_tbEUlT_E1_NS1_11comp_targetILNS1_3genE0ELNS1_11target_archE4294967295ELNS1_3gpuE0ELNS1_3repE0EEENS1_30default_config_static_selectorELNS0_4arch9wavefront6targetE0EEEvSP_.numbered_sgpr, 0
	.set _ZN7rocprim17ROCPRIM_400000_NS6detail17trampoline_kernelINS0_14default_configENS1_22reduce_config_selectorIlEEZNS1_11reduce_implILb1ES3_N6thrust23THRUST_200600_302600_NS11hip_rocprim26transform_input_iterator_tIlNS8_6detail15normal_iteratorINS8_10device_ptrIiEEEE6is_oddIiEEEPllNS8_4plusIlEEEE10hipError_tPvRmT1_T2_T3_mT4_P12ihipStream_tbEUlT_E1_NS1_11comp_targetILNS1_3genE0ELNS1_11target_archE4294967295ELNS1_3gpuE0ELNS1_3repE0EEENS1_30default_config_static_selectorELNS0_4arch9wavefront6targetE0EEEvSP_.num_named_barrier, 0
	.set _ZN7rocprim17ROCPRIM_400000_NS6detail17trampoline_kernelINS0_14default_configENS1_22reduce_config_selectorIlEEZNS1_11reduce_implILb1ES3_N6thrust23THRUST_200600_302600_NS11hip_rocprim26transform_input_iterator_tIlNS8_6detail15normal_iteratorINS8_10device_ptrIiEEEE6is_oddIiEEEPllNS8_4plusIlEEEE10hipError_tPvRmT1_T2_T3_mT4_P12ihipStream_tbEUlT_E1_NS1_11comp_targetILNS1_3genE0ELNS1_11target_archE4294967295ELNS1_3gpuE0ELNS1_3repE0EEENS1_30default_config_static_selectorELNS0_4arch9wavefront6targetE0EEEvSP_.private_seg_size, 0
	.set _ZN7rocprim17ROCPRIM_400000_NS6detail17trampoline_kernelINS0_14default_configENS1_22reduce_config_selectorIlEEZNS1_11reduce_implILb1ES3_N6thrust23THRUST_200600_302600_NS11hip_rocprim26transform_input_iterator_tIlNS8_6detail15normal_iteratorINS8_10device_ptrIiEEEE6is_oddIiEEEPllNS8_4plusIlEEEE10hipError_tPvRmT1_T2_T3_mT4_P12ihipStream_tbEUlT_E1_NS1_11comp_targetILNS1_3genE0ELNS1_11target_archE4294967295ELNS1_3gpuE0ELNS1_3repE0EEENS1_30default_config_static_selectorELNS0_4arch9wavefront6targetE0EEEvSP_.uses_vcc, 0
	.set _ZN7rocprim17ROCPRIM_400000_NS6detail17trampoline_kernelINS0_14default_configENS1_22reduce_config_selectorIlEEZNS1_11reduce_implILb1ES3_N6thrust23THRUST_200600_302600_NS11hip_rocprim26transform_input_iterator_tIlNS8_6detail15normal_iteratorINS8_10device_ptrIiEEEE6is_oddIiEEEPllNS8_4plusIlEEEE10hipError_tPvRmT1_T2_T3_mT4_P12ihipStream_tbEUlT_E1_NS1_11comp_targetILNS1_3genE0ELNS1_11target_archE4294967295ELNS1_3gpuE0ELNS1_3repE0EEENS1_30default_config_static_selectorELNS0_4arch9wavefront6targetE0EEEvSP_.uses_flat_scratch, 0
	.set _ZN7rocprim17ROCPRIM_400000_NS6detail17trampoline_kernelINS0_14default_configENS1_22reduce_config_selectorIlEEZNS1_11reduce_implILb1ES3_N6thrust23THRUST_200600_302600_NS11hip_rocprim26transform_input_iterator_tIlNS8_6detail15normal_iteratorINS8_10device_ptrIiEEEE6is_oddIiEEEPllNS8_4plusIlEEEE10hipError_tPvRmT1_T2_T3_mT4_P12ihipStream_tbEUlT_E1_NS1_11comp_targetILNS1_3genE0ELNS1_11target_archE4294967295ELNS1_3gpuE0ELNS1_3repE0EEENS1_30default_config_static_selectorELNS0_4arch9wavefront6targetE0EEEvSP_.has_dyn_sized_stack, 0
	.set _ZN7rocprim17ROCPRIM_400000_NS6detail17trampoline_kernelINS0_14default_configENS1_22reduce_config_selectorIlEEZNS1_11reduce_implILb1ES3_N6thrust23THRUST_200600_302600_NS11hip_rocprim26transform_input_iterator_tIlNS8_6detail15normal_iteratorINS8_10device_ptrIiEEEE6is_oddIiEEEPllNS8_4plusIlEEEE10hipError_tPvRmT1_T2_T3_mT4_P12ihipStream_tbEUlT_E1_NS1_11comp_targetILNS1_3genE0ELNS1_11target_archE4294967295ELNS1_3gpuE0ELNS1_3repE0EEENS1_30default_config_static_selectorELNS0_4arch9wavefront6targetE0EEEvSP_.has_recursion, 0
	.set _ZN7rocprim17ROCPRIM_400000_NS6detail17trampoline_kernelINS0_14default_configENS1_22reduce_config_selectorIlEEZNS1_11reduce_implILb1ES3_N6thrust23THRUST_200600_302600_NS11hip_rocprim26transform_input_iterator_tIlNS8_6detail15normal_iteratorINS8_10device_ptrIiEEEE6is_oddIiEEEPllNS8_4plusIlEEEE10hipError_tPvRmT1_T2_T3_mT4_P12ihipStream_tbEUlT_E1_NS1_11comp_targetILNS1_3genE0ELNS1_11target_archE4294967295ELNS1_3gpuE0ELNS1_3repE0EEENS1_30default_config_static_selectorELNS0_4arch9wavefront6targetE0EEEvSP_.has_indirect_call, 0
	.section	.AMDGPU.csdata,"",@progbits
; Kernel info:
; codeLenInByte = 0
; TotalNumSgprs: 0
; NumVgprs: 0
; ScratchSize: 0
; MemoryBound: 0
; FloatMode: 240
; IeeeMode: 1
; LDSByteSize: 0 bytes/workgroup (compile time only)
; SGPRBlocks: 0
; VGPRBlocks: 0
; NumSGPRsForWavesPerEU: 1
; NumVGPRsForWavesPerEU: 1
; Occupancy: 16
; WaveLimiterHint : 0
; COMPUTE_PGM_RSRC2:SCRATCH_EN: 0
; COMPUTE_PGM_RSRC2:USER_SGPR: 2
; COMPUTE_PGM_RSRC2:TRAP_HANDLER: 0
; COMPUTE_PGM_RSRC2:TGID_X_EN: 1
; COMPUTE_PGM_RSRC2:TGID_Y_EN: 0
; COMPUTE_PGM_RSRC2:TGID_Z_EN: 0
; COMPUTE_PGM_RSRC2:TIDIG_COMP_CNT: 0
	.section	.text._ZN7rocprim17ROCPRIM_400000_NS6detail17trampoline_kernelINS0_14default_configENS1_22reduce_config_selectorIlEEZNS1_11reduce_implILb1ES3_N6thrust23THRUST_200600_302600_NS11hip_rocprim26transform_input_iterator_tIlNS8_6detail15normal_iteratorINS8_10device_ptrIiEEEE6is_oddIiEEEPllNS8_4plusIlEEEE10hipError_tPvRmT1_T2_T3_mT4_P12ihipStream_tbEUlT_E1_NS1_11comp_targetILNS1_3genE5ELNS1_11target_archE942ELNS1_3gpuE9ELNS1_3repE0EEENS1_30default_config_static_selectorELNS0_4arch9wavefront6targetE0EEEvSP_,"axG",@progbits,_ZN7rocprim17ROCPRIM_400000_NS6detail17trampoline_kernelINS0_14default_configENS1_22reduce_config_selectorIlEEZNS1_11reduce_implILb1ES3_N6thrust23THRUST_200600_302600_NS11hip_rocprim26transform_input_iterator_tIlNS8_6detail15normal_iteratorINS8_10device_ptrIiEEEE6is_oddIiEEEPllNS8_4plusIlEEEE10hipError_tPvRmT1_T2_T3_mT4_P12ihipStream_tbEUlT_E1_NS1_11comp_targetILNS1_3genE5ELNS1_11target_archE942ELNS1_3gpuE9ELNS1_3repE0EEENS1_30default_config_static_selectorELNS0_4arch9wavefront6targetE0EEEvSP_,comdat
	.protected	_ZN7rocprim17ROCPRIM_400000_NS6detail17trampoline_kernelINS0_14default_configENS1_22reduce_config_selectorIlEEZNS1_11reduce_implILb1ES3_N6thrust23THRUST_200600_302600_NS11hip_rocprim26transform_input_iterator_tIlNS8_6detail15normal_iteratorINS8_10device_ptrIiEEEE6is_oddIiEEEPllNS8_4plusIlEEEE10hipError_tPvRmT1_T2_T3_mT4_P12ihipStream_tbEUlT_E1_NS1_11comp_targetILNS1_3genE5ELNS1_11target_archE942ELNS1_3gpuE9ELNS1_3repE0EEENS1_30default_config_static_selectorELNS0_4arch9wavefront6targetE0EEEvSP_ ; -- Begin function _ZN7rocprim17ROCPRIM_400000_NS6detail17trampoline_kernelINS0_14default_configENS1_22reduce_config_selectorIlEEZNS1_11reduce_implILb1ES3_N6thrust23THRUST_200600_302600_NS11hip_rocprim26transform_input_iterator_tIlNS8_6detail15normal_iteratorINS8_10device_ptrIiEEEE6is_oddIiEEEPllNS8_4plusIlEEEE10hipError_tPvRmT1_T2_T3_mT4_P12ihipStream_tbEUlT_E1_NS1_11comp_targetILNS1_3genE5ELNS1_11target_archE942ELNS1_3gpuE9ELNS1_3repE0EEENS1_30default_config_static_selectorELNS0_4arch9wavefront6targetE0EEEvSP_
	.globl	_ZN7rocprim17ROCPRIM_400000_NS6detail17trampoline_kernelINS0_14default_configENS1_22reduce_config_selectorIlEEZNS1_11reduce_implILb1ES3_N6thrust23THRUST_200600_302600_NS11hip_rocprim26transform_input_iterator_tIlNS8_6detail15normal_iteratorINS8_10device_ptrIiEEEE6is_oddIiEEEPllNS8_4plusIlEEEE10hipError_tPvRmT1_T2_T3_mT4_P12ihipStream_tbEUlT_E1_NS1_11comp_targetILNS1_3genE5ELNS1_11target_archE942ELNS1_3gpuE9ELNS1_3repE0EEENS1_30default_config_static_selectorELNS0_4arch9wavefront6targetE0EEEvSP_
	.p2align	8
	.type	_ZN7rocprim17ROCPRIM_400000_NS6detail17trampoline_kernelINS0_14default_configENS1_22reduce_config_selectorIlEEZNS1_11reduce_implILb1ES3_N6thrust23THRUST_200600_302600_NS11hip_rocprim26transform_input_iterator_tIlNS8_6detail15normal_iteratorINS8_10device_ptrIiEEEE6is_oddIiEEEPllNS8_4plusIlEEEE10hipError_tPvRmT1_T2_T3_mT4_P12ihipStream_tbEUlT_E1_NS1_11comp_targetILNS1_3genE5ELNS1_11target_archE942ELNS1_3gpuE9ELNS1_3repE0EEENS1_30default_config_static_selectorELNS0_4arch9wavefront6targetE0EEEvSP_,@function
_ZN7rocprim17ROCPRIM_400000_NS6detail17trampoline_kernelINS0_14default_configENS1_22reduce_config_selectorIlEEZNS1_11reduce_implILb1ES3_N6thrust23THRUST_200600_302600_NS11hip_rocprim26transform_input_iterator_tIlNS8_6detail15normal_iteratorINS8_10device_ptrIiEEEE6is_oddIiEEEPllNS8_4plusIlEEEE10hipError_tPvRmT1_T2_T3_mT4_P12ihipStream_tbEUlT_E1_NS1_11comp_targetILNS1_3genE5ELNS1_11target_archE942ELNS1_3gpuE9ELNS1_3repE0EEENS1_30default_config_static_selectorELNS0_4arch9wavefront6targetE0EEEvSP_: ; @_ZN7rocprim17ROCPRIM_400000_NS6detail17trampoline_kernelINS0_14default_configENS1_22reduce_config_selectorIlEEZNS1_11reduce_implILb1ES3_N6thrust23THRUST_200600_302600_NS11hip_rocprim26transform_input_iterator_tIlNS8_6detail15normal_iteratorINS8_10device_ptrIiEEEE6is_oddIiEEEPllNS8_4plusIlEEEE10hipError_tPvRmT1_T2_T3_mT4_P12ihipStream_tbEUlT_E1_NS1_11comp_targetILNS1_3genE5ELNS1_11target_archE942ELNS1_3gpuE9ELNS1_3repE0EEENS1_30default_config_static_selectorELNS0_4arch9wavefront6targetE0EEEvSP_
; %bb.0:
	.section	.rodata,"a",@progbits
	.p2align	6, 0x0
	.amdhsa_kernel _ZN7rocprim17ROCPRIM_400000_NS6detail17trampoline_kernelINS0_14default_configENS1_22reduce_config_selectorIlEEZNS1_11reduce_implILb1ES3_N6thrust23THRUST_200600_302600_NS11hip_rocprim26transform_input_iterator_tIlNS8_6detail15normal_iteratorINS8_10device_ptrIiEEEE6is_oddIiEEEPllNS8_4plusIlEEEE10hipError_tPvRmT1_T2_T3_mT4_P12ihipStream_tbEUlT_E1_NS1_11comp_targetILNS1_3genE5ELNS1_11target_archE942ELNS1_3gpuE9ELNS1_3repE0EEENS1_30default_config_static_selectorELNS0_4arch9wavefront6targetE0EEEvSP_
		.amdhsa_group_segment_fixed_size 0
		.amdhsa_private_segment_fixed_size 0
		.amdhsa_kernarg_size 56
		.amdhsa_user_sgpr_count 2
		.amdhsa_user_sgpr_dispatch_ptr 0
		.amdhsa_user_sgpr_queue_ptr 0
		.amdhsa_user_sgpr_kernarg_segment_ptr 1
		.amdhsa_user_sgpr_dispatch_id 0
		.amdhsa_user_sgpr_private_segment_size 0
		.amdhsa_wavefront_size32 1
		.amdhsa_uses_dynamic_stack 0
		.amdhsa_enable_private_segment 0
		.amdhsa_system_sgpr_workgroup_id_x 1
		.amdhsa_system_sgpr_workgroup_id_y 0
		.amdhsa_system_sgpr_workgroup_id_z 0
		.amdhsa_system_sgpr_workgroup_info 0
		.amdhsa_system_vgpr_workitem_id 0
		.amdhsa_next_free_vgpr 1
		.amdhsa_next_free_sgpr 1
		.amdhsa_reserve_vcc 0
		.amdhsa_float_round_mode_32 0
		.amdhsa_float_round_mode_16_64 0
		.amdhsa_float_denorm_mode_32 3
		.amdhsa_float_denorm_mode_16_64 3
		.amdhsa_fp16_overflow 0
		.amdhsa_workgroup_processor_mode 1
		.amdhsa_memory_ordered 1
		.amdhsa_forward_progress 1
		.amdhsa_inst_pref_size 0
		.amdhsa_round_robin_scheduling 0
		.amdhsa_exception_fp_ieee_invalid_op 0
		.amdhsa_exception_fp_denorm_src 0
		.amdhsa_exception_fp_ieee_div_zero 0
		.amdhsa_exception_fp_ieee_overflow 0
		.amdhsa_exception_fp_ieee_underflow 0
		.amdhsa_exception_fp_ieee_inexact 0
		.amdhsa_exception_int_div_zero 0
	.end_amdhsa_kernel
	.section	.text._ZN7rocprim17ROCPRIM_400000_NS6detail17trampoline_kernelINS0_14default_configENS1_22reduce_config_selectorIlEEZNS1_11reduce_implILb1ES3_N6thrust23THRUST_200600_302600_NS11hip_rocprim26transform_input_iterator_tIlNS8_6detail15normal_iteratorINS8_10device_ptrIiEEEE6is_oddIiEEEPllNS8_4plusIlEEEE10hipError_tPvRmT1_T2_T3_mT4_P12ihipStream_tbEUlT_E1_NS1_11comp_targetILNS1_3genE5ELNS1_11target_archE942ELNS1_3gpuE9ELNS1_3repE0EEENS1_30default_config_static_selectorELNS0_4arch9wavefront6targetE0EEEvSP_,"axG",@progbits,_ZN7rocprim17ROCPRIM_400000_NS6detail17trampoline_kernelINS0_14default_configENS1_22reduce_config_selectorIlEEZNS1_11reduce_implILb1ES3_N6thrust23THRUST_200600_302600_NS11hip_rocprim26transform_input_iterator_tIlNS8_6detail15normal_iteratorINS8_10device_ptrIiEEEE6is_oddIiEEEPllNS8_4plusIlEEEE10hipError_tPvRmT1_T2_T3_mT4_P12ihipStream_tbEUlT_E1_NS1_11comp_targetILNS1_3genE5ELNS1_11target_archE942ELNS1_3gpuE9ELNS1_3repE0EEENS1_30default_config_static_selectorELNS0_4arch9wavefront6targetE0EEEvSP_,comdat
.Lfunc_end75:
	.size	_ZN7rocprim17ROCPRIM_400000_NS6detail17trampoline_kernelINS0_14default_configENS1_22reduce_config_selectorIlEEZNS1_11reduce_implILb1ES3_N6thrust23THRUST_200600_302600_NS11hip_rocprim26transform_input_iterator_tIlNS8_6detail15normal_iteratorINS8_10device_ptrIiEEEE6is_oddIiEEEPllNS8_4plusIlEEEE10hipError_tPvRmT1_T2_T3_mT4_P12ihipStream_tbEUlT_E1_NS1_11comp_targetILNS1_3genE5ELNS1_11target_archE942ELNS1_3gpuE9ELNS1_3repE0EEENS1_30default_config_static_selectorELNS0_4arch9wavefront6targetE0EEEvSP_, .Lfunc_end75-_ZN7rocprim17ROCPRIM_400000_NS6detail17trampoline_kernelINS0_14default_configENS1_22reduce_config_selectorIlEEZNS1_11reduce_implILb1ES3_N6thrust23THRUST_200600_302600_NS11hip_rocprim26transform_input_iterator_tIlNS8_6detail15normal_iteratorINS8_10device_ptrIiEEEE6is_oddIiEEEPllNS8_4plusIlEEEE10hipError_tPvRmT1_T2_T3_mT4_P12ihipStream_tbEUlT_E1_NS1_11comp_targetILNS1_3genE5ELNS1_11target_archE942ELNS1_3gpuE9ELNS1_3repE0EEENS1_30default_config_static_selectorELNS0_4arch9wavefront6targetE0EEEvSP_
                                        ; -- End function
	.set _ZN7rocprim17ROCPRIM_400000_NS6detail17trampoline_kernelINS0_14default_configENS1_22reduce_config_selectorIlEEZNS1_11reduce_implILb1ES3_N6thrust23THRUST_200600_302600_NS11hip_rocprim26transform_input_iterator_tIlNS8_6detail15normal_iteratorINS8_10device_ptrIiEEEE6is_oddIiEEEPllNS8_4plusIlEEEE10hipError_tPvRmT1_T2_T3_mT4_P12ihipStream_tbEUlT_E1_NS1_11comp_targetILNS1_3genE5ELNS1_11target_archE942ELNS1_3gpuE9ELNS1_3repE0EEENS1_30default_config_static_selectorELNS0_4arch9wavefront6targetE0EEEvSP_.num_vgpr, 0
	.set _ZN7rocprim17ROCPRIM_400000_NS6detail17trampoline_kernelINS0_14default_configENS1_22reduce_config_selectorIlEEZNS1_11reduce_implILb1ES3_N6thrust23THRUST_200600_302600_NS11hip_rocprim26transform_input_iterator_tIlNS8_6detail15normal_iteratorINS8_10device_ptrIiEEEE6is_oddIiEEEPllNS8_4plusIlEEEE10hipError_tPvRmT1_T2_T3_mT4_P12ihipStream_tbEUlT_E1_NS1_11comp_targetILNS1_3genE5ELNS1_11target_archE942ELNS1_3gpuE9ELNS1_3repE0EEENS1_30default_config_static_selectorELNS0_4arch9wavefront6targetE0EEEvSP_.num_agpr, 0
	.set _ZN7rocprim17ROCPRIM_400000_NS6detail17trampoline_kernelINS0_14default_configENS1_22reduce_config_selectorIlEEZNS1_11reduce_implILb1ES3_N6thrust23THRUST_200600_302600_NS11hip_rocprim26transform_input_iterator_tIlNS8_6detail15normal_iteratorINS8_10device_ptrIiEEEE6is_oddIiEEEPllNS8_4plusIlEEEE10hipError_tPvRmT1_T2_T3_mT4_P12ihipStream_tbEUlT_E1_NS1_11comp_targetILNS1_3genE5ELNS1_11target_archE942ELNS1_3gpuE9ELNS1_3repE0EEENS1_30default_config_static_selectorELNS0_4arch9wavefront6targetE0EEEvSP_.numbered_sgpr, 0
	.set _ZN7rocprim17ROCPRIM_400000_NS6detail17trampoline_kernelINS0_14default_configENS1_22reduce_config_selectorIlEEZNS1_11reduce_implILb1ES3_N6thrust23THRUST_200600_302600_NS11hip_rocprim26transform_input_iterator_tIlNS8_6detail15normal_iteratorINS8_10device_ptrIiEEEE6is_oddIiEEEPllNS8_4plusIlEEEE10hipError_tPvRmT1_T2_T3_mT4_P12ihipStream_tbEUlT_E1_NS1_11comp_targetILNS1_3genE5ELNS1_11target_archE942ELNS1_3gpuE9ELNS1_3repE0EEENS1_30default_config_static_selectorELNS0_4arch9wavefront6targetE0EEEvSP_.num_named_barrier, 0
	.set _ZN7rocprim17ROCPRIM_400000_NS6detail17trampoline_kernelINS0_14default_configENS1_22reduce_config_selectorIlEEZNS1_11reduce_implILb1ES3_N6thrust23THRUST_200600_302600_NS11hip_rocprim26transform_input_iterator_tIlNS8_6detail15normal_iteratorINS8_10device_ptrIiEEEE6is_oddIiEEEPllNS8_4plusIlEEEE10hipError_tPvRmT1_T2_T3_mT4_P12ihipStream_tbEUlT_E1_NS1_11comp_targetILNS1_3genE5ELNS1_11target_archE942ELNS1_3gpuE9ELNS1_3repE0EEENS1_30default_config_static_selectorELNS0_4arch9wavefront6targetE0EEEvSP_.private_seg_size, 0
	.set _ZN7rocprim17ROCPRIM_400000_NS6detail17trampoline_kernelINS0_14default_configENS1_22reduce_config_selectorIlEEZNS1_11reduce_implILb1ES3_N6thrust23THRUST_200600_302600_NS11hip_rocprim26transform_input_iterator_tIlNS8_6detail15normal_iteratorINS8_10device_ptrIiEEEE6is_oddIiEEEPllNS8_4plusIlEEEE10hipError_tPvRmT1_T2_T3_mT4_P12ihipStream_tbEUlT_E1_NS1_11comp_targetILNS1_3genE5ELNS1_11target_archE942ELNS1_3gpuE9ELNS1_3repE0EEENS1_30default_config_static_selectorELNS0_4arch9wavefront6targetE0EEEvSP_.uses_vcc, 0
	.set _ZN7rocprim17ROCPRIM_400000_NS6detail17trampoline_kernelINS0_14default_configENS1_22reduce_config_selectorIlEEZNS1_11reduce_implILb1ES3_N6thrust23THRUST_200600_302600_NS11hip_rocprim26transform_input_iterator_tIlNS8_6detail15normal_iteratorINS8_10device_ptrIiEEEE6is_oddIiEEEPllNS8_4plusIlEEEE10hipError_tPvRmT1_T2_T3_mT4_P12ihipStream_tbEUlT_E1_NS1_11comp_targetILNS1_3genE5ELNS1_11target_archE942ELNS1_3gpuE9ELNS1_3repE0EEENS1_30default_config_static_selectorELNS0_4arch9wavefront6targetE0EEEvSP_.uses_flat_scratch, 0
	.set _ZN7rocprim17ROCPRIM_400000_NS6detail17trampoline_kernelINS0_14default_configENS1_22reduce_config_selectorIlEEZNS1_11reduce_implILb1ES3_N6thrust23THRUST_200600_302600_NS11hip_rocprim26transform_input_iterator_tIlNS8_6detail15normal_iteratorINS8_10device_ptrIiEEEE6is_oddIiEEEPllNS8_4plusIlEEEE10hipError_tPvRmT1_T2_T3_mT4_P12ihipStream_tbEUlT_E1_NS1_11comp_targetILNS1_3genE5ELNS1_11target_archE942ELNS1_3gpuE9ELNS1_3repE0EEENS1_30default_config_static_selectorELNS0_4arch9wavefront6targetE0EEEvSP_.has_dyn_sized_stack, 0
	.set _ZN7rocprim17ROCPRIM_400000_NS6detail17trampoline_kernelINS0_14default_configENS1_22reduce_config_selectorIlEEZNS1_11reduce_implILb1ES3_N6thrust23THRUST_200600_302600_NS11hip_rocprim26transform_input_iterator_tIlNS8_6detail15normal_iteratorINS8_10device_ptrIiEEEE6is_oddIiEEEPllNS8_4plusIlEEEE10hipError_tPvRmT1_T2_T3_mT4_P12ihipStream_tbEUlT_E1_NS1_11comp_targetILNS1_3genE5ELNS1_11target_archE942ELNS1_3gpuE9ELNS1_3repE0EEENS1_30default_config_static_selectorELNS0_4arch9wavefront6targetE0EEEvSP_.has_recursion, 0
	.set _ZN7rocprim17ROCPRIM_400000_NS6detail17trampoline_kernelINS0_14default_configENS1_22reduce_config_selectorIlEEZNS1_11reduce_implILb1ES3_N6thrust23THRUST_200600_302600_NS11hip_rocprim26transform_input_iterator_tIlNS8_6detail15normal_iteratorINS8_10device_ptrIiEEEE6is_oddIiEEEPllNS8_4plusIlEEEE10hipError_tPvRmT1_T2_T3_mT4_P12ihipStream_tbEUlT_E1_NS1_11comp_targetILNS1_3genE5ELNS1_11target_archE942ELNS1_3gpuE9ELNS1_3repE0EEENS1_30default_config_static_selectorELNS0_4arch9wavefront6targetE0EEEvSP_.has_indirect_call, 0
	.section	.AMDGPU.csdata,"",@progbits
; Kernel info:
; codeLenInByte = 0
; TotalNumSgprs: 0
; NumVgprs: 0
; ScratchSize: 0
; MemoryBound: 0
; FloatMode: 240
; IeeeMode: 1
; LDSByteSize: 0 bytes/workgroup (compile time only)
; SGPRBlocks: 0
; VGPRBlocks: 0
; NumSGPRsForWavesPerEU: 1
; NumVGPRsForWavesPerEU: 1
; Occupancy: 16
; WaveLimiterHint : 0
; COMPUTE_PGM_RSRC2:SCRATCH_EN: 0
; COMPUTE_PGM_RSRC2:USER_SGPR: 2
; COMPUTE_PGM_RSRC2:TRAP_HANDLER: 0
; COMPUTE_PGM_RSRC2:TGID_X_EN: 1
; COMPUTE_PGM_RSRC2:TGID_Y_EN: 0
; COMPUTE_PGM_RSRC2:TGID_Z_EN: 0
; COMPUTE_PGM_RSRC2:TIDIG_COMP_CNT: 0
	.section	.text._ZN7rocprim17ROCPRIM_400000_NS6detail17trampoline_kernelINS0_14default_configENS1_22reduce_config_selectorIlEEZNS1_11reduce_implILb1ES3_N6thrust23THRUST_200600_302600_NS11hip_rocprim26transform_input_iterator_tIlNS8_6detail15normal_iteratorINS8_10device_ptrIiEEEE6is_oddIiEEEPllNS8_4plusIlEEEE10hipError_tPvRmT1_T2_T3_mT4_P12ihipStream_tbEUlT_E1_NS1_11comp_targetILNS1_3genE4ELNS1_11target_archE910ELNS1_3gpuE8ELNS1_3repE0EEENS1_30default_config_static_selectorELNS0_4arch9wavefront6targetE0EEEvSP_,"axG",@progbits,_ZN7rocprim17ROCPRIM_400000_NS6detail17trampoline_kernelINS0_14default_configENS1_22reduce_config_selectorIlEEZNS1_11reduce_implILb1ES3_N6thrust23THRUST_200600_302600_NS11hip_rocprim26transform_input_iterator_tIlNS8_6detail15normal_iteratorINS8_10device_ptrIiEEEE6is_oddIiEEEPllNS8_4plusIlEEEE10hipError_tPvRmT1_T2_T3_mT4_P12ihipStream_tbEUlT_E1_NS1_11comp_targetILNS1_3genE4ELNS1_11target_archE910ELNS1_3gpuE8ELNS1_3repE0EEENS1_30default_config_static_selectorELNS0_4arch9wavefront6targetE0EEEvSP_,comdat
	.protected	_ZN7rocprim17ROCPRIM_400000_NS6detail17trampoline_kernelINS0_14default_configENS1_22reduce_config_selectorIlEEZNS1_11reduce_implILb1ES3_N6thrust23THRUST_200600_302600_NS11hip_rocprim26transform_input_iterator_tIlNS8_6detail15normal_iteratorINS8_10device_ptrIiEEEE6is_oddIiEEEPllNS8_4plusIlEEEE10hipError_tPvRmT1_T2_T3_mT4_P12ihipStream_tbEUlT_E1_NS1_11comp_targetILNS1_3genE4ELNS1_11target_archE910ELNS1_3gpuE8ELNS1_3repE0EEENS1_30default_config_static_selectorELNS0_4arch9wavefront6targetE0EEEvSP_ ; -- Begin function _ZN7rocprim17ROCPRIM_400000_NS6detail17trampoline_kernelINS0_14default_configENS1_22reduce_config_selectorIlEEZNS1_11reduce_implILb1ES3_N6thrust23THRUST_200600_302600_NS11hip_rocprim26transform_input_iterator_tIlNS8_6detail15normal_iteratorINS8_10device_ptrIiEEEE6is_oddIiEEEPllNS8_4plusIlEEEE10hipError_tPvRmT1_T2_T3_mT4_P12ihipStream_tbEUlT_E1_NS1_11comp_targetILNS1_3genE4ELNS1_11target_archE910ELNS1_3gpuE8ELNS1_3repE0EEENS1_30default_config_static_selectorELNS0_4arch9wavefront6targetE0EEEvSP_
	.globl	_ZN7rocprim17ROCPRIM_400000_NS6detail17trampoline_kernelINS0_14default_configENS1_22reduce_config_selectorIlEEZNS1_11reduce_implILb1ES3_N6thrust23THRUST_200600_302600_NS11hip_rocprim26transform_input_iterator_tIlNS8_6detail15normal_iteratorINS8_10device_ptrIiEEEE6is_oddIiEEEPllNS8_4plusIlEEEE10hipError_tPvRmT1_T2_T3_mT4_P12ihipStream_tbEUlT_E1_NS1_11comp_targetILNS1_3genE4ELNS1_11target_archE910ELNS1_3gpuE8ELNS1_3repE0EEENS1_30default_config_static_selectorELNS0_4arch9wavefront6targetE0EEEvSP_
	.p2align	8
	.type	_ZN7rocprim17ROCPRIM_400000_NS6detail17trampoline_kernelINS0_14default_configENS1_22reduce_config_selectorIlEEZNS1_11reduce_implILb1ES3_N6thrust23THRUST_200600_302600_NS11hip_rocprim26transform_input_iterator_tIlNS8_6detail15normal_iteratorINS8_10device_ptrIiEEEE6is_oddIiEEEPllNS8_4plusIlEEEE10hipError_tPvRmT1_T2_T3_mT4_P12ihipStream_tbEUlT_E1_NS1_11comp_targetILNS1_3genE4ELNS1_11target_archE910ELNS1_3gpuE8ELNS1_3repE0EEENS1_30default_config_static_selectorELNS0_4arch9wavefront6targetE0EEEvSP_,@function
_ZN7rocprim17ROCPRIM_400000_NS6detail17trampoline_kernelINS0_14default_configENS1_22reduce_config_selectorIlEEZNS1_11reduce_implILb1ES3_N6thrust23THRUST_200600_302600_NS11hip_rocprim26transform_input_iterator_tIlNS8_6detail15normal_iteratorINS8_10device_ptrIiEEEE6is_oddIiEEEPllNS8_4plusIlEEEE10hipError_tPvRmT1_T2_T3_mT4_P12ihipStream_tbEUlT_E1_NS1_11comp_targetILNS1_3genE4ELNS1_11target_archE910ELNS1_3gpuE8ELNS1_3repE0EEENS1_30default_config_static_selectorELNS0_4arch9wavefront6targetE0EEEvSP_: ; @_ZN7rocprim17ROCPRIM_400000_NS6detail17trampoline_kernelINS0_14default_configENS1_22reduce_config_selectorIlEEZNS1_11reduce_implILb1ES3_N6thrust23THRUST_200600_302600_NS11hip_rocprim26transform_input_iterator_tIlNS8_6detail15normal_iteratorINS8_10device_ptrIiEEEE6is_oddIiEEEPllNS8_4plusIlEEEE10hipError_tPvRmT1_T2_T3_mT4_P12ihipStream_tbEUlT_E1_NS1_11comp_targetILNS1_3genE4ELNS1_11target_archE910ELNS1_3gpuE8ELNS1_3repE0EEENS1_30default_config_static_selectorELNS0_4arch9wavefront6targetE0EEEvSP_
; %bb.0:
	.section	.rodata,"a",@progbits
	.p2align	6, 0x0
	.amdhsa_kernel _ZN7rocprim17ROCPRIM_400000_NS6detail17trampoline_kernelINS0_14default_configENS1_22reduce_config_selectorIlEEZNS1_11reduce_implILb1ES3_N6thrust23THRUST_200600_302600_NS11hip_rocprim26transform_input_iterator_tIlNS8_6detail15normal_iteratorINS8_10device_ptrIiEEEE6is_oddIiEEEPllNS8_4plusIlEEEE10hipError_tPvRmT1_T2_T3_mT4_P12ihipStream_tbEUlT_E1_NS1_11comp_targetILNS1_3genE4ELNS1_11target_archE910ELNS1_3gpuE8ELNS1_3repE0EEENS1_30default_config_static_selectorELNS0_4arch9wavefront6targetE0EEEvSP_
		.amdhsa_group_segment_fixed_size 0
		.amdhsa_private_segment_fixed_size 0
		.amdhsa_kernarg_size 56
		.amdhsa_user_sgpr_count 2
		.amdhsa_user_sgpr_dispatch_ptr 0
		.amdhsa_user_sgpr_queue_ptr 0
		.amdhsa_user_sgpr_kernarg_segment_ptr 1
		.amdhsa_user_sgpr_dispatch_id 0
		.amdhsa_user_sgpr_private_segment_size 0
		.amdhsa_wavefront_size32 1
		.amdhsa_uses_dynamic_stack 0
		.amdhsa_enable_private_segment 0
		.amdhsa_system_sgpr_workgroup_id_x 1
		.amdhsa_system_sgpr_workgroup_id_y 0
		.amdhsa_system_sgpr_workgroup_id_z 0
		.amdhsa_system_sgpr_workgroup_info 0
		.amdhsa_system_vgpr_workitem_id 0
		.amdhsa_next_free_vgpr 1
		.amdhsa_next_free_sgpr 1
		.amdhsa_reserve_vcc 0
		.amdhsa_float_round_mode_32 0
		.amdhsa_float_round_mode_16_64 0
		.amdhsa_float_denorm_mode_32 3
		.amdhsa_float_denorm_mode_16_64 3
		.amdhsa_fp16_overflow 0
		.amdhsa_workgroup_processor_mode 1
		.amdhsa_memory_ordered 1
		.amdhsa_forward_progress 1
		.amdhsa_inst_pref_size 0
		.amdhsa_round_robin_scheduling 0
		.amdhsa_exception_fp_ieee_invalid_op 0
		.amdhsa_exception_fp_denorm_src 0
		.amdhsa_exception_fp_ieee_div_zero 0
		.amdhsa_exception_fp_ieee_overflow 0
		.amdhsa_exception_fp_ieee_underflow 0
		.amdhsa_exception_fp_ieee_inexact 0
		.amdhsa_exception_int_div_zero 0
	.end_amdhsa_kernel
	.section	.text._ZN7rocprim17ROCPRIM_400000_NS6detail17trampoline_kernelINS0_14default_configENS1_22reduce_config_selectorIlEEZNS1_11reduce_implILb1ES3_N6thrust23THRUST_200600_302600_NS11hip_rocprim26transform_input_iterator_tIlNS8_6detail15normal_iteratorINS8_10device_ptrIiEEEE6is_oddIiEEEPllNS8_4plusIlEEEE10hipError_tPvRmT1_T2_T3_mT4_P12ihipStream_tbEUlT_E1_NS1_11comp_targetILNS1_3genE4ELNS1_11target_archE910ELNS1_3gpuE8ELNS1_3repE0EEENS1_30default_config_static_selectorELNS0_4arch9wavefront6targetE0EEEvSP_,"axG",@progbits,_ZN7rocprim17ROCPRIM_400000_NS6detail17trampoline_kernelINS0_14default_configENS1_22reduce_config_selectorIlEEZNS1_11reduce_implILb1ES3_N6thrust23THRUST_200600_302600_NS11hip_rocprim26transform_input_iterator_tIlNS8_6detail15normal_iteratorINS8_10device_ptrIiEEEE6is_oddIiEEEPllNS8_4plusIlEEEE10hipError_tPvRmT1_T2_T3_mT4_P12ihipStream_tbEUlT_E1_NS1_11comp_targetILNS1_3genE4ELNS1_11target_archE910ELNS1_3gpuE8ELNS1_3repE0EEENS1_30default_config_static_selectorELNS0_4arch9wavefront6targetE0EEEvSP_,comdat
.Lfunc_end76:
	.size	_ZN7rocprim17ROCPRIM_400000_NS6detail17trampoline_kernelINS0_14default_configENS1_22reduce_config_selectorIlEEZNS1_11reduce_implILb1ES3_N6thrust23THRUST_200600_302600_NS11hip_rocprim26transform_input_iterator_tIlNS8_6detail15normal_iteratorINS8_10device_ptrIiEEEE6is_oddIiEEEPllNS8_4plusIlEEEE10hipError_tPvRmT1_T2_T3_mT4_P12ihipStream_tbEUlT_E1_NS1_11comp_targetILNS1_3genE4ELNS1_11target_archE910ELNS1_3gpuE8ELNS1_3repE0EEENS1_30default_config_static_selectorELNS0_4arch9wavefront6targetE0EEEvSP_, .Lfunc_end76-_ZN7rocprim17ROCPRIM_400000_NS6detail17trampoline_kernelINS0_14default_configENS1_22reduce_config_selectorIlEEZNS1_11reduce_implILb1ES3_N6thrust23THRUST_200600_302600_NS11hip_rocprim26transform_input_iterator_tIlNS8_6detail15normal_iteratorINS8_10device_ptrIiEEEE6is_oddIiEEEPllNS8_4plusIlEEEE10hipError_tPvRmT1_T2_T3_mT4_P12ihipStream_tbEUlT_E1_NS1_11comp_targetILNS1_3genE4ELNS1_11target_archE910ELNS1_3gpuE8ELNS1_3repE0EEENS1_30default_config_static_selectorELNS0_4arch9wavefront6targetE0EEEvSP_
                                        ; -- End function
	.set _ZN7rocprim17ROCPRIM_400000_NS6detail17trampoline_kernelINS0_14default_configENS1_22reduce_config_selectorIlEEZNS1_11reduce_implILb1ES3_N6thrust23THRUST_200600_302600_NS11hip_rocprim26transform_input_iterator_tIlNS8_6detail15normal_iteratorINS8_10device_ptrIiEEEE6is_oddIiEEEPllNS8_4plusIlEEEE10hipError_tPvRmT1_T2_T3_mT4_P12ihipStream_tbEUlT_E1_NS1_11comp_targetILNS1_3genE4ELNS1_11target_archE910ELNS1_3gpuE8ELNS1_3repE0EEENS1_30default_config_static_selectorELNS0_4arch9wavefront6targetE0EEEvSP_.num_vgpr, 0
	.set _ZN7rocprim17ROCPRIM_400000_NS6detail17trampoline_kernelINS0_14default_configENS1_22reduce_config_selectorIlEEZNS1_11reduce_implILb1ES3_N6thrust23THRUST_200600_302600_NS11hip_rocprim26transform_input_iterator_tIlNS8_6detail15normal_iteratorINS8_10device_ptrIiEEEE6is_oddIiEEEPllNS8_4plusIlEEEE10hipError_tPvRmT1_T2_T3_mT4_P12ihipStream_tbEUlT_E1_NS1_11comp_targetILNS1_3genE4ELNS1_11target_archE910ELNS1_3gpuE8ELNS1_3repE0EEENS1_30default_config_static_selectorELNS0_4arch9wavefront6targetE0EEEvSP_.num_agpr, 0
	.set _ZN7rocprim17ROCPRIM_400000_NS6detail17trampoline_kernelINS0_14default_configENS1_22reduce_config_selectorIlEEZNS1_11reduce_implILb1ES3_N6thrust23THRUST_200600_302600_NS11hip_rocprim26transform_input_iterator_tIlNS8_6detail15normal_iteratorINS8_10device_ptrIiEEEE6is_oddIiEEEPllNS8_4plusIlEEEE10hipError_tPvRmT1_T2_T3_mT4_P12ihipStream_tbEUlT_E1_NS1_11comp_targetILNS1_3genE4ELNS1_11target_archE910ELNS1_3gpuE8ELNS1_3repE0EEENS1_30default_config_static_selectorELNS0_4arch9wavefront6targetE0EEEvSP_.numbered_sgpr, 0
	.set _ZN7rocprim17ROCPRIM_400000_NS6detail17trampoline_kernelINS0_14default_configENS1_22reduce_config_selectorIlEEZNS1_11reduce_implILb1ES3_N6thrust23THRUST_200600_302600_NS11hip_rocprim26transform_input_iterator_tIlNS8_6detail15normal_iteratorINS8_10device_ptrIiEEEE6is_oddIiEEEPllNS8_4plusIlEEEE10hipError_tPvRmT1_T2_T3_mT4_P12ihipStream_tbEUlT_E1_NS1_11comp_targetILNS1_3genE4ELNS1_11target_archE910ELNS1_3gpuE8ELNS1_3repE0EEENS1_30default_config_static_selectorELNS0_4arch9wavefront6targetE0EEEvSP_.num_named_barrier, 0
	.set _ZN7rocprim17ROCPRIM_400000_NS6detail17trampoline_kernelINS0_14default_configENS1_22reduce_config_selectorIlEEZNS1_11reduce_implILb1ES3_N6thrust23THRUST_200600_302600_NS11hip_rocprim26transform_input_iterator_tIlNS8_6detail15normal_iteratorINS8_10device_ptrIiEEEE6is_oddIiEEEPllNS8_4plusIlEEEE10hipError_tPvRmT1_T2_T3_mT4_P12ihipStream_tbEUlT_E1_NS1_11comp_targetILNS1_3genE4ELNS1_11target_archE910ELNS1_3gpuE8ELNS1_3repE0EEENS1_30default_config_static_selectorELNS0_4arch9wavefront6targetE0EEEvSP_.private_seg_size, 0
	.set _ZN7rocprim17ROCPRIM_400000_NS6detail17trampoline_kernelINS0_14default_configENS1_22reduce_config_selectorIlEEZNS1_11reduce_implILb1ES3_N6thrust23THRUST_200600_302600_NS11hip_rocprim26transform_input_iterator_tIlNS8_6detail15normal_iteratorINS8_10device_ptrIiEEEE6is_oddIiEEEPllNS8_4plusIlEEEE10hipError_tPvRmT1_T2_T3_mT4_P12ihipStream_tbEUlT_E1_NS1_11comp_targetILNS1_3genE4ELNS1_11target_archE910ELNS1_3gpuE8ELNS1_3repE0EEENS1_30default_config_static_selectorELNS0_4arch9wavefront6targetE0EEEvSP_.uses_vcc, 0
	.set _ZN7rocprim17ROCPRIM_400000_NS6detail17trampoline_kernelINS0_14default_configENS1_22reduce_config_selectorIlEEZNS1_11reduce_implILb1ES3_N6thrust23THRUST_200600_302600_NS11hip_rocprim26transform_input_iterator_tIlNS8_6detail15normal_iteratorINS8_10device_ptrIiEEEE6is_oddIiEEEPllNS8_4plusIlEEEE10hipError_tPvRmT1_T2_T3_mT4_P12ihipStream_tbEUlT_E1_NS1_11comp_targetILNS1_3genE4ELNS1_11target_archE910ELNS1_3gpuE8ELNS1_3repE0EEENS1_30default_config_static_selectorELNS0_4arch9wavefront6targetE0EEEvSP_.uses_flat_scratch, 0
	.set _ZN7rocprim17ROCPRIM_400000_NS6detail17trampoline_kernelINS0_14default_configENS1_22reduce_config_selectorIlEEZNS1_11reduce_implILb1ES3_N6thrust23THRUST_200600_302600_NS11hip_rocprim26transform_input_iterator_tIlNS8_6detail15normal_iteratorINS8_10device_ptrIiEEEE6is_oddIiEEEPllNS8_4plusIlEEEE10hipError_tPvRmT1_T2_T3_mT4_P12ihipStream_tbEUlT_E1_NS1_11comp_targetILNS1_3genE4ELNS1_11target_archE910ELNS1_3gpuE8ELNS1_3repE0EEENS1_30default_config_static_selectorELNS0_4arch9wavefront6targetE0EEEvSP_.has_dyn_sized_stack, 0
	.set _ZN7rocprim17ROCPRIM_400000_NS6detail17trampoline_kernelINS0_14default_configENS1_22reduce_config_selectorIlEEZNS1_11reduce_implILb1ES3_N6thrust23THRUST_200600_302600_NS11hip_rocprim26transform_input_iterator_tIlNS8_6detail15normal_iteratorINS8_10device_ptrIiEEEE6is_oddIiEEEPllNS8_4plusIlEEEE10hipError_tPvRmT1_T2_T3_mT4_P12ihipStream_tbEUlT_E1_NS1_11comp_targetILNS1_3genE4ELNS1_11target_archE910ELNS1_3gpuE8ELNS1_3repE0EEENS1_30default_config_static_selectorELNS0_4arch9wavefront6targetE0EEEvSP_.has_recursion, 0
	.set _ZN7rocprim17ROCPRIM_400000_NS6detail17trampoline_kernelINS0_14default_configENS1_22reduce_config_selectorIlEEZNS1_11reduce_implILb1ES3_N6thrust23THRUST_200600_302600_NS11hip_rocprim26transform_input_iterator_tIlNS8_6detail15normal_iteratorINS8_10device_ptrIiEEEE6is_oddIiEEEPllNS8_4plusIlEEEE10hipError_tPvRmT1_T2_T3_mT4_P12ihipStream_tbEUlT_E1_NS1_11comp_targetILNS1_3genE4ELNS1_11target_archE910ELNS1_3gpuE8ELNS1_3repE0EEENS1_30default_config_static_selectorELNS0_4arch9wavefront6targetE0EEEvSP_.has_indirect_call, 0
	.section	.AMDGPU.csdata,"",@progbits
; Kernel info:
; codeLenInByte = 0
; TotalNumSgprs: 0
; NumVgprs: 0
; ScratchSize: 0
; MemoryBound: 0
; FloatMode: 240
; IeeeMode: 1
; LDSByteSize: 0 bytes/workgroup (compile time only)
; SGPRBlocks: 0
; VGPRBlocks: 0
; NumSGPRsForWavesPerEU: 1
; NumVGPRsForWavesPerEU: 1
; Occupancy: 16
; WaveLimiterHint : 0
; COMPUTE_PGM_RSRC2:SCRATCH_EN: 0
; COMPUTE_PGM_RSRC2:USER_SGPR: 2
; COMPUTE_PGM_RSRC2:TRAP_HANDLER: 0
; COMPUTE_PGM_RSRC2:TGID_X_EN: 1
; COMPUTE_PGM_RSRC2:TGID_Y_EN: 0
; COMPUTE_PGM_RSRC2:TGID_Z_EN: 0
; COMPUTE_PGM_RSRC2:TIDIG_COMP_CNT: 0
	.section	.text._ZN7rocprim17ROCPRIM_400000_NS6detail17trampoline_kernelINS0_14default_configENS1_22reduce_config_selectorIlEEZNS1_11reduce_implILb1ES3_N6thrust23THRUST_200600_302600_NS11hip_rocprim26transform_input_iterator_tIlNS8_6detail15normal_iteratorINS8_10device_ptrIiEEEE6is_oddIiEEEPllNS8_4plusIlEEEE10hipError_tPvRmT1_T2_T3_mT4_P12ihipStream_tbEUlT_E1_NS1_11comp_targetILNS1_3genE3ELNS1_11target_archE908ELNS1_3gpuE7ELNS1_3repE0EEENS1_30default_config_static_selectorELNS0_4arch9wavefront6targetE0EEEvSP_,"axG",@progbits,_ZN7rocprim17ROCPRIM_400000_NS6detail17trampoline_kernelINS0_14default_configENS1_22reduce_config_selectorIlEEZNS1_11reduce_implILb1ES3_N6thrust23THRUST_200600_302600_NS11hip_rocprim26transform_input_iterator_tIlNS8_6detail15normal_iteratorINS8_10device_ptrIiEEEE6is_oddIiEEEPllNS8_4plusIlEEEE10hipError_tPvRmT1_T2_T3_mT4_P12ihipStream_tbEUlT_E1_NS1_11comp_targetILNS1_3genE3ELNS1_11target_archE908ELNS1_3gpuE7ELNS1_3repE0EEENS1_30default_config_static_selectorELNS0_4arch9wavefront6targetE0EEEvSP_,comdat
	.protected	_ZN7rocprim17ROCPRIM_400000_NS6detail17trampoline_kernelINS0_14default_configENS1_22reduce_config_selectorIlEEZNS1_11reduce_implILb1ES3_N6thrust23THRUST_200600_302600_NS11hip_rocprim26transform_input_iterator_tIlNS8_6detail15normal_iteratorINS8_10device_ptrIiEEEE6is_oddIiEEEPllNS8_4plusIlEEEE10hipError_tPvRmT1_T2_T3_mT4_P12ihipStream_tbEUlT_E1_NS1_11comp_targetILNS1_3genE3ELNS1_11target_archE908ELNS1_3gpuE7ELNS1_3repE0EEENS1_30default_config_static_selectorELNS0_4arch9wavefront6targetE0EEEvSP_ ; -- Begin function _ZN7rocprim17ROCPRIM_400000_NS6detail17trampoline_kernelINS0_14default_configENS1_22reduce_config_selectorIlEEZNS1_11reduce_implILb1ES3_N6thrust23THRUST_200600_302600_NS11hip_rocprim26transform_input_iterator_tIlNS8_6detail15normal_iteratorINS8_10device_ptrIiEEEE6is_oddIiEEEPllNS8_4plusIlEEEE10hipError_tPvRmT1_T2_T3_mT4_P12ihipStream_tbEUlT_E1_NS1_11comp_targetILNS1_3genE3ELNS1_11target_archE908ELNS1_3gpuE7ELNS1_3repE0EEENS1_30default_config_static_selectorELNS0_4arch9wavefront6targetE0EEEvSP_
	.globl	_ZN7rocprim17ROCPRIM_400000_NS6detail17trampoline_kernelINS0_14default_configENS1_22reduce_config_selectorIlEEZNS1_11reduce_implILb1ES3_N6thrust23THRUST_200600_302600_NS11hip_rocprim26transform_input_iterator_tIlNS8_6detail15normal_iteratorINS8_10device_ptrIiEEEE6is_oddIiEEEPllNS8_4plusIlEEEE10hipError_tPvRmT1_T2_T3_mT4_P12ihipStream_tbEUlT_E1_NS1_11comp_targetILNS1_3genE3ELNS1_11target_archE908ELNS1_3gpuE7ELNS1_3repE0EEENS1_30default_config_static_selectorELNS0_4arch9wavefront6targetE0EEEvSP_
	.p2align	8
	.type	_ZN7rocprim17ROCPRIM_400000_NS6detail17trampoline_kernelINS0_14default_configENS1_22reduce_config_selectorIlEEZNS1_11reduce_implILb1ES3_N6thrust23THRUST_200600_302600_NS11hip_rocprim26transform_input_iterator_tIlNS8_6detail15normal_iteratorINS8_10device_ptrIiEEEE6is_oddIiEEEPllNS8_4plusIlEEEE10hipError_tPvRmT1_T2_T3_mT4_P12ihipStream_tbEUlT_E1_NS1_11comp_targetILNS1_3genE3ELNS1_11target_archE908ELNS1_3gpuE7ELNS1_3repE0EEENS1_30default_config_static_selectorELNS0_4arch9wavefront6targetE0EEEvSP_,@function
_ZN7rocprim17ROCPRIM_400000_NS6detail17trampoline_kernelINS0_14default_configENS1_22reduce_config_selectorIlEEZNS1_11reduce_implILb1ES3_N6thrust23THRUST_200600_302600_NS11hip_rocprim26transform_input_iterator_tIlNS8_6detail15normal_iteratorINS8_10device_ptrIiEEEE6is_oddIiEEEPllNS8_4plusIlEEEE10hipError_tPvRmT1_T2_T3_mT4_P12ihipStream_tbEUlT_E1_NS1_11comp_targetILNS1_3genE3ELNS1_11target_archE908ELNS1_3gpuE7ELNS1_3repE0EEENS1_30default_config_static_selectorELNS0_4arch9wavefront6targetE0EEEvSP_: ; @_ZN7rocprim17ROCPRIM_400000_NS6detail17trampoline_kernelINS0_14default_configENS1_22reduce_config_selectorIlEEZNS1_11reduce_implILb1ES3_N6thrust23THRUST_200600_302600_NS11hip_rocprim26transform_input_iterator_tIlNS8_6detail15normal_iteratorINS8_10device_ptrIiEEEE6is_oddIiEEEPllNS8_4plusIlEEEE10hipError_tPvRmT1_T2_T3_mT4_P12ihipStream_tbEUlT_E1_NS1_11comp_targetILNS1_3genE3ELNS1_11target_archE908ELNS1_3gpuE7ELNS1_3repE0EEENS1_30default_config_static_selectorELNS0_4arch9wavefront6targetE0EEEvSP_
; %bb.0:
	.section	.rodata,"a",@progbits
	.p2align	6, 0x0
	.amdhsa_kernel _ZN7rocprim17ROCPRIM_400000_NS6detail17trampoline_kernelINS0_14default_configENS1_22reduce_config_selectorIlEEZNS1_11reduce_implILb1ES3_N6thrust23THRUST_200600_302600_NS11hip_rocprim26transform_input_iterator_tIlNS8_6detail15normal_iteratorINS8_10device_ptrIiEEEE6is_oddIiEEEPllNS8_4plusIlEEEE10hipError_tPvRmT1_T2_T3_mT4_P12ihipStream_tbEUlT_E1_NS1_11comp_targetILNS1_3genE3ELNS1_11target_archE908ELNS1_3gpuE7ELNS1_3repE0EEENS1_30default_config_static_selectorELNS0_4arch9wavefront6targetE0EEEvSP_
		.amdhsa_group_segment_fixed_size 0
		.amdhsa_private_segment_fixed_size 0
		.amdhsa_kernarg_size 56
		.amdhsa_user_sgpr_count 2
		.amdhsa_user_sgpr_dispatch_ptr 0
		.amdhsa_user_sgpr_queue_ptr 0
		.amdhsa_user_sgpr_kernarg_segment_ptr 1
		.amdhsa_user_sgpr_dispatch_id 0
		.amdhsa_user_sgpr_private_segment_size 0
		.amdhsa_wavefront_size32 1
		.amdhsa_uses_dynamic_stack 0
		.amdhsa_enable_private_segment 0
		.amdhsa_system_sgpr_workgroup_id_x 1
		.amdhsa_system_sgpr_workgroup_id_y 0
		.amdhsa_system_sgpr_workgroup_id_z 0
		.amdhsa_system_sgpr_workgroup_info 0
		.amdhsa_system_vgpr_workitem_id 0
		.amdhsa_next_free_vgpr 1
		.amdhsa_next_free_sgpr 1
		.amdhsa_reserve_vcc 0
		.amdhsa_float_round_mode_32 0
		.amdhsa_float_round_mode_16_64 0
		.amdhsa_float_denorm_mode_32 3
		.amdhsa_float_denorm_mode_16_64 3
		.amdhsa_fp16_overflow 0
		.amdhsa_workgroup_processor_mode 1
		.amdhsa_memory_ordered 1
		.amdhsa_forward_progress 1
		.amdhsa_inst_pref_size 0
		.amdhsa_round_robin_scheduling 0
		.amdhsa_exception_fp_ieee_invalid_op 0
		.amdhsa_exception_fp_denorm_src 0
		.amdhsa_exception_fp_ieee_div_zero 0
		.amdhsa_exception_fp_ieee_overflow 0
		.amdhsa_exception_fp_ieee_underflow 0
		.amdhsa_exception_fp_ieee_inexact 0
		.amdhsa_exception_int_div_zero 0
	.end_amdhsa_kernel
	.section	.text._ZN7rocprim17ROCPRIM_400000_NS6detail17trampoline_kernelINS0_14default_configENS1_22reduce_config_selectorIlEEZNS1_11reduce_implILb1ES3_N6thrust23THRUST_200600_302600_NS11hip_rocprim26transform_input_iterator_tIlNS8_6detail15normal_iteratorINS8_10device_ptrIiEEEE6is_oddIiEEEPllNS8_4plusIlEEEE10hipError_tPvRmT1_T2_T3_mT4_P12ihipStream_tbEUlT_E1_NS1_11comp_targetILNS1_3genE3ELNS1_11target_archE908ELNS1_3gpuE7ELNS1_3repE0EEENS1_30default_config_static_selectorELNS0_4arch9wavefront6targetE0EEEvSP_,"axG",@progbits,_ZN7rocprim17ROCPRIM_400000_NS6detail17trampoline_kernelINS0_14default_configENS1_22reduce_config_selectorIlEEZNS1_11reduce_implILb1ES3_N6thrust23THRUST_200600_302600_NS11hip_rocprim26transform_input_iterator_tIlNS8_6detail15normal_iteratorINS8_10device_ptrIiEEEE6is_oddIiEEEPllNS8_4plusIlEEEE10hipError_tPvRmT1_T2_T3_mT4_P12ihipStream_tbEUlT_E1_NS1_11comp_targetILNS1_3genE3ELNS1_11target_archE908ELNS1_3gpuE7ELNS1_3repE0EEENS1_30default_config_static_selectorELNS0_4arch9wavefront6targetE0EEEvSP_,comdat
.Lfunc_end77:
	.size	_ZN7rocprim17ROCPRIM_400000_NS6detail17trampoline_kernelINS0_14default_configENS1_22reduce_config_selectorIlEEZNS1_11reduce_implILb1ES3_N6thrust23THRUST_200600_302600_NS11hip_rocprim26transform_input_iterator_tIlNS8_6detail15normal_iteratorINS8_10device_ptrIiEEEE6is_oddIiEEEPllNS8_4plusIlEEEE10hipError_tPvRmT1_T2_T3_mT4_P12ihipStream_tbEUlT_E1_NS1_11comp_targetILNS1_3genE3ELNS1_11target_archE908ELNS1_3gpuE7ELNS1_3repE0EEENS1_30default_config_static_selectorELNS0_4arch9wavefront6targetE0EEEvSP_, .Lfunc_end77-_ZN7rocprim17ROCPRIM_400000_NS6detail17trampoline_kernelINS0_14default_configENS1_22reduce_config_selectorIlEEZNS1_11reduce_implILb1ES3_N6thrust23THRUST_200600_302600_NS11hip_rocprim26transform_input_iterator_tIlNS8_6detail15normal_iteratorINS8_10device_ptrIiEEEE6is_oddIiEEEPllNS8_4plusIlEEEE10hipError_tPvRmT1_T2_T3_mT4_P12ihipStream_tbEUlT_E1_NS1_11comp_targetILNS1_3genE3ELNS1_11target_archE908ELNS1_3gpuE7ELNS1_3repE0EEENS1_30default_config_static_selectorELNS0_4arch9wavefront6targetE0EEEvSP_
                                        ; -- End function
	.set _ZN7rocprim17ROCPRIM_400000_NS6detail17trampoline_kernelINS0_14default_configENS1_22reduce_config_selectorIlEEZNS1_11reduce_implILb1ES3_N6thrust23THRUST_200600_302600_NS11hip_rocprim26transform_input_iterator_tIlNS8_6detail15normal_iteratorINS8_10device_ptrIiEEEE6is_oddIiEEEPllNS8_4plusIlEEEE10hipError_tPvRmT1_T2_T3_mT4_P12ihipStream_tbEUlT_E1_NS1_11comp_targetILNS1_3genE3ELNS1_11target_archE908ELNS1_3gpuE7ELNS1_3repE0EEENS1_30default_config_static_selectorELNS0_4arch9wavefront6targetE0EEEvSP_.num_vgpr, 0
	.set _ZN7rocprim17ROCPRIM_400000_NS6detail17trampoline_kernelINS0_14default_configENS1_22reduce_config_selectorIlEEZNS1_11reduce_implILb1ES3_N6thrust23THRUST_200600_302600_NS11hip_rocprim26transform_input_iterator_tIlNS8_6detail15normal_iteratorINS8_10device_ptrIiEEEE6is_oddIiEEEPllNS8_4plusIlEEEE10hipError_tPvRmT1_T2_T3_mT4_P12ihipStream_tbEUlT_E1_NS1_11comp_targetILNS1_3genE3ELNS1_11target_archE908ELNS1_3gpuE7ELNS1_3repE0EEENS1_30default_config_static_selectorELNS0_4arch9wavefront6targetE0EEEvSP_.num_agpr, 0
	.set _ZN7rocprim17ROCPRIM_400000_NS6detail17trampoline_kernelINS0_14default_configENS1_22reduce_config_selectorIlEEZNS1_11reduce_implILb1ES3_N6thrust23THRUST_200600_302600_NS11hip_rocprim26transform_input_iterator_tIlNS8_6detail15normal_iteratorINS8_10device_ptrIiEEEE6is_oddIiEEEPllNS8_4plusIlEEEE10hipError_tPvRmT1_T2_T3_mT4_P12ihipStream_tbEUlT_E1_NS1_11comp_targetILNS1_3genE3ELNS1_11target_archE908ELNS1_3gpuE7ELNS1_3repE0EEENS1_30default_config_static_selectorELNS0_4arch9wavefront6targetE0EEEvSP_.numbered_sgpr, 0
	.set _ZN7rocprim17ROCPRIM_400000_NS6detail17trampoline_kernelINS0_14default_configENS1_22reduce_config_selectorIlEEZNS1_11reduce_implILb1ES3_N6thrust23THRUST_200600_302600_NS11hip_rocprim26transform_input_iterator_tIlNS8_6detail15normal_iteratorINS8_10device_ptrIiEEEE6is_oddIiEEEPllNS8_4plusIlEEEE10hipError_tPvRmT1_T2_T3_mT4_P12ihipStream_tbEUlT_E1_NS1_11comp_targetILNS1_3genE3ELNS1_11target_archE908ELNS1_3gpuE7ELNS1_3repE0EEENS1_30default_config_static_selectorELNS0_4arch9wavefront6targetE0EEEvSP_.num_named_barrier, 0
	.set _ZN7rocprim17ROCPRIM_400000_NS6detail17trampoline_kernelINS0_14default_configENS1_22reduce_config_selectorIlEEZNS1_11reduce_implILb1ES3_N6thrust23THRUST_200600_302600_NS11hip_rocprim26transform_input_iterator_tIlNS8_6detail15normal_iteratorINS8_10device_ptrIiEEEE6is_oddIiEEEPllNS8_4plusIlEEEE10hipError_tPvRmT1_T2_T3_mT4_P12ihipStream_tbEUlT_E1_NS1_11comp_targetILNS1_3genE3ELNS1_11target_archE908ELNS1_3gpuE7ELNS1_3repE0EEENS1_30default_config_static_selectorELNS0_4arch9wavefront6targetE0EEEvSP_.private_seg_size, 0
	.set _ZN7rocprim17ROCPRIM_400000_NS6detail17trampoline_kernelINS0_14default_configENS1_22reduce_config_selectorIlEEZNS1_11reduce_implILb1ES3_N6thrust23THRUST_200600_302600_NS11hip_rocprim26transform_input_iterator_tIlNS8_6detail15normal_iteratorINS8_10device_ptrIiEEEE6is_oddIiEEEPllNS8_4plusIlEEEE10hipError_tPvRmT1_T2_T3_mT4_P12ihipStream_tbEUlT_E1_NS1_11comp_targetILNS1_3genE3ELNS1_11target_archE908ELNS1_3gpuE7ELNS1_3repE0EEENS1_30default_config_static_selectorELNS0_4arch9wavefront6targetE0EEEvSP_.uses_vcc, 0
	.set _ZN7rocprim17ROCPRIM_400000_NS6detail17trampoline_kernelINS0_14default_configENS1_22reduce_config_selectorIlEEZNS1_11reduce_implILb1ES3_N6thrust23THRUST_200600_302600_NS11hip_rocprim26transform_input_iterator_tIlNS8_6detail15normal_iteratorINS8_10device_ptrIiEEEE6is_oddIiEEEPllNS8_4plusIlEEEE10hipError_tPvRmT1_T2_T3_mT4_P12ihipStream_tbEUlT_E1_NS1_11comp_targetILNS1_3genE3ELNS1_11target_archE908ELNS1_3gpuE7ELNS1_3repE0EEENS1_30default_config_static_selectorELNS0_4arch9wavefront6targetE0EEEvSP_.uses_flat_scratch, 0
	.set _ZN7rocprim17ROCPRIM_400000_NS6detail17trampoline_kernelINS0_14default_configENS1_22reduce_config_selectorIlEEZNS1_11reduce_implILb1ES3_N6thrust23THRUST_200600_302600_NS11hip_rocprim26transform_input_iterator_tIlNS8_6detail15normal_iteratorINS8_10device_ptrIiEEEE6is_oddIiEEEPllNS8_4plusIlEEEE10hipError_tPvRmT1_T2_T3_mT4_P12ihipStream_tbEUlT_E1_NS1_11comp_targetILNS1_3genE3ELNS1_11target_archE908ELNS1_3gpuE7ELNS1_3repE0EEENS1_30default_config_static_selectorELNS0_4arch9wavefront6targetE0EEEvSP_.has_dyn_sized_stack, 0
	.set _ZN7rocprim17ROCPRIM_400000_NS6detail17trampoline_kernelINS0_14default_configENS1_22reduce_config_selectorIlEEZNS1_11reduce_implILb1ES3_N6thrust23THRUST_200600_302600_NS11hip_rocprim26transform_input_iterator_tIlNS8_6detail15normal_iteratorINS8_10device_ptrIiEEEE6is_oddIiEEEPllNS8_4plusIlEEEE10hipError_tPvRmT1_T2_T3_mT4_P12ihipStream_tbEUlT_E1_NS1_11comp_targetILNS1_3genE3ELNS1_11target_archE908ELNS1_3gpuE7ELNS1_3repE0EEENS1_30default_config_static_selectorELNS0_4arch9wavefront6targetE0EEEvSP_.has_recursion, 0
	.set _ZN7rocprim17ROCPRIM_400000_NS6detail17trampoline_kernelINS0_14default_configENS1_22reduce_config_selectorIlEEZNS1_11reduce_implILb1ES3_N6thrust23THRUST_200600_302600_NS11hip_rocprim26transform_input_iterator_tIlNS8_6detail15normal_iteratorINS8_10device_ptrIiEEEE6is_oddIiEEEPllNS8_4plusIlEEEE10hipError_tPvRmT1_T2_T3_mT4_P12ihipStream_tbEUlT_E1_NS1_11comp_targetILNS1_3genE3ELNS1_11target_archE908ELNS1_3gpuE7ELNS1_3repE0EEENS1_30default_config_static_selectorELNS0_4arch9wavefront6targetE0EEEvSP_.has_indirect_call, 0
	.section	.AMDGPU.csdata,"",@progbits
; Kernel info:
; codeLenInByte = 0
; TotalNumSgprs: 0
; NumVgprs: 0
; ScratchSize: 0
; MemoryBound: 0
; FloatMode: 240
; IeeeMode: 1
; LDSByteSize: 0 bytes/workgroup (compile time only)
; SGPRBlocks: 0
; VGPRBlocks: 0
; NumSGPRsForWavesPerEU: 1
; NumVGPRsForWavesPerEU: 1
; Occupancy: 16
; WaveLimiterHint : 0
; COMPUTE_PGM_RSRC2:SCRATCH_EN: 0
; COMPUTE_PGM_RSRC2:USER_SGPR: 2
; COMPUTE_PGM_RSRC2:TRAP_HANDLER: 0
; COMPUTE_PGM_RSRC2:TGID_X_EN: 1
; COMPUTE_PGM_RSRC2:TGID_Y_EN: 0
; COMPUTE_PGM_RSRC2:TGID_Z_EN: 0
; COMPUTE_PGM_RSRC2:TIDIG_COMP_CNT: 0
	.section	.text._ZN7rocprim17ROCPRIM_400000_NS6detail17trampoline_kernelINS0_14default_configENS1_22reduce_config_selectorIlEEZNS1_11reduce_implILb1ES3_N6thrust23THRUST_200600_302600_NS11hip_rocprim26transform_input_iterator_tIlNS8_6detail15normal_iteratorINS8_10device_ptrIiEEEE6is_oddIiEEEPllNS8_4plusIlEEEE10hipError_tPvRmT1_T2_T3_mT4_P12ihipStream_tbEUlT_E1_NS1_11comp_targetILNS1_3genE2ELNS1_11target_archE906ELNS1_3gpuE6ELNS1_3repE0EEENS1_30default_config_static_selectorELNS0_4arch9wavefront6targetE0EEEvSP_,"axG",@progbits,_ZN7rocprim17ROCPRIM_400000_NS6detail17trampoline_kernelINS0_14default_configENS1_22reduce_config_selectorIlEEZNS1_11reduce_implILb1ES3_N6thrust23THRUST_200600_302600_NS11hip_rocprim26transform_input_iterator_tIlNS8_6detail15normal_iteratorINS8_10device_ptrIiEEEE6is_oddIiEEEPllNS8_4plusIlEEEE10hipError_tPvRmT1_T2_T3_mT4_P12ihipStream_tbEUlT_E1_NS1_11comp_targetILNS1_3genE2ELNS1_11target_archE906ELNS1_3gpuE6ELNS1_3repE0EEENS1_30default_config_static_selectorELNS0_4arch9wavefront6targetE0EEEvSP_,comdat
	.protected	_ZN7rocprim17ROCPRIM_400000_NS6detail17trampoline_kernelINS0_14default_configENS1_22reduce_config_selectorIlEEZNS1_11reduce_implILb1ES3_N6thrust23THRUST_200600_302600_NS11hip_rocprim26transform_input_iterator_tIlNS8_6detail15normal_iteratorINS8_10device_ptrIiEEEE6is_oddIiEEEPllNS8_4plusIlEEEE10hipError_tPvRmT1_T2_T3_mT4_P12ihipStream_tbEUlT_E1_NS1_11comp_targetILNS1_3genE2ELNS1_11target_archE906ELNS1_3gpuE6ELNS1_3repE0EEENS1_30default_config_static_selectorELNS0_4arch9wavefront6targetE0EEEvSP_ ; -- Begin function _ZN7rocprim17ROCPRIM_400000_NS6detail17trampoline_kernelINS0_14default_configENS1_22reduce_config_selectorIlEEZNS1_11reduce_implILb1ES3_N6thrust23THRUST_200600_302600_NS11hip_rocprim26transform_input_iterator_tIlNS8_6detail15normal_iteratorINS8_10device_ptrIiEEEE6is_oddIiEEEPllNS8_4plusIlEEEE10hipError_tPvRmT1_T2_T3_mT4_P12ihipStream_tbEUlT_E1_NS1_11comp_targetILNS1_3genE2ELNS1_11target_archE906ELNS1_3gpuE6ELNS1_3repE0EEENS1_30default_config_static_selectorELNS0_4arch9wavefront6targetE0EEEvSP_
	.globl	_ZN7rocprim17ROCPRIM_400000_NS6detail17trampoline_kernelINS0_14default_configENS1_22reduce_config_selectorIlEEZNS1_11reduce_implILb1ES3_N6thrust23THRUST_200600_302600_NS11hip_rocprim26transform_input_iterator_tIlNS8_6detail15normal_iteratorINS8_10device_ptrIiEEEE6is_oddIiEEEPllNS8_4plusIlEEEE10hipError_tPvRmT1_T2_T3_mT4_P12ihipStream_tbEUlT_E1_NS1_11comp_targetILNS1_3genE2ELNS1_11target_archE906ELNS1_3gpuE6ELNS1_3repE0EEENS1_30default_config_static_selectorELNS0_4arch9wavefront6targetE0EEEvSP_
	.p2align	8
	.type	_ZN7rocprim17ROCPRIM_400000_NS6detail17trampoline_kernelINS0_14default_configENS1_22reduce_config_selectorIlEEZNS1_11reduce_implILb1ES3_N6thrust23THRUST_200600_302600_NS11hip_rocprim26transform_input_iterator_tIlNS8_6detail15normal_iteratorINS8_10device_ptrIiEEEE6is_oddIiEEEPllNS8_4plusIlEEEE10hipError_tPvRmT1_T2_T3_mT4_P12ihipStream_tbEUlT_E1_NS1_11comp_targetILNS1_3genE2ELNS1_11target_archE906ELNS1_3gpuE6ELNS1_3repE0EEENS1_30default_config_static_selectorELNS0_4arch9wavefront6targetE0EEEvSP_,@function
_ZN7rocprim17ROCPRIM_400000_NS6detail17trampoline_kernelINS0_14default_configENS1_22reduce_config_selectorIlEEZNS1_11reduce_implILb1ES3_N6thrust23THRUST_200600_302600_NS11hip_rocprim26transform_input_iterator_tIlNS8_6detail15normal_iteratorINS8_10device_ptrIiEEEE6is_oddIiEEEPllNS8_4plusIlEEEE10hipError_tPvRmT1_T2_T3_mT4_P12ihipStream_tbEUlT_E1_NS1_11comp_targetILNS1_3genE2ELNS1_11target_archE906ELNS1_3gpuE6ELNS1_3repE0EEENS1_30default_config_static_selectorELNS0_4arch9wavefront6targetE0EEEvSP_: ; @_ZN7rocprim17ROCPRIM_400000_NS6detail17trampoline_kernelINS0_14default_configENS1_22reduce_config_selectorIlEEZNS1_11reduce_implILb1ES3_N6thrust23THRUST_200600_302600_NS11hip_rocprim26transform_input_iterator_tIlNS8_6detail15normal_iteratorINS8_10device_ptrIiEEEE6is_oddIiEEEPllNS8_4plusIlEEEE10hipError_tPvRmT1_T2_T3_mT4_P12ihipStream_tbEUlT_E1_NS1_11comp_targetILNS1_3genE2ELNS1_11target_archE906ELNS1_3gpuE6ELNS1_3repE0EEENS1_30default_config_static_selectorELNS0_4arch9wavefront6targetE0EEEvSP_
; %bb.0:
	.section	.rodata,"a",@progbits
	.p2align	6, 0x0
	.amdhsa_kernel _ZN7rocprim17ROCPRIM_400000_NS6detail17trampoline_kernelINS0_14default_configENS1_22reduce_config_selectorIlEEZNS1_11reduce_implILb1ES3_N6thrust23THRUST_200600_302600_NS11hip_rocprim26transform_input_iterator_tIlNS8_6detail15normal_iteratorINS8_10device_ptrIiEEEE6is_oddIiEEEPllNS8_4plusIlEEEE10hipError_tPvRmT1_T2_T3_mT4_P12ihipStream_tbEUlT_E1_NS1_11comp_targetILNS1_3genE2ELNS1_11target_archE906ELNS1_3gpuE6ELNS1_3repE0EEENS1_30default_config_static_selectorELNS0_4arch9wavefront6targetE0EEEvSP_
		.amdhsa_group_segment_fixed_size 0
		.amdhsa_private_segment_fixed_size 0
		.amdhsa_kernarg_size 56
		.amdhsa_user_sgpr_count 2
		.amdhsa_user_sgpr_dispatch_ptr 0
		.amdhsa_user_sgpr_queue_ptr 0
		.amdhsa_user_sgpr_kernarg_segment_ptr 1
		.amdhsa_user_sgpr_dispatch_id 0
		.amdhsa_user_sgpr_private_segment_size 0
		.amdhsa_wavefront_size32 1
		.amdhsa_uses_dynamic_stack 0
		.amdhsa_enable_private_segment 0
		.amdhsa_system_sgpr_workgroup_id_x 1
		.amdhsa_system_sgpr_workgroup_id_y 0
		.amdhsa_system_sgpr_workgroup_id_z 0
		.amdhsa_system_sgpr_workgroup_info 0
		.amdhsa_system_vgpr_workitem_id 0
		.amdhsa_next_free_vgpr 1
		.amdhsa_next_free_sgpr 1
		.amdhsa_reserve_vcc 0
		.amdhsa_float_round_mode_32 0
		.amdhsa_float_round_mode_16_64 0
		.amdhsa_float_denorm_mode_32 3
		.amdhsa_float_denorm_mode_16_64 3
		.amdhsa_fp16_overflow 0
		.amdhsa_workgroup_processor_mode 1
		.amdhsa_memory_ordered 1
		.amdhsa_forward_progress 1
		.amdhsa_inst_pref_size 0
		.amdhsa_round_robin_scheduling 0
		.amdhsa_exception_fp_ieee_invalid_op 0
		.amdhsa_exception_fp_denorm_src 0
		.amdhsa_exception_fp_ieee_div_zero 0
		.amdhsa_exception_fp_ieee_overflow 0
		.amdhsa_exception_fp_ieee_underflow 0
		.amdhsa_exception_fp_ieee_inexact 0
		.amdhsa_exception_int_div_zero 0
	.end_amdhsa_kernel
	.section	.text._ZN7rocprim17ROCPRIM_400000_NS6detail17trampoline_kernelINS0_14default_configENS1_22reduce_config_selectorIlEEZNS1_11reduce_implILb1ES3_N6thrust23THRUST_200600_302600_NS11hip_rocprim26transform_input_iterator_tIlNS8_6detail15normal_iteratorINS8_10device_ptrIiEEEE6is_oddIiEEEPllNS8_4plusIlEEEE10hipError_tPvRmT1_T2_T3_mT4_P12ihipStream_tbEUlT_E1_NS1_11comp_targetILNS1_3genE2ELNS1_11target_archE906ELNS1_3gpuE6ELNS1_3repE0EEENS1_30default_config_static_selectorELNS0_4arch9wavefront6targetE0EEEvSP_,"axG",@progbits,_ZN7rocprim17ROCPRIM_400000_NS6detail17trampoline_kernelINS0_14default_configENS1_22reduce_config_selectorIlEEZNS1_11reduce_implILb1ES3_N6thrust23THRUST_200600_302600_NS11hip_rocprim26transform_input_iterator_tIlNS8_6detail15normal_iteratorINS8_10device_ptrIiEEEE6is_oddIiEEEPllNS8_4plusIlEEEE10hipError_tPvRmT1_T2_T3_mT4_P12ihipStream_tbEUlT_E1_NS1_11comp_targetILNS1_3genE2ELNS1_11target_archE906ELNS1_3gpuE6ELNS1_3repE0EEENS1_30default_config_static_selectorELNS0_4arch9wavefront6targetE0EEEvSP_,comdat
.Lfunc_end78:
	.size	_ZN7rocprim17ROCPRIM_400000_NS6detail17trampoline_kernelINS0_14default_configENS1_22reduce_config_selectorIlEEZNS1_11reduce_implILb1ES3_N6thrust23THRUST_200600_302600_NS11hip_rocprim26transform_input_iterator_tIlNS8_6detail15normal_iteratorINS8_10device_ptrIiEEEE6is_oddIiEEEPllNS8_4plusIlEEEE10hipError_tPvRmT1_T2_T3_mT4_P12ihipStream_tbEUlT_E1_NS1_11comp_targetILNS1_3genE2ELNS1_11target_archE906ELNS1_3gpuE6ELNS1_3repE0EEENS1_30default_config_static_selectorELNS0_4arch9wavefront6targetE0EEEvSP_, .Lfunc_end78-_ZN7rocprim17ROCPRIM_400000_NS6detail17trampoline_kernelINS0_14default_configENS1_22reduce_config_selectorIlEEZNS1_11reduce_implILb1ES3_N6thrust23THRUST_200600_302600_NS11hip_rocprim26transform_input_iterator_tIlNS8_6detail15normal_iteratorINS8_10device_ptrIiEEEE6is_oddIiEEEPllNS8_4plusIlEEEE10hipError_tPvRmT1_T2_T3_mT4_P12ihipStream_tbEUlT_E1_NS1_11comp_targetILNS1_3genE2ELNS1_11target_archE906ELNS1_3gpuE6ELNS1_3repE0EEENS1_30default_config_static_selectorELNS0_4arch9wavefront6targetE0EEEvSP_
                                        ; -- End function
	.set _ZN7rocprim17ROCPRIM_400000_NS6detail17trampoline_kernelINS0_14default_configENS1_22reduce_config_selectorIlEEZNS1_11reduce_implILb1ES3_N6thrust23THRUST_200600_302600_NS11hip_rocprim26transform_input_iterator_tIlNS8_6detail15normal_iteratorINS8_10device_ptrIiEEEE6is_oddIiEEEPllNS8_4plusIlEEEE10hipError_tPvRmT1_T2_T3_mT4_P12ihipStream_tbEUlT_E1_NS1_11comp_targetILNS1_3genE2ELNS1_11target_archE906ELNS1_3gpuE6ELNS1_3repE0EEENS1_30default_config_static_selectorELNS0_4arch9wavefront6targetE0EEEvSP_.num_vgpr, 0
	.set _ZN7rocprim17ROCPRIM_400000_NS6detail17trampoline_kernelINS0_14default_configENS1_22reduce_config_selectorIlEEZNS1_11reduce_implILb1ES3_N6thrust23THRUST_200600_302600_NS11hip_rocprim26transform_input_iterator_tIlNS8_6detail15normal_iteratorINS8_10device_ptrIiEEEE6is_oddIiEEEPllNS8_4plusIlEEEE10hipError_tPvRmT1_T2_T3_mT4_P12ihipStream_tbEUlT_E1_NS1_11comp_targetILNS1_3genE2ELNS1_11target_archE906ELNS1_3gpuE6ELNS1_3repE0EEENS1_30default_config_static_selectorELNS0_4arch9wavefront6targetE0EEEvSP_.num_agpr, 0
	.set _ZN7rocprim17ROCPRIM_400000_NS6detail17trampoline_kernelINS0_14default_configENS1_22reduce_config_selectorIlEEZNS1_11reduce_implILb1ES3_N6thrust23THRUST_200600_302600_NS11hip_rocprim26transform_input_iterator_tIlNS8_6detail15normal_iteratorINS8_10device_ptrIiEEEE6is_oddIiEEEPllNS8_4plusIlEEEE10hipError_tPvRmT1_T2_T3_mT4_P12ihipStream_tbEUlT_E1_NS1_11comp_targetILNS1_3genE2ELNS1_11target_archE906ELNS1_3gpuE6ELNS1_3repE0EEENS1_30default_config_static_selectorELNS0_4arch9wavefront6targetE0EEEvSP_.numbered_sgpr, 0
	.set _ZN7rocprim17ROCPRIM_400000_NS6detail17trampoline_kernelINS0_14default_configENS1_22reduce_config_selectorIlEEZNS1_11reduce_implILb1ES3_N6thrust23THRUST_200600_302600_NS11hip_rocprim26transform_input_iterator_tIlNS8_6detail15normal_iteratorINS8_10device_ptrIiEEEE6is_oddIiEEEPllNS8_4plusIlEEEE10hipError_tPvRmT1_T2_T3_mT4_P12ihipStream_tbEUlT_E1_NS1_11comp_targetILNS1_3genE2ELNS1_11target_archE906ELNS1_3gpuE6ELNS1_3repE0EEENS1_30default_config_static_selectorELNS0_4arch9wavefront6targetE0EEEvSP_.num_named_barrier, 0
	.set _ZN7rocprim17ROCPRIM_400000_NS6detail17trampoline_kernelINS0_14default_configENS1_22reduce_config_selectorIlEEZNS1_11reduce_implILb1ES3_N6thrust23THRUST_200600_302600_NS11hip_rocprim26transform_input_iterator_tIlNS8_6detail15normal_iteratorINS8_10device_ptrIiEEEE6is_oddIiEEEPllNS8_4plusIlEEEE10hipError_tPvRmT1_T2_T3_mT4_P12ihipStream_tbEUlT_E1_NS1_11comp_targetILNS1_3genE2ELNS1_11target_archE906ELNS1_3gpuE6ELNS1_3repE0EEENS1_30default_config_static_selectorELNS0_4arch9wavefront6targetE0EEEvSP_.private_seg_size, 0
	.set _ZN7rocprim17ROCPRIM_400000_NS6detail17trampoline_kernelINS0_14default_configENS1_22reduce_config_selectorIlEEZNS1_11reduce_implILb1ES3_N6thrust23THRUST_200600_302600_NS11hip_rocprim26transform_input_iterator_tIlNS8_6detail15normal_iteratorINS8_10device_ptrIiEEEE6is_oddIiEEEPllNS8_4plusIlEEEE10hipError_tPvRmT1_T2_T3_mT4_P12ihipStream_tbEUlT_E1_NS1_11comp_targetILNS1_3genE2ELNS1_11target_archE906ELNS1_3gpuE6ELNS1_3repE0EEENS1_30default_config_static_selectorELNS0_4arch9wavefront6targetE0EEEvSP_.uses_vcc, 0
	.set _ZN7rocprim17ROCPRIM_400000_NS6detail17trampoline_kernelINS0_14default_configENS1_22reduce_config_selectorIlEEZNS1_11reduce_implILb1ES3_N6thrust23THRUST_200600_302600_NS11hip_rocprim26transform_input_iterator_tIlNS8_6detail15normal_iteratorINS8_10device_ptrIiEEEE6is_oddIiEEEPllNS8_4plusIlEEEE10hipError_tPvRmT1_T2_T3_mT4_P12ihipStream_tbEUlT_E1_NS1_11comp_targetILNS1_3genE2ELNS1_11target_archE906ELNS1_3gpuE6ELNS1_3repE0EEENS1_30default_config_static_selectorELNS0_4arch9wavefront6targetE0EEEvSP_.uses_flat_scratch, 0
	.set _ZN7rocprim17ROCPRIM_400000_NS6detail17trampoline_kernelINS0_14default_configENS1_22reduce_config_selectorIlEEZNS1_11reduce_implILb1ES3_N6thrust23THRUST_200600_302600_NS11hip_rocprim26transform_input_iterator_tIlNS8_6detail15normal_iteratorINS8_10device_ptrIiEEEE6is_oddIiEEEPllNS8_4plusIlEEEE10hipError_tPvRmT1_T2_T3_mT4_P12ihipStream_tbEUlT_E1_NS1_11comp_targetILNS1_3genE2ELNS1_11target_archE906ELNS1_3gpuE6ELNS1_3repE0EEENS1_30default_config_static_selectorELNS0_4arch9wavefront6targetE0EEEvSP_.has_dyn_sized_stack, 0
	.set _ZN7rocprim17ROCPRIM_400000_NS6detail17trampoline_kernelINS0_14default_configENS1_22reduce_config_selectorIlEEZNS1_11reduce_implILb1ES3_N6thrust23THRUST_200600_302600_NS11hip_rocprim26transform_input_iterator_tIlNS8_6detail15normal_iteratorINS8_10device_ptrIiEEEE6is_oddIiEEEPllNS8_4plusIlEEEE10hipError_tPvRmT1_T2_T3_mT4_P12ihipStream_tbEUlT_E1_NS1_11comp_targetILNS1_3genE2ELNS1_11target_archE906ELNS1_3gpuE6ELNS1_3repE0EEENS1_30default_config_static_selectorELNS0_4arch9wavefront6targetE0EEEvSP_.has_recursion, 0
	.set _ZN7rocprim17ROCPRIM_400000_NS6detail17trampoline_kernelINS0_14default_configENS1_22reduce_config_selectorIlEEZNS1_11reduce_implILb1ES3_N6thrust23THRUST_200600_302600_NS11hip_rocprim26transform_input_iterator_tIlNS8_6detail15normal_iteratorINS8_10device_ptrIiEEEE6is_oddIiEEEPllNS8_4plusIlEEEE10hipError_tPvRmT1_T2_T3_mT4_P12ihipStream_tbEUlT_E1_NS1_11comp_targetILNS1_3genE2ELNS1_11target_archE906ELNS1_3gpuE6ELNS1_3repE0EEENS1_30default_config_static_selectorELNS0_4arch9wavefront6targetE0EEEvSP_.has_indirect_call, 0
	.section	.AMDGPU.csdata,"",@progbits
; Kernel info:
; codeLenInByte = 0
; TotalNumSgprs: 0
; NumVgprs: 0
; ScratchSize: 0
; MemoryBound: 0
; FloatMode: 240
; IeeeMode: 1
; LDSByteSize: 0 bytes/workgroup (compile time only)
; SGPRBlocks: 0
; VGPRBlocks: 0
; NumSGPRsForWavesPerEU: 1
; NumVGPRsForWavesPerEU: 1
; Occupancy: 16
; WaveLimiterHint : 0
; COMPUTE_PGM_RSRC2:SCRATCH_EN: 0
; COMPUTE_PGM_RSRC2:USER_SGPR: 2
; COMPUTE_PGM_RSRC2:TRAP_HANDLER: 0
; COMPUTE_PGM_RSRC2:TGID_X_EN: 1
; COMPUTE_PGM_RSRC2:TGID_Y_EN: 0
; COMPUTE_PGM_RSRC2:TGID_Z_EN: 0
; COMPUTE_PGM_RSRC2:TIDIG_COMP_CNT: 0
	.section	.text._ZN7rocprim17ROCPRIM_400000_NS6detail17trampoline_kernelINS0_14default_configENS1_22reduce_config_selectorIlEEZNS1_11reduce_implILb1ES3_N6thrust23THRUST_200600_302600_NS11hip_rocprim26transform_input_iterator_tIlNS8_6detail15normal_iteratorINS8_10device_ptrIiEEEE6is_oddIiEEEPllNS8_4plusIlEEEE10hipError_tPvRmT1_T2_T3_mT4_P12ihipStream_tbEUlT_E1_NS1_11comp_targetILNS1_3genE10ELNS1_11target_archE1201ELNS1_3gpuE5ELNS1_3repE0EEENS1_30default_config_static_selectorELNS0_4arch9wavefront6targetE0EEEvSP_,"axG",@progbits,_ZN7rocprim17ROCPRIM_400000_NS6detail17trampoline_kernelINS0_14default_configENS1_22reduce_config_selectorIlEEZNS1_11reduce_implILb1ES3_N6thrust23THRUST_200600_302600_NS11hip_rocprim26transform_input_iterator_tIlNS8_6detail15normal_iteratorINS8_10device_ptrIiEEEE6is_oddIiEEEPllNS8_4plusIlEEEE10hipError_tPvRmT1_T2_T3_mT4_P12ihipStream_tbEUlT_E1_NS1_11comp_targetILNS1_3genE10ELNS1_11target_archE1201ELNS1_3gpuE5ELNS1_3repE0EEENS1_30default_config_static_selectorELNS0_4arch9wavefront6targetE0EEEvSP_,comdat
	.protected	_ZN7rocprim17ROCPRIM_400000_NS6detail17trampoline_kernelINS0_14default_configENS1_22reduce_config_selectorIlEEZNS1_11reduce_implILb1ES3_N6thrust23THRUST_200600_302600_NS11hip_rocprim26transform_input_iterator_tIlNS8_6detail15normal_iteratorINS8_10device_ptrIiEEEE6is_oddIiEEEPllNS8_4plusIlEEEE10hipError_tPvRmT1_T2_T3_mT4_P12ihipStream_tbEUlT_E1_NS1_11comp_targetILNS1_3genE10ELNS1_11target_archE1201ELNS1_3gpuE5ELNS1_3repE0EEENS1_30default_config_static_selectorELNS0_4arch9wavefront6targetE0EEEvSP_ ; -- Begin function _ZN7rocprim17ROCPRIM_400000_NS6detail17trampoline_kernelINS0_14default_configENS1_22reduce_config_selectorIlEEZNS1_11reduce_implILb1ES3_N6thrust23THRUST_200600_302600_NS11hip_rocprim26transform_input_iterator_tIlNS8_6detail15normal_iteratorINS8_10device_ptrIiEEEE6is_oddIiEEEPllNS8_4plusIlEEEE10hipError_tPvRmT1_T2_T3_mT4_P12ihipStream_tbEUlT_E1_NS1_11comp_targetILNS1_3genE10ELNS1_11target_archE1201ELNS1_3gpuE5ELNS1_3repE0EEENS1_30default_config_static_selectorELNS0_4arch9wavefront6targetE0EEEvSP_
	.globl	_ZN7rocprim17ROCPRIM_400000_NS6detail17trampoline_kernelINS0_14default_configENS1_22reduce_config_selectorIlEEZNS1_11reduce_implILb1ES3_N6thrust23THRUST_200600_302600_NS11hip_rocprim26transform_input_iterator_tIlNS8_6detail15normal_iteratorINS8_10device_ptrIiEEEE6is_oddIiEEEPllNS8_4plusIlEEEE10hipError_tPvRmT1_T2_T3_mT4_P12ihipStream_tbEUlT_E1_NS1_11comp_targetILNS1_3genE10ELNS1_11target_archE1201ELNS1_3gpuE5ELNS1_3repE0EEENS1_30default_config_static_selectorELNS0_4arch9wavefront6targetE0EEEvSP_
	.p2align	8
	.type	_ZN7rocprim17ROCPRIM_400000_NS6detail17trampoline_kernelINS0_14default_configENS1_22reduce_config_selectorIlEEZNS1_11reduce_implILb1ES3_N6thrust23THRUST_200600_302600_NS11hip_rocprim26transform_input_iterator_tIlNS8_6detail15normal_iteratorINS8_10device_ptrIiEEEE6is_oddIiEEEPllNS8_4plusIlEEEE10hipError_tPvRmT1_T2_T3_mT4_P12ihipStream_tbEUlT_E1_NS1_11comp_targetILNS1_3genE10ELNS1_11target_archE1201ELNS1_3gpuE5ELNS1_3repE0EEENS1_30default_config_static_selectorELNS0_4arch9wavefront6targetE0EEEvSP_,@function
_ZN7rocprim17ROCPRIM_400000_NS6detail17trampoline_kernelINS0_14default_configENS1_22reduce_config_selectorIlEEZNS1_11reduce_implILb1ES3_N6thrust23THRUST_200600_302600_NS11hip_rocprim26transform_input_iterator_tIlNS8_6detail15normal_iteratorINS8_10device_ptrIiEEEE6is_oddIiEEEPllNS8_4plusIlEEEE10hipError_tPvRmT1_T2_T3_mT4_P12ihipStream_tbEUlT_E1_NS1_11comp_targetILNS1_3genE10ELNS1_11target_archE1201ELNS1_3gpuE5ELNS1_3repE0EEENS1_30default_config_static_selectorELNS0_4arch9wavefront6targetE0EEEvSP_: ; @_ZN7rocprim17ROCPRIM_400000_NS6detail17trampoline_kernelINS0_14default_configENS1_22reduce_config_selectorIlEEZNS1_11reduce_implILb1ES3_N6thrust23THRUST_200600_302600_NS11hip_rocprim26transform_input_iterator_tIlNS8_6detail15normal_iteratorINS8_10device_ptrIiEEEE6is_oddIiEEEPllNS8_4plusIlEEEE10hipError_tPvRmT1_T2_T3_mT4_P12ihipStream_tbEUlT_E1_NS1_11comp_targetILNS1_3genE10ELNS1_11target_archE1201ELNS1_3gpuE5ELNS1_3repE0EEENS1_30default_config_static_selectorELNS0_4arch9wavefront6targetE0EEEvSP_
; %bb.0:
	s_clause 0x2
	s_load_b32 s26, s[0:1], 0x4
	s_load_b64 s[22:23], s[0:1], 0x8
	s_load_b128 s[16:19], s[0:1], 0x18
	s_mov_b32 s20, ttmp9
	s_wait_kmcnt 0x0
	s_cmp_lt_i32 s26, 4
	s_cbranch_scc1 .LBB79_10
; %bb.1:
	s_cmp_gt_i32 s26, 7
	s_cbranch_scc0 .LBB79_11
; %bb.2:
	s_cmp_gt_i32 s26, 15
	s_cbranch_scc0 .LBB79_12
; %bb.3:
	s_mov_b32 s27, 0
	s_cmp_eq_u32 s26, 16
	s_mov_b32 s2, 0
                                        ; implicit-def: $vgpr1_vgpr2
                                        ; implicit-def: $vgpr3_vgpr4
	s_cbranch_scc0 .LBB79_13
; %bb.4:
	s_mov_b32 s21, 0
	s_lshl_b32 s2, s20, 12
	s_mov_b32 s3, s21
	s_lshr_b64 s[4:5], s[16:17], 12
	s_lshl_b64 s[6:7], s[2:3], 2
	s_cmp_lg_u64 s[4:5], s[20:21]
	s_add_nc_u64 s[24:25], s[22:23], s[6:7]
	s_cbranch_scc0 .LBB79_21
; %bb.5:
	v_lshlrev_b32_e32 v1, 2, v0
	s_clause 0xf
	global_load_b32 v2, v1, s[24:25]
	global_load_b32 v3, v1, s[24:25] offset:1024
	global_load_b32 v4, v1, s[24:25] offset:2048
	;; [unrolled: 1-line block ×15, first 2 shown]
	s_wait_loadcnt 0xf
	v_and_b32_e32 v2, 1, v2
	s_wait_loadcnt 0xe
	v_and_b32_e32 v3, 1, v3
	;; [unrolled: 2-line block ×4, first 2 shown]
	v_add_nc_u32_e32 v2, v3, v2
	s_wait_loadcnt 0xb
	v_and_b32_e32 v3, 1, v6
	s_wait_loadcnt 0xa
	v_and_b32_e32 v6, 1, v7
	v_add3_u32 v2, v2, v4, v5
	s_wait_loadcnt 0x9
	v_and_b32_e32 v4, 1, v8
	s_wait_loadcnt 0x8
	v_and_b32_e32 v5, 1, v9
	;; [unrolled: 2-line block ×3, first 2 shown]
	v_add3_u32 v2, v2, v3, v6
	v_and_b32_e32 v3, 1, v10
	s_delay_alu instid0(VALU_DEP_2) | instskip(SKIP_1) | instid1(VALU_DEP_2)
	v_add3_u32 v2, v2, v4, v5
	v_and_b32_e32 v4, 1, v11
	v_add_co_u32 v2, s3, v2, v3
	v_and_b32_e32 v3, 1, v12
	v_add_co_ci_u32_e64 v5, null, 0, 0, s3
	s_delay_alu instid0(VALU_DEP_3) | instskip(SKIP_1) | instid1(VALU_DEP_3)
	v_add_co_u32 v2, vcc_lo, v2, v4
	v_and_b32_e32 v4, 1, v13
	v_add_co_ci_u32_e64 v5, null, 0, v5, vcc_lo
	s_delay_alu instid0(VALU_DEP_3) | instskip(SKIP_2) | instid1(VALU_DEP_3)
	v_add_co_u32 v2, vcc_lo, v2, v3
	v_and_b32_e32 v3, 1, v14
	s_wait_alu 0xfffd
	v_add_co_ci_u32_e64 v5, null, 0, v5, vcc_lo
	s_delay_alu instid0(VALU_DEP_3) | instskip(SKIP_2) | instid1(VALU_DEP_3)
	v_add_co_u32 v2, vcc_lo, v2, v4
	v_and_b32_e32 v4, 1, v15
	s_wait_alu 0xfffd
	;; [unrolled: 5-line block ×3, first 2 shown]
	v_add_co_ci_u32_e64 v5, null, 0, v5, vcc_lo
	s_delay_alu instid0(VALU_DEP_3)
	v_add_co_u32 v2, vcc_lo, v2, v4
	s_mov_b32 s3, exec_lo
	s_wait_alu 0xfffd
	v_add_co_ci_u32_e64 v4, null, 0, v5, vcc_lo
	v_add_co_u32 v2, vcc_lo, v2, v3
	s_wait_alu 0xfffd
	s_delay_alu instid0(VALU_DEP_2) | instskip(NEXT) | instid1(VALU_DEP_2)
	v_add_co_ci_u32_e64 v3, null, 0, v4, vcc_lo
	v_add_co_u32 v1, vcc_lo, v2, v1
	v_mov_b32_e32 v4, 0
	s_wait_alu 0xfffd
	s_delay_alu instid0(VALU_DEP_3) | instskip(NEXT) | instid1(VALU_DEP_3)
	v_add_co_ci_u32_e64 v2, null, 0, v3, vcc_lo
	v_mov_b32_dpp v3, v1 quad_perm:[1,0,3,2] row_mask:0xf bank_mask:0xf
	s_delay_alu instid0(VALU_DEP_1) | instskip(SKIP_3) | instid1(VALU_DEP_3)
	v_add_co_u32 v1, vcc_lo, v1, v3
	v_mov_b32_dpp v3, v4 quad_perm:[1,0,3,2] row_mask:0xf bank_mask:0xf
	s_wait_alu 0xfffd
	v_add_co_ci_u32_e64 v2, null, 0, v2, vcc_lo
	v_mov_b32_dpp v5, v1 quad_perm:[2,3,0,1] row_mask:0xf bank_mask:0xf
	v_add_co_u32 v1, vcc_lo, 0, v1
	s_wait_alu 0xfffd
	s_delay_alu instid0(VALU_DEP_3) | instskip(NEXT) | instid1(VALU_DEP_2)
	v_add_co_ci_u32_e64 v2, null, v3, v2, vcc_lo
	v_add_co_u32 v1, vcc_lo, v1, v5
	s_delay_alu instid0(VALU_DEP_2) | instskip(SKIP_2) | instid1(VALU_DEP_3)
	v_mov_b32_dpp v3, v2 quad_perm:[2,3,0,1] row_mask:0xf bank_mask:0xf
	s_wait_alu 0xfffd
	v_add_co_ci_u32_e64 v2, null, 0, v2, vcc_lo
	v_mov_b32_dpp v5, v1 row_ror:4 row_mask:0xf bank_mask:0xf
	v_add_co_u32 v1, vcc_lo, v1, 0
	s_wait_alu 0xfffd
	s_delay_alu instid0(VALU_DEP_3) | instskip(NEXT) | instid1(VALU_DEP_2)
	v_add_co_ci_u32_e64 v2, null, v2, v3, vcc_lo
	v_add_co_u32 v1, vcc_lo, v1, v5
	s_delay_alu instid0(VALU_DEP_2) | instskip(SKIP_2) | instid1(VALU_DEP_3)
	v_mov_b32_dpp v3, v2 row_ror:4 row_mask:0xf bank_mask:0xf
	s_wait_alu 0xfffd
	v_add_co_ci_u32_e64 v2, null, 0, v2, vcc_lo
	v_mov_b32_dpp v5, v1 row_ror:8 row_mask:0xf bank_mask:0xf
	v_add_co_u32 v1, vcc_lo, v1, 0
	s_wait_alu 0xfffd
	s_delay_alu instid0(VALU_DEP_3) | instskip(NEXT) | instid1(VALU_DEP_2)
	v_add_co_ci_u32_e64 v2, null, v2, v3, vcc_lo
	v_add_co_u32 v1, vcc_lo, v1, v5
	s_delay_alu instid0(VALU_DEP_2)
	v_mov_b32_dpp v3, v2 row_ror:8 row_mask:0xf bank_mask:0xf
	s_wait_alu 0xfffd
	v_add_co_ci_u32_e64 v2, null, 0, v2, vcc_lo
	ds_swizzle_b32 v5, v1 offset:swizzle(BROADCAST,32,15)
	v_add_co_u32 v1, vcc_lo, v1, 0
	s_wait_alu 0xfffd
	v_add_co_ci_u32_e64 v2, null, v2, v3, vcc_lo
	ds_swizzle_b32 v3, v2 offset:swizzle(BROADCAST,32,15)
	s_wait_dscnt 0x1
	v_add_co_u32 v1, vcc_lo, v1, v5
	s_wait_alu 0xfffd
	v_add_co_ci_u32_e64 v2, null, 0, v2, vcc_lo
	ds_bpermute_b32 v1, v4, v1 offset:124
	s_wait_dscnt 0x1
	v_add_nc_u32_e32 v2, v3, v2
	v_mbcnt_lo_u32_b32 v3, -1, 0
	ds_bpermute_b32 v2, v4, v2 offset:124
	v_cmpx_eq_u32_e32 0, v3
	s_cbranch_execz .LBB79_7
; %bb.6:
	v_lshrrev_b32_e32 v4, 2, v0
	s_delay_alu instid0(VALU_DEP_1)
	v_and_b32_e32 v4, 56, v4
	s_wait_dscnt 0x0
	ds_store_b64 v4, v[1:2]
.LBB79_7:
	s_wait_alu 0xfffe
	s_or_b32 exec_lo, exec_lo, s3
	s_delay_alu instid0(SALU_CYCLE_1)
	s_mov_b32 s3, exec_lo
	s_wait_dscnt 0x0
	s_barrier_signal -1
	s_barrier_wait -1
	global_inv scope:SCOPE_SE
	v_cmpx_gt_u32_e32 32, v0
	s_cbranch_execz .LBB79_9
; %bb.8:
	v_and_b32_e32 v4, 7, v3
	s_delay_alu instid0(VALU_DEP_1)
	v_lshlrev_b32_e32 v1, 3, v4
	v_cmp_ne_u32_e32 vcc_lo, 7, v4
	ds_load_b64 v[1:2], v1
	s_wait_alu 0xfffd
	v_add_co_ci_u32_e64 v5, null, 0, v3, vcc_lo
	v_cmp_gt_u32_e32 vcc_lo, 6, v4
	s_delay_alu instid0(VALU_DEP_2) | instskip(SKIP_2) | instid1(VALU_DEP_1)
	v_lshlrev_b32_e32 v5, 2, v5
	s_wait_alu 0xfffd
	v_cndmask_b32_e64 v4, 0, 2, vcc_lo
	v_add_lshl_u32 v4, v4, v3, 2
	v_lshlrev_b32_e32 v3, 2, v3
	s_delay_alu instid0(VALU_DEP_1)
	v_or_b32_e32 v3, 16, v3
	s_wait_dscnt 0x0
	ds_bpermute_b32 v6, v5, v1
	ds_bpermute_b32 v5, v5, v2
	s_wait_dscnt 0x1
	v_add_co_u32 v1, vcc_lo, v1, v6
	s_wait_alu 0xfffd
	v_add_co_ci_u32_e64 v2, null, 0, v2, vcc_lo
	ds_bpermute_b32 v6, v4, v1
	v_add_co_u32 v1, vcc_lo, 0, v1
	s_wait_dscnt 0x1
	s_wait_alu 0xfffd
	v_add_co_ci_u32_e64 v2, null, v5, v2, vcc_lo
	ds_bpermute_b32 v4, v4, v2
	s_wait_dscnt 0x1
	v_add_co_u32 v1, vcc_lo, v1, v6
	s_wait_alu 0xfffd
	v_add_co_ci_u32_e64 v2, null, 0, v2, vcc_lo
	ds_bpermute_b32 v5, v3, v1
	v_add_co_u32 v1, vcc_lo, v1, 0
	s_wait_dscnt 0x1
	s_wait_alu 0xfffd
	v_add_co_ci_u32_e64 v2, null, v2, v4, vcc_lo
	ds_bpermute_b32 v3, v3, v2
	s_wait_dscnt 0x1
	v_add_co_u32 v1, vcc_lo, v1, v5
	s_wait_alu 0xfffd
	v_add_co_ci_u32_e64 v2, null, 0, v2, vcc_lo
	s_delay_alu instid0(VALU_DEP_2) | instskip(SKIP_2) | instid1(VALU_DEP_2)
	v_add_co_u32 v1, vcc_lo, v1, 0
	s_wait_dscnt 0x0
	s_wait_alu 0xfffd
	v_add_co_ci_u32_e64 v2, null, v2, v3, vcc_lo
.LBB79_9:
	s_wait_alu 0xfffe
	s_or_b32 exec_lo, exec_lo, s3
	s_mov_b32 s3, 0
	s_branch .LBB79_22
.LBB79_10:
	s_mov_b32 s2, 0
                                        ; implicit-def: $vgpr1_vgpr2
                                        ; implicit-def: $vgpr3_vgpr4
	s_cbranch_execnz .LBB79_157
	s_branch .LBB79_226
.LBB79_11:
	s_mov_b32 s2, 0
                                        ; implicit-def: $vgpr1_vgpr2
                                        ; implicit-def: $vgpr3_vgpr4
	s_cbranch_execnz .LBB79_118
	s_branch .LBB79_156
.LBB79_12:
	s_mov_b32 s27, -1
	s_mov_b32 s2, 0
                                        ; implicit-def: $vgpr1_vgpr2
                                        ; implicit-def: $vgpr3_vgpr4
.LBB79_13:
	s_and_b32 vcc_lo, exec_lo, s27
	s_cbranch_vccz .LBB79_117
.LBB79_14:
	s_cmp_eq_u32 s26, 8
                                        ; implicit-def: $vgpr1_vgpr2
                                        ; implicit-def: $vgpr3_vgpr4
	s_cbranch_scc0 .LBB79_117
; %bb.15:
	s_mov_b32 s21, 0
	s_lshl_b32 s2, s20, 11
	s_wait_alu 0xfffe
	s_mov_b32 s3, s21
	s_lshr_b64 s[4:5], s[16:17], 11
	s_wait_alu 0xfffe
	s_lshl_b64 s[6:7], s[2:3], 2
	s_cmp_lg_u64 s[4:5], s[20:21]
	s_wait_alu 0xfffe
	s_add_nc_u64 s[8:9], s[22:23], s[6:7]
	s_cbranch_scc0 .LBB79_77
; %bb.16:
	v_lshlrev_b32_e32 v1, 2, v0
	s_clause 0x7
	global_load_b32 v2, v1, s[8:9]
	global_load_b32 v3, v1, s[8:9] offset:1024
	global_load_b32 v4, v1, s[8:9] offset:2048
	;; [unrolled: 1-line block ×7, first 2 shown]
	s_wait_loadcnt 0x7
	v_and_b32_e32 v2, 1, v2
	s_wait_loadcnt 0x6
	v_and_b32_e32 v3, 1, v3
	;; [unrolled: 2-line block ×4, first 2 shown]
	v_add_nc_u32_e32 v2, v3, v2
	s_wait_loadcnt 0x3
	v_and_b32_e32 v3, 1, v6
	s_wait_loadcnt 0x2
	v_and_b32_e32 v6, 1, v7
	;; [unrolled: 2-line block ×3, first 2 shown]
	v_add3_u32 v2, v2, v4, v5
	v_and_b32_e32 v4, 1, v8
	s_delay_alu instid0(VALU_DEP_2) | instskip(SKIP_1) | instid1(VALU_DEP_2)
	v_add3_u32 v2, v2, v3, v6
	v_mov_b32_e32 v3, 0
	v_add3_u32 v1, v2, v4, v1
	s_delay_alu instid0(VALU_DEP_1) | instskip(NEXT) | instid1(VALU_DEP_1)
	v_mov_b32_dpp v2, v1 quad_perm:[1,0,3,2] row_mask:0xf bank_mask:0xf
	v_add_co_u32 v1, s3, v1, v2
	s_delay_alu instid0(VALU_DEP_4) | instskip(SKIP_2) | instid1(VALU_DEP_3)
	v_mov_b32_dpp v2, v3 quad_perm:[1,0,3,2] row_mask:0xf bank_mask:0xf
	s_wait_alu 0xf1ff
	v_add_co_ci_u32_e64 v4, null, 0, 0, s3
	v_mov_b32_dpp v5, v1 quad_perm:[2,3,0,1] row_mask:0xf bank_mask:0xf
	v_add_co_u32 v1, vcc_lo, 0, v1
	s_wait_alu 0xfffd
	s_delay_alu instid0(VALU_DEP_3)
	v_add_co_ci_u32_e64 v2, null, v2, v4, vcc_lo
	s_mov_b32 s3, exec_lo
	v_add_co_u32 v1, vcc_lo, v1, v5
	v_mov_b32_dpp v4, v2 quad_perm:[2,3,0,1] row_mask:0xf bank_mask:0xf
	s_wait_alu 0xfffd
	v_add_co_ci_u32_e64 v2, null, 0, v2, vcc_lo
	s_delay_alu instid0(VALU_DEP_3) | instskip(SKIP_2) | instid1(VALU_DEP_3)
	v_mov_b32_dpp v5, v1 row_ror:4 row_mask:0xf bank_mask:0xf
	v_add_co_u32 v1, vcc_lo, v1, 0
	s_wait_alu 0xfffd
	v_add_co_ci_u32_e64 v2, null, v2, v4, vcc_lo
	s_delay_alu instid0(VALU_DEP_2) | instskip(NEXT) | instid1(VALU_DEP_2)
	v_add_co_u32 v1, vcc_lo, v1, v5
	v_mov_b32_dpp v4, v2 row_ror:4 row_mask:0xf bank_mask:0xf
	s_wait_alu 0xfffd
	v_add_co_ci_u32_e64 v2, null, 0, v2, vcc_lo
	s_delay_alu instid0(VALU_DEP_3) | instskip(SKIP_2) | instid1(VALU_DEP_3)
	v_mov_b32_dpp v5, v1 row_ror:8 row_mask:0xf bank_mask:0xf
	v_add_co_u32 v1, vcc_lo, v1, 0
	s_wait_alu 0xfffd
	v_add_co_ci_u32_e64 v2, null, v2, v4, vcc_lo
	s_delay_alu instid0(VALU_DEP_2) | instskip(NEXT) | instid1(VALU_DEP_2)
	v_add_co_u32 v1, vcc_lo, v1, v5
	v_mov_b32_dpp v4, v2 row_ror:8 row_mask:0xf bank_mask:0xf
	s_wait_alu 0xfffd
	v_add_co_ci_u32_e64 v2, null, 0, v2, vcc_lo
	ds_swizzle_b32 v5, v1 offset:swizzle(BROADCAST,32,15)
	v_add_co_u32 v1, vcc_lo, v1, 0
	s_wait_alu 0xfffd
	v_add_co_ci_u32_e64 v2, null, v2, v4, vcc_lo
	ds_swizzle_b32 v4, v2 offset:swizzle(BROADCAST,32,15)
	s_wait_dscnt 0x1
	v_add_co_u32 v1, vcc_lo, v1, v5
	s_wait_alu 0xfffd
	v_add_co_ci_u32_e64 v2, null, 0, v2, vcc_lo
	ds_bpermute_b32 v1, v3, v1 offset:124
	s_wait_dscnt 0x1
	v_add_nc_u32_e32 v2, v4, v2
	ds_bpermute_b32 v2, v3, v2 offset:124
	v_mbcnt_lo_u32_b32 v3, -1, 0
	s_delay_alu instid0(VALU_DEP_1)
	v_cmpx_eq_u32_e32 0, v3
	s_cbranch_execz .LBB79_18
; %bb.17:
	v_lshrrev_b32_e32 v4, 2, v0
	s_delay_alu instid0(VALU_DEP_1)
	v_and_b32_e32 v4, 56, v4
	s_wait_dscnt 0x0
	ds_store_b64 v4, v[1:2] offset:256
.LBB79_18:
	s_wait_alu 0xfffe
	s_or_b32 exec_lo, exec_lo, s3
	s_delay_alu instid0(SALU_CYCLE_1)
	s_mov_b32 s3, exec_lo
	s_wait_dscnt 0x0
	s_barrier_signal -1
	s_barrier_wait -1
	global_inv scope:SCOPE_SE
	v_cmpx_gt_u32_e32 32, v0
	s_cbranch_execz .LBB79_20
; %bb.19:
	v_and_b32_e32 v4, 7, v3
	s_delay_alu instid0(VALU_DEP_1)
	v_lshlrev_b32_e32 v1, 3, v4
	v_cmp_ne_u32_e32 vcc_lo, 7, v4
	ds_load_b64 v[1:2], v1 offset:256
	s_wait_alu 0xfffd
	v_add_co_ci_u32_e64 v5, null, 0, v3, vcc_lo
	v_cmp_gt_u32_e32 vcc_lo, 6, v4
	s_delay_alu instid0(VALU_DEP_2) | instskip(SKIP_2) | instid1(VALU_DEP_1)
	v_lshlrev_b32_e32 v5, 2, v5
	s_wait_alu 0xfffd
	v_cndmask_b32_e64 v4, 0, 2, vcc_lo
	v_add_lshl_u32 v4, v4, v3, 2
	v_lshlrev_b32_e32 v3, 2, v3
	s_delay_alu instid0(VALU_DEP_1)
	v_or_b32_e32 v3, 16, v3
	s_wait_dscnt 0x0
	ds_bpermute_b32 v6, v5, v1
	ds_bpermute_b32 v5, v5, v2
	s_wait_dscnt 0x1
	v_add_co_u32 v1, vcc_lo, v1, v6
	s_wait_alu 0xfffd
	v_add_co_ci_u32_e64 v2, null, 0, v2, vcc_lo
	ds_bpermute_b32 v6, v4, v1
	v_add_co_u32 v1, vcc_lo, 0, v1
	s_wait_dscnt 0x1
	s_wait_alu 0xfffd
	v_add_co_ci_u32_e64 v2, null, v5, v2, vcc_lo
	ds_bpermute_b32 v4, v4, v2
	s_wait_dscnt 0x1
	v_add_co_u32 v1, vcc_lo, v1, v6
	s_wait_alu 0xfffd
	v_add_co_ci_u32_e64 v2, null, 0, v2, vcc_lo
	ds_bpermute_b32 v5, v3, v1
	v_add_co_u32 v1, vcc_lo, v1, 0
	s_wait_dscnt 0x1
	s_wait_alu 0xfffd
	v_add_co_ci_u32_e64 v2, null, v2, v4, vcc_lo
	ds_bpermute_b32 v3, v3, v2
	s_wait_dscnt 0x1
	v_add_co_u32 v1, vcc_lo, v1, v5
	s_wait_alu 0xfffd
	v_add_co_ci_u32_e64 v2, null, 0, v2, vcc_lo
	s_delay_alu instid0(VALU_DEP_2) | instskip(SKIP_2) | instid1(VALU_DEP_2)
	v_add_co_u32 v1, vcc_lo, v1, 0
	s_wait_dscnt 0x0
	s_wait_alu 0xfffd
	v_add_co_ci_u32_e64 v2, null, v2, v3, vcc_lo
.LBB79_20:
	s_wait_alu 0xfffe
	s_or_b32 exec_lo, exec_lo, s3
	s_mov_b32 s3, 0
	s_branch .LBB79_78
.LBB79_21:
	s_mov_b32 s3, -1
                                        ; implicit-def: $vgpr1_vgpr2
.LBB79_22:
	s_wait_alu 0xfffe
	s_and_b32 vcc_lo, exec_lo, s3
	s_wait_alu 0xfffe
	s_cbranch_vccz .LBB79_76
; %bb.23:
	v_mov_b32_e32 v1, 0
	s_sub_co_i32 s28, s16, s2
	s_delay_alu instid0(SALU_CYCLE_1) | instskip(NEXT) | instid1(VALU_DEP_2)
	v_cmp_gt_u32_e32 vcc_lo, s28, v0
	v_dual_mov_b32 v2, v1 :: v_dual_mov_b32 v3, v1
	v_dual_mov_b32 v4, v1 :: v_dual_mov_b32 v5, v1
	;; [unrolled: 1-line block ×15, first 2 shown]
	v_mov_b32_e32 v32, v1
	s_and_saveexec_b32 s2, vcc_lo
	s_cbranch_execz .LBB79_25
; %bb.24:
	v_dual_mov_b32 v3, v1 :: v_dual_lshlrev_b32 v2, 2, v0
	v_dual_mov_b32 v32, v1 :: v_dual_mov_b32 v33, v1
	v_dual_mov_b32 v4, v1 :: v_dual_mov_b32 v5, v1
	global_load_b32 v2, v2, s[24:25]
	v_dual_mov_b32 v6, v1 :: v_dual_mov_b32 v7, v1
	v_dual_mov_b32 v8, v1 :: v_dual_mov_b32 v9, v1
	;; [unrolled: 1-line block ×13, first 2 shown]
	s_wait_loadcnt 0x0
	v_and_b32_e32 v2, 1, v2
	s_delay_alu instid0(VALU_DEP_1)
	v_mov_b32_e32 v1, v2
	v_mov_b32_e32 v2, v3
	;; [unrolled: 1-line block ×32, first 2 shown]
.LBB79_25:
	s_wait_alu 0xfffe
	s_or_b32 exec_lo, exec_lo, s2
	v_or_b32_e32 v33, 0x100, v0
	s_delay_alu instid0(VALU_DEP_1)
	v_cmp_gt_u32_e32 vcc_lo, s28, v33
	s_and_saveexec_b32 s2, vcc_lo
	s_cbranch_execz .LBB79_27
; %bb.26:
	v_dual_mov_b32 v4, 0 :: v_dual_lshlrev_b32 v3, 2, v0
	global_load_b32 v3, v3, s[24:25] offset:1024
	s_wait_loadcnt 0x0
	v_and_b32_e32 v3, 1, v3
.LBB79_27:
	s_wait_alu 0xfffe
	s_or_b32 exec_lo, exec_lo, s2
	v_or_b32_e32 v33, 0x200, v0
	s_delay_alu instid0(VALU_DEP_1)
	v_cmp_gt_u32_e64 s2, s28, v33
	s_and_saveexec_b32 s3, s2
	s_cbranch_execz .LBB79_29
; %bb.28:
	v_dual_mov_b32 v6, 0 :: v_dual_lshlrev_b32 v5, 2, v0
	global_load_b32 v5, v5, s[24:25] offset:2048
	s_wait_loadcnt 0x0
	v_and_b32_e32 v5, 1, v5
.LBB79_29:
	s_wait_alu 0xfffe
	s_or_b32 exec_lo, exec_lo, s3
	v_or_b32_e32 v33, 0x300, v0
	s_delay_alu instid0(VALU_DEP_1)
	v_cmp_gt_u32_e64 s3, s28, v33
	s_and_saveexec_b32 s4, s3
	s_cbranch_execz .LBB79_31
; %bb.30:
	v_dual_mov_b32 v8, 0 :: v_dual_lshlrev_b32 v7, 2, v0
	global_load_b32 v7, v7, s[24:25] offset:3072
	s_wait_loadcnt 0x0
	v_and_b32_e32 v7, 1, v7
.LBB79_31:
	s_or_b32 exec_lo, exec_lo, s4
	v_or_b32_e32 v33, 0x400, v0
	s_delay_alu instid0(VALU_DEP_1)
	v_cmp_gt_u32_e64 s4, s28, v33
	s_and_saveexec_b32 s5, s4
	s_cbranch_execz .LBB79_33
; %bb.32:
	v_dual_mov_b32 v10, 0 :: v_dual_lshlrev_b32 v9, 2, v0
	global_load_b32 v9, v9, s[24:25] offset:4096
	s_wait_loadcnt 0x0
	v_and_b32_e32 v9, 1, v9
.LBB79_33:
	;; [unrolled: 12-line block ×13, first 2 shown]
	s_wait_alu 0xfffe
	s_or_b32 exec_lo, exec_lo, s29
	v_dual_cndmask_b32 v3, 0, v3 :: v_dual_cndmask_b32 v4, 0, v4
	v_cndmask_b32_e64 v5, 0, v5, s2
	v_cndmask_b32_e64 v6, 0, v6, s2
	s_min_u32 s2, s28, 0x100
	s_delay_alu instid0(VALU_DEP_3) | instskip(SKIP_3) | instid1(VALU_DEP_3)
	v_add_co_u32 v1, vcc_lo, v3, v1
	s_wait_alu 0xfffd
	v_add_co_ci_u32_e64 v2, null, v4, v2, vcc_lo
	v_cndmask_b32_e64 v3, 0, v7, s3
	v_add_co_u32 v1, vcc_lo, v1, v5
	s_wait_alu 0xfffd
	s_delay_alu instid0(VALU_DEP_3)
	v_add_co_ci_u32_e64 v2, null, v2, v6, vcc_lo
	v_cndmask_b32_e64 v4, 0, v8, s3
	v_cndmask_b32_e64 v5, 0, v9, s4
	v_add_co_u32 v1, vcc_lo, v1, v3
	v_cndmask_b32_e64 v3, 0, v10, s4
	s_wait_alu 0xfffd
	v_add_co_ci_u32_e64 v2, null, v2, v4, vcc_lo
	v_cndmask_b32_e64 v4, 0, v11, s5
	v_add_co_u32 v1, vcc_lo, v1, v5
	s_wait_alu 0xfffd
	s_delay_alu instid0(VALU_DEP_3)
	v_add_co_ci_u32_e64 v2, null, v2, v3, vcc_lo
	v_cndmask_b32_e64 v3, 0, v12, s5
	v_cndmask_b32_e64 v5, 0, v13, s6
	v_add_co_u32 v1, vcc_lo, v1, v4
	v_cndmask_b32_e64 v4, 0, v15, s7
	s_wait_alu 0xfffd
	v_add_co_ci_u32_e64 v2, null, v2, v3, vcc_lo
	v_cndmask_b32_e64 v3, 0, v14, s6
	v_add_co_u32 v1, vcc_lo, v1, v5
	v_cndmask_b32_e64 v5, 0, v17, s8
	v_cndmask_b32_e64 v6, 0, v31, s15
	s_wait_alu 0xfffd
	v_add_co_ci_u32_e64 v2, null, v2, v3, vcc_lo
	v_cndmask_b32_e64 v3, 0, v16, s7
	v_add_co_u32 v1, vcc_lo, v1, v4
	v_cndmask_b32_e64 v4, 0, v19, s9
	s_wait_alu 0xfffd
	s_delay_alu instid0(VALU_DEP_3) | instskip(SKIP_4) | instid1(VALU_DEP_3)
	v_add_co_ci_u32_e64 v2, null, v2, v3, vcc_lo
	v_cndmask_b32_e64 v3, 0, v18, s8
	v_add_co_u32 v1, vcc_lo, v1, v5
	v_cndmask_b32_e64 v5, 0, v21, s10
	s_wait_alu 0xfffd
	v_add_co_ci_u32_e64 v2, null, v2, v3, vcc_lo
	v_cndmask_b32_e64 v3, 0, v20, s9
	v_add_co_u32 v1, vcc_lo, v1, v4
	v_cndmask_b32_e64 v4, 0, v23, s11
	s_wait_alu 0xfffd
	s_delay_alu instid0(VALU_DEP_3) | instskip(SKIP_4) | instid1(VALU_DEP_3)
	v_add_co_ci_u32_e64 v2, null, v2, v3, vcc_lo
	v_cndmask_b32_e64 v3, 0, v22, s10
	v_add_co_u32 v1, vcc_lo, v1, v5
	;; [unrolled: 11-line block ×3, first 2 shown]
	v_cndmask_b32_e64 v5, 0, v28, s13
	s_wait_alu 0xfffd
	v_add_co_ci_u32_e64 v2, null, v2, v3, vcc_lo
	v_mbcnt_lo_u32_b32 v3, -1, 0
	v_add_co_u32 v1, vcc_lo, v1, v4
	s_wait_alu 0xfffd
	s_delay_alu instid0(VALU_DEP_3)
	v_add_co_ci_u32_e64 v2, null, v2, v5, vcc_lo
	v_cndmask_b32_e64 v5, 0, v29, s14
	v_cmp_ne_u32_e32 vcc_lo, 31, v3
	v_cndmask_b32_e64 v4, 0, v30, s14
	s_wait_alu 0xfffd
	v_add_co_ci_u32_e64 v7, null, 0, v3, vcc_lo
	v_add_co_u32 v1, vcc_lo, v1, v5
	s_wait_alu 0xfffd
	v_add_co_ci_u32_e64 v2, null, v2, v4, vcc_lo
	v_cndmask_b32_e64 v4, 0, v32, s15
	s_delay_alu instid0(VALU_DEP_3)
	v_add_co_u32 v1, vcc_lo, v1, v6
	v_lshlrev_b32_e32 v5, 2, v7
	v_add_nc_u32_e32 v6, 1, v3
	s_wait_alu 0xfffd
	v_add_co_ci_u32_e64 v2, null, v2, v4, vcc_lo
	v_and_b32_e32 v4, 0xe0, v0
	s_wait_alu 0xfffe
	s_delay_alu instid0(VALU_DEP_1) | instskip(NEXT) | instid1(VALU_DEP_1)
	v_sub_nc_u32_e64 v4, s2, v4 clamp
	v_cmp_lt_u32_e32 vcc_lo, v6, v4
	v_mov_b32_e32 v6, v1
	ds_bpermute_b32 v7, v5, v1
	ds_bpermute_b32 v5, v5, v2
	s_and_saveexec_b32 s3, vcc_lo
	s_cbranch_execz .LBB79_57
; %bb.56:
	s_wait_dscnt 0x1
	v_add_co_u32 v6, vcc_lo, v1, v7
	s_wait_alu 0xfffd
	v_add_co_ci_u32_e64 v2, null, 0, v2, vcc_lo
	s_delay_alu instid0(VALU_DEP_2) | instskip(SKIP_2) | instid1(VALU_DEP_2)
	v_add_co_u32 v1, vcc_lo, v6, 0
	s_wait_dscnt 0x0
	s_wait_alu 0xfffd
	v_add_co_ci_u32_e64 v2, null, v2, v5, vcc_lo
.LBB79_57:
	s_wait_alu 0xfffe
	s_or_b32 exec_lo, exec_lo, s3
	v_cmp_gt_u32_e32 vcc_lo, 30, v3
	v_add_nc_u32_e32 v8, 2, v3
	s_mov_b32 s3, exec_lo
	s_wait_dscnt 0x0
	s_wait_alu 0xfffd
	v_cndmask_b32_e64 v5, 0, 2, vcc_lo
	s_delay_alu instid0(VALU_DEP_1)
	v_add_lshl_u32 v5, v5, v3, 2
	ds_bpermute_b32 v7, v5, v6
	ds_bpermute_b32 v5, v5, v2
	v_cmpx_lt_u32_e64 v8, v4
	s_cbranch_execz .LBB79_59
; %bb.58:
	s_wait_dscnt 0x1
	v_add_co_u32 v6, vcc_lo, v1, v7
	s_wait_alu 0xfffd
	v_add_co_ci_u32_e64 v2, null, 0, v2, vcc_lo
	s_delay_alu instid0(VALU_DEP_2) | instskip(SKIP_2) | instid1(VALU_DEP_2)
	v_add_co_u32 v1, vcc_lo, 0, v6
	s_wait_dscnt 0x0
	s_wait_alu 0xfffd
	v_add_co_ci_u32_e64 v2, null, v5, v2, vcc_lo
.LBB79_59:
	s_wait_alu 0xfffe
	s_or_b32 exec_lo, exec_lo, s3
	v_cmp_gt_u32_e32 vcc_lo, 28, v3
	v_add_nc_u32_e32 v8, 4, v3
	s_mov_b32 s3, exec_lo
	s_wait_dscnt 0x0
	s_wait_alu 0xfffd
	v_cndmask_b32_e64 v5, 0, 4, vcc_lo
	s_delay_alu instid0(VALU_DEP_1)
	v_add_lshl_u32 v5, v5, v3, 2
	ds_bpermute_b32 v7, v5, v6
	ds_bpermute_b32 v5, v5, v2
	v_cmpx_lt_u32_e64 v8, v4
	;; [unrolled: 25-line block ×3, first 2 shown]
	s_cbranch_execz .LBB79_63
; %bb.62:
	s_wait_dscnt 0x1
	v_add_co_u32 v6, vcc_lo, v1, v7
	s_wait_alu 0xfffd
	v_add_co_ci_u32_e64 v2, null, 0, v2, vcc_lo
	s_delay_alu instid0(VALU_DEP_2) | instskip(SKIP_2) | instid1(VALU_DEP_2)
	v_add_co_u32 v1, vcc_lo, 0, v6
	s_wait_dscnt 0x0
	s_wait_alu 0xfffd
	v_add_co_ci_u32_e64 v2, null, v5, v2, vcc_lo
.LBB79_63:
	s_wait_alu 0xfffe
	s_or_b32 exec_lo, exec_lo, s3
	s_wait_dscnt 0x0
	v_lshlrev_b32_e32 v5, 2, v3
	s_mov_b32 s3, exec_lo
	s_delay_alu instid0(VALU_DEP_1) | instskip(SKIP_3) | instid1(VALU_DEP_1)
	v_or_b32_e32 v8, 64, v5
	ds_bpermute_b32 v7, v8, v6
	ds_bpermute_b32 v6, v8, v2
	v_add_nc_u32_e32 v8, 16, v3
	v_cmpx_lt_u32_e64 v8, v4
	s_cbranch_execz .LBB79_65
; %bb.64:
	s_wait_dscnt 0x1
	v_add_co_u32 v1, vcc_lo, v1, v7
	s_wait_alu 0xfffd
	v_add_co_ci_u32_e64 v2, null, 0, v2, vcc_lo
	s_delay_alu instid0(VALU_DEP_2) | instskip(SKIP_2) | instid1(VALU_DEP_2)
	v_add_co_u32 v1, vcc_lo, v1, 0
	s_wait_dscnt 0x0
	s_wait_alu 0xfffd
	v_add_co_ci_u32_e64 v2, null, v2, v6, vcc_lo
.LBB79_65:
	s_wait_alu 0xfffe
	s_or_b32 exec_lo, exec_lo, s3
	s_delay_alu instid0(SALU_CYCLE_1)
	s_mov_b32 s3, exec_lo
	v_cmpx_eq_u32_e32 0, v3
; %bb.66:
	v_lshrrev_b32_e32 v4, 2, v0
	s_delay_alu instid0(VALU_DEP_1)
	v_and_b32_e32 v4, 56, v4
	ds_store_b64 v4, v[1:2] offset:320
; %bb.67:
	s_wait_alu 0xfffe
	s_or_b32 exec_lo, exec_lo, s3
	s_delay_alu instid0(SALU_CYCLE_1)
	s_mov_b32 s3, exec_lo
	s_wait_loadcnt_dscnt 0x0
	s_barrier_signal -1
	s_barrier_wait -1
	global_inv scope:SCOPE_SE
	v_cmpx_gt_u32_e32 8, v0
	s_cbranch_execz .LBB79_75
; %bb.68:
	v_lshlrev_b32_e32 v1, 3, v3
	v_and_b32_e32 v4, 7, v3
	s_add_co_i32 s2, s2, 31
	s_wait_alu 0xfffe
	s_lshr_b32 s2, s2, 5
	ds_load_b64 v[1:2], v1 offset:320
	v_cmp_ne_u32_e32 vcc_lo, 7, v4
	s_wait_alu 0xfffd
	v_add_co_ci_u32_e64 v6, null, 0, v3, vcc_lo
	s_delay_alu instid0(VALU_DEP_1)
	v_lshlrev_b32_e32 v6, 2, v6
	s_wait_dscnt 0x0
	ds_bpermute_b32 v8, v6, v1
	ds_bpermute_b32 v7, v6, v2
	v_add_nc_u32_e32 v6, 1, v4
	s_wait_alu 0xfffe
	s_delay_alu instid0(VALU_DEP_1)
	v_cmp_gt_u32_e32 vcc_lo, s2, v6
	v_mov_b32_e32 v6, v1
	s_and_saveexec_b32 s4, vcc_lo
	s_cbranch_execz .LBB79_70
; %bb.69:
	s_wait_dscnt 0x1
	v_add_co_u32 v6, vcc_lo, v1, v8
	s_wait_alu 0xfffd
	v_add_co_ci_u32_e64 v2, null, 0, v2, vcc_lo
	s_delay_alu instid0(VALU_DEP_2) | instskip(SKIP_2) | instid1(VALU_DEP_2)
	v_add_co_u32 v1, vcc_lo, 0, v6
	s_wait_dscnt 0x0
	s_wait_alu 0xfffd
	v_add_co_ci_u32_e64 v2, null, v7, v2, vcc_lo
.LBB79_70:
	s_wait_alu 0xfffe
	s_or_b32 exec_lo, exec_lo, s4
	v_cmp_gt_u32_e32 vcc_lo, 6, v4
	s_wait_dscnt 0x1
	v_add_nc_u32_e32 v8, 2, v4
	s_mov_b32 s4, exec_lo
	s_wait_dscnt 0x0
	s_wait_alu 0xfffd
	v_cndmask_b32_e64 v7, 0, 2, vcc_lo
	s_delay_alu instid0(VALU_DEP_1)
	v_add_lshl_u32 v3, v7, v3, 2
	ds_bpermute_b32 v7, v3, v6
	ds_bpermute_b32 v3, v3, v2
	v_cmpx_gt_u32_e64 s2, v8
	s_cbranch_execz .LBB79_72
; %bb.71:
	s_wait_dscnt 0x1
	v_add_co_u32 v6, vcc_lo, v1, v7
	s_wait_alu 0xfffd
	v_add_co_ci_u32_e64 v2, null, 0, v2, vcc_lo
	s_delay_alu instid0(VALU_DEP_2) | instskip(SKIP_2) | instid1(VALU_DEP_2)
	v_add_co_u32 v1, vcc_lo, 0, v6
	s_wait_dscnt 0x0
	s_wait_alu 0xfffd
	v_add_co_ci_u32_e64 v2, null, v3, v2, vcc_lo
.LBB79_72:
	s_wait_alu 0xfffe
	s_or_b32 exec_lo, exec_lo, s4
	s_wait_dscnt 0x0
	v_or_b32_e32 v3, 16, v5
	v_add_nc_u32_e32 v4, 4, v4
	ds_bpermute_b32 v5, v3, v6
	ds_bpermute_b32 v3, v3, v2
	v_cmp_gt_u32_e32 vcc_lo, s2, v4
	s_and_saveexec_b32 s2, vcc_lo
	s_cbranch_execz .LBB79_74
; %bb.73:
	s_wait_dscnt 0x1
	v_add_co_u32 v1, vcc_lo, v1, v5
	s_wait_alu 0xfffd
	v_add_co_ci_u32_e64 v2, null, 0, v2, vcc_lo
	s_delay_alu instid0(VALU_DEP_2) | instskip(SKIP_2) | instid1(VALU_DEP_2)
	v_add_co_u32 v1, vcc_lo, v1, 0
	s_wait_dscnt 0x0
	s_wait_alu 0xfffd
	v_add_co_ci_u32_e64 v2, null, v2, v3, vcc_lo
.LBB79_74:
	s_wait_alu 0xfffe
	s_or_b32 exec_lo, exec_lo, s2
.LBB79_75:
	s_wait_alu 0xfffe
	s_or_b32 exec_lo, exec_lo, s3
.LBB79_76:
	v_cmp_eq_u32_e64 s2, 0, v0
	s_wait_dscnt 0x0
	v_dual_mov_b32 v3, s20 :: v_dual_mov_b32 v4, s21
	s_and_b32 vcc_lo, exec_lo, s27
	s_wait_alu 0xfffe
	s_cbranch_vccnz .LBB79_14
	s_branch .LBB79_117
.LBB79_77:
	s_mov_b32 s3, -1
                                        ; implicit-def: $vgpr1_vgpr2
.LBB79_78:
	s_wait_alu 0xfffe
	s_and_b32 vcc_lo, exec_lo, s3
	s_wait_alu 0xfffe
	s_cbranch_vccz .LBB79_116
; %bb.79:
	v_mov_b32_e32 v1, 0
	s_sub_co_i32 s10, s16, s2
	s_mov_b32 s2, exec_lo
	s_delay_alu instid0(VALU_DEP_1)
	v_dual_mov_b32 v2, v1 :: v_dual_mov_b32 v3, v1
	v_dual_mov_b32 v4, v1 :: v_dual_mov_b32 v5, v1
	;; [unrolled: 1-line block ×7, first 2 shown]
	v_mov_b32_e32 v16, v1
	s_wait_alu 0xfffe
	v_cmpx_gt_u32_e64 s10, v0
	s_cbranch_execz .LBB79_81
; %bb.80:
	v_dual_mov_b32 v3, v1 :: v_dual_lshlrev_b32 v2, 2, v0
	v_dual_mov_b32 v16, v1 :: v_dual_mov_b32 v17, v1
	v_dual_mov_b32 v4, v1 :: v_dual_mov_b32 v5, v1
	global_load_b32 v2, v2, s[8:9]
	v_dual_mov_b32 v6, v1 :: v_dual_mov_b32 v7, v1
	v_dual_mov_b32 v8, v1 :: v_dual_mov_b32 v9, v1
	v_dual_mov_b32 v10, v1 :: v_dual_mov_b32 v11, v1
	v_dual_mov_b32 v12, v1 :: v_dual_mov_b32 v13, v1
	v_dual_mov_b32 v14, v1 :: v_dual_mov_b32 v15, v1
	s_wait_loadcnt 0x0
	v_and_b32_e32 v2, 1, v2
	s_delay_alu instid0(VALU_DEP_1)
	v_mov_b32_e32 v1, v2
	v_mov_b32_e32 v2, v3
	;; [unrolled: 1-line block ×16, first 2 shown]
.LBB79_81:
	s_or_b32 exec_lo, exec_lo, s2
	v_or_b32_e32 v17, 0x100, v0
	s_delay_alu instid0(VALU_DEP_1)
	v_cmp_gt_u32_e32 vcc_lo, s10, v17
	s_and_saveexec_b32 s2, vcc_lo
	s_cbranch_execz .LBB79_83
; %bb.82:
	v_dual_mov_b32 v4, 0 :: v_dual_lshlrev_b32 v3, 2, v0
	global_load_b32 v3, v3, s[8:9] offset:1024
	s_wait_loadcnt 0x0
	v_and_b32_e32 v3, 1, v3
.LBB79_83:
	s_wait_alu 0xfffe
	s_or_b32 exec_lo, exec_lo, s2
	v_or_b32_e32 v17, 0x200, v0
	s_delay_alu instid0(VALU_DEP_1)
	v_cmp_gt_u32_e64 s2, s10, v17
	s_and_saveexec_b32 s3, s2
	s_cbranch_execz .LBB79_85
; %bb.84:
	v_dual_mov_b32 v6, 0 :: v_dual_lshlrev_b32 v5, 2, v0
	global_load_b32 v5, v5, s[8:9] offset:2048
	s_wait_loadcnt 0x0
	v_and_b32_e32 v5, 1, v5
.LBB79_85:
	s_wait_alu 0xfffe
	s_or_b32 exec_lo, exec_lo, s3
	v_or_b32_e32 v17, 0x300, v0
	s_delay_alu instid0(VALU_DEP_1)
	v_cmp_gt_u32_e64 s3, s10, v17
	s_and_saveexec_b32 s4, s3
	;; [unrolled: 13-line block ×6, first 2 shown]
	s_cbranch_execz .LBB79_95
; %bb.94:
	v_dual_mov_b32 v16, 0 :: v_dual_lshlrev_b32 v15, 2, v0
	global_load_b32 v15, v15, s[8:9] offset:7168
	s_wait_loadcnt 0x0
	v_and_b32_e32 v15, 1, v15
.LBB79_95:
	s_wait_alu 0xfffe
	s_or_b32 exec_lo, exec_lo, s11
	v_dual_cndmask_b32 v3, 0, v3 :: v_dual_cndmask_b32 v4, 0, v4
	v_cndmask_b32_e64 v5, 0, v5, s2
	v_cndmask_b32_e64 v6, 0, v6, s2
	s_min_u32 s2, s10, 0x100
	s_delay_alu instid0(VALU_DEP_3) | instskip(SKIP_3) | instid1(VALU_DEP_3)
	v_add_co_u32 v1, vcc_lo, v3, v1
	s_wait_alu 0xfffd
	v_add_co_ci_u32_e64 v2, null, v4, v2, vcc_lo
	v_cndmask_b32_e64 v3, 0, v7, s3
	v_add_co_u32 v1, vcc_lo, v1, v5
	s_wait_alu 0xfffd
	s_delay_alu instid0(VALU_DEP_3)
	v_add_co_ci_u32_e64 v2, null, v2, v6, vcc_lo
	v_cndmask_b32_e64 v4, 0, v8, s3
	v_cndmask_b32_e64 v5, 0, v9, s4
	v_add_co_u32 v1, vcc_lo, v1, v3
	v_cndmask_b32_e64 v3, 0, v10, s4
	s_wait_alu 0xfffd
	v_add_co_ci_u32_e64 v2, null, v2, v4, vcc_lo
	v_cndmask_b32_e64 v4, 0, v11, s5
	v_add_co_u32 v1, vcc_lo, v1, v5
	s_wait_alu 0xfffd
	s_delay_alu instid0(VALU_DEP_3)
	v_add_co_ci_u32_e64 v2, null, v2, v3, vcc_lo
	v_cndmask_b32_e64 v5, 0, v12, s5
	v_mbcnt_lo_u32_b32 v3, -1, 0
	v_add_co_u32 v1, vcc_lo, v1, v4
	v_cndmask_b32_e64 v4, 0, v14, s6
	s_wait_alu 0xfffd
	v_add_co_ci_u32_e64 v2, null, v2, v5, vcc_lo
	v_cndmask_b32_e64 v5, 0, v13, s6
	v_cmp_ne_u32_e32 vcc_lo, 31, v3
	v_cndmask_b32_e64 v6, 0, v15, s7
	s_wait_alu 0xfffd
	v_add_co_ci_u32_e64 v7, null, 0, v3, vcc_lo
	v_add_co_u32 v1, vcc_lo, v1, v5
	s_wait_alu 0xfffd
	v_add_co_ci_u32_e64 v2, null, v2, v4, vcc_lo
	v_cndmask_b32_e64 v4, 0, v16, s7
	s_delay_alu instid0(VALU_DEP_3)
	v_add_co_u32 v1, vcc_lo, v1, v6
	v_lshlrev_b32_e32 v5, 2, v7
	v_add_nc_u32_e32 v6, 1, v3
	s_wait_alu 0xfffd
	v_add_co_ci_u32_e64 v2, null, v2, v4, vcc_lo
	v_and_b32_e32 v4, 0xe0, v0
	s_wait_alu 0xfffe
	s_delay_alu instid0(VALU_DEP_1) | instskip(NEXT) | instid1(VALU_DEP_1)
	v_sub_nc_u32_e64 v4, s2, v4 clamp
	v_cmp_lt_u32_e32 vcc_lo, v6, v4
	v_mov_b32_e32 v6, v1
	ds_bpermute_b32 v7, v5, v1
	ds_bpermute_b32 v5, v5, v2
	s_and_saveexec_b32 s3, vcc_lo
	s_cbranch_execz .LBB79_97
; %bb.96:
	s_wait_dscnt 0x1
	v_add_co_u32 v6, vcc_lo, v1, v7
	s_wait_alu 0xfffd
	v_add_co_ci_u32_e64 v2, null, 0, v2, vcc_lo
	s_delay_alu instid0(VALU_DEP_2) | instskip(SKIP_2) | instid1(VALU_DEP_2)
	v_add_co_u32 v1, vcc_lo, v6, 0
	s_wait_dscnt 0x0
	s_wait_alu 0xfffd
	v_add_co_ci_u32_e64 v2, null, v2, v5, vcc_lo
.LBB79_97:
	s_wait_alu 0xfffe
	s_or_b32 exec_lo, exec_lo, s3
	v_cmp_gt_u32_e32 vcc_lo, 30, v3
	v_add_nc_u32_e32 v8, 2, v3
	s_mov_b32 s3, exec_lo
	s_wait_dscnt 0x0
	s_wait_alu 0xfffd
	v_cndmask_b32_e64 v5, 0, 2, vcc_lo
	s_delay_alu instid0(VALU_DEP_1)
	v_add_lshl_u32 v5, v5, v3, 2
	ds_bpermute_b32 v7, v5, v6
	ds_bpermute_b32 v5, v5, v2
	v_cmpx_lt_u32_e64 v8, v4
	s_cbranch_execz .LBB79_99
; %bb.98:
	s_wait_dscnt 0x1
	v_add_co_u32 v6, vcc_lo, v1, v7
	s_wait_alu 0xfffd
	v_add_co_ci_u32_e64 v2, null, 0, v2, vcc_lo
	s_delay_alu instid0(VALU_DEP_2) | instskip(SKIP_2) | instid1(VALU_DEP_2)
	v_add_co_u32 v1, vcc_lo, 0, v6
	s_wait_dscnt 0x0
	s_wait_alu 0xfffd
	v_add_co_ci_u32_e64 v2, null, v5, v2, vcc_lo
.LBB79_99:
	s_wait_alu 0xfffe
	s_or_b32 exec_lo, exec_lo, s3
	v_cmp_gt_u32_e32 vcc_lo, 28, v3
	v_add_nc_u32_e32 v8, 4, v3
	s_mov_b32 s3, exec_lo
	s_wait_dscnt 0x0
	s_wait_alu 0xfffd
	v_cndmask_b32_e64 v5, 0, 4, vcc_lo
	s_delay_alu instid0(VALU_DEP_1)
	v_add_lshl_u32 v5, v5, v3, 2
	ds_bpermute_b32 v7, v5, v6
	ds_bpermute_b32 v5, v5, v2
	v_cmpx_lt_u32_e64 v8, v4
	;; [unrolled: 25-line block ×3, first 2 shown]
	s_cbranch_execz .LBB79_103
; %bb.102:
	s_wait_dscnt 0x1
	v_add_co_u32 v6, vcc_lo, v1, v7
	s_wait_alu 0xfffd
	v_add_co_ci_u32_e64 v2, null, 0, v2, vcc_lo
	s_delay_alu instid0(VALU_DEP_2) | instskip(SKIP_2) | instid1(VALU_DEP_2)
	v_add_co_u32 v1, vcc_lo, 0, v6
	s_wait_dscnt 0x0
	s_wait_alu 0xfffd
	v_add_co_ci_u32_e64 v2, null, v5, v2, vcc_lo
.LBB79_103:
	s_wait_alu 0xfffe
	s_or_b32 exec_lo, exec_lo, s3
	s_wait_dscnt 0x0
	v_lshlrev_b32_e32 v5, 2, v3
	s_mov_b32 s3, exec_lo
	s_delay_alu instid0(VALU_DEP_1) | instskip(SKIP_3) | instid1(VALU_DEP_1)
	v_or_b32_e32 v8, 64, v5
	ds_bpermute_b32 v7, v8, v6
	ds_bpermute_b32 v6, v8, v2
	v_add_nc_u32_e32 v8, 16, v3
	v_cmpx_lt_u32_e64 v8, v4
	s_cbranch_execz .LBB79_105
; %bb.104:
	s_wait_dscnt 0x1
	v_add_co_u32 v1, vcc_lo, v1, v7
	s_wait_alu 0xfffd
	v_add_co_ci_u32_e64 v2, null, 0, v2, vcc_lo
	s_delay_alu instid0(VALU_DEP_2) | instskip(SKIP_2) | instid1(VALU_DEP_2)
	v_add_co_u32 v1, vcc_lo, v1, 0
	s_wait_dscnt 0x0
	s_wait_alu 0xfffd
	v_add_co_ci_u32_e64 v2, null, v2, v6, vcc_lo
.LBB79_105:
	s_wait_alu 0xfffe
	s_or_b32 exec_lo, exec_lo, s3
	s_delay_alu instid0(SALU_CYCLE_1)
	s_mov_b32 s3, exec_lo
	v_cmpx_eq_u32_e32 0, v3
; %bb.106:
	v_lshrrev_b32_e32 v4, 2, v0
	s_delay_alu instid0(VALU_DEP_1)
	v_and_b32_e32 v4, 56, v4
	ds_store_b64 v4, v[1:2] offset:320
; %bb.107:
	s_wait_alu 0xfffe
	s_or_b32 exec_lo, exec_lo, s3
	s_delay_alu instid0(SALU_CYCLE_1)
	s_mov_b32 s3, exec_lo
	s_wait_loadcnt_dscnt 0x0
	s_barrier_signal -1
	s_barrier_wait -1
	global_inv scope:SCOPE_SE
	v_cmpx_gt_u32_e32 8, v0
	s_cbranch_execz .LBB79_115
; %bb.108:
	v_lshlrev_b32_e32 v1, 3, v3
	v_and_b32_e32 v4, 7, v3
	s_add_co_i32 s2, s2, 31
	s_wait_alu 0xfffe
	s_lshr_b32 s2, s2, 5
	ds_load_b64 v[1:2], v1 offset:320
	v_cmp_ne_u32_e32 vcc_lo, 7, v4
	s_wait_alu 0xfffd
	v_add_co_ci_u32_e64 v6, null, 0, v3, vcc_lo
	s_delay_alu instid0(VALU_DEP_1)
	v_lshlrev_b32_e32 v6, 2, v6
	s_wait_dscnt 0x0
	ds_bpermute_b32 v8, v6, v1
	ds_bpermute_b32 v7, v6, v2
	v_add_nc_u32_e32 v6, 1, v4
	s_wait_alu 0xfffe
	s_delay_alu instid0(VALU_DEP_1)
	v_cmp_gt_u32_e32 vcc_lo, s2, v6
	v_mov_b32_e32 v6, v1
	s_and_saveexec_b32 s4, vcc_lo
	s_cbranch_execz .LBB79_110
; %bb.109:
	s_wait_dscnt 0x1
	v_add_co_u32 v6, vcc_lo, v1, v8
	s_wait_alu 0xfffd
	v_add_co_ci_u32_e64 v2, null, 0, v2, vcc_lo
	s_delay_alu instid0(VALU_DEP_2) | instskip(SKIP_2) | instid1(VALU_DEP_2)
	v_add_co_u32 v1, vcc_lo, 0, v6
	s_wait_dscnt 0x0
	s_wait_alu 0xfffd
	v_add_co_ci_u32_e64 v2, null, v7, v2, vcc_lo
.LBB79_110:
	s_wait_alu 0xfffe
	s_or_b32 exec_lo, exec_lo, s4
	v_cmp_gt_u32_e32 vcc_lo, 6, v4
	s_wait_dscnt 0x1
	v_add_nc_u32_e32 v8, 2, v4
	s_mov_b32 s4, exec_lo
	s_wait_dscnt 0x0
	s_wait_alu 0xfffd
	v_cndmask_b32_e64 v7, 0, 2, vcc_lo
	s_delay_alu instid0(VALU_DEP_1)
	v_add_lshl_u32 v3, v7, v3, 2
	ds_bpermute_b32 v7, v3, v6
	ds_bpermute_b32 v3, v3, v2
	v_cmpx_gt_u32_e64 s2, v8
	s_cbranch_execz .LBB79_112
; %bb.111:
	s_wait_dscnt 0x1
	v_add_co_u32 v6, vcc_lo, v1, v7
	s_wait_alu 0xfffd
	v_add_co_ci_u32_e64 v2, null, 0, v2, vcc_lo
	s_delay_alu instid0(VALU_DEP_2) | instskip(SKIP_2) | instid1(VALU_DEP_2)
	v_add_co_u32 v1, vcc_lo, 0, v6
	s_wait_dscnt 0x0
	s_wait_alu 0xfffd
	v_add_co_ci_u32_e64 v2, null, v3, v2, vcc_lo
.LBB79_112:
	s_wait_alu 0xfffe
	s_or_b32 exec_lo, exec_lo, s4
	s_wait_dscnt 0x0
	v_or_b32_e32 v3, 16, v5
	v_add_nc_u32_e32 v4, 4, v4
	ds_bpermute_b32 v5, v3, v6
	ds_bpermute_b32 v3, v3, v2
	v_cmp_gt_u32_e32 vcc_lo, s2, v4
	s_and_saveexec_b32 s2, vcc_lo
	s_cbranch_execz .LBB79_114
; %bb.113:
	s_wait_dscnt 0x1
	v_add_co_u32 v1, vcc_lo, v1, v5
	s_wait_alu 0xfffd
	v_add_co_ci_u32_e64 v2, null, 0, v2, vcc_lo
	s_delay_alu instid0(VALU_DEP_2) | instskip(SKIP_2) | instid1(VALU_DEP_2)
	v_add_co_u32 v1, vcc_lo, v1, 0
	s_wait_dscnt 0x0
	s_wait_alu 0xfffd
	v_add_co_ci_u32_e64 v2, null, v2, v3, vcc_lo
.LBB79_114:
	s_wait_alu 0xfffe
	s_or_b32 exec_lo, exec_lo, s2
.LBB79_115:
	s_wait_alu 0xfffe
	s_or_b32 exec_lo, exec_lo, s3
.LBB79_116:
	v_cmp_eq_u32_e64 s2, 0, v0
	s_wait_dscnt 0x0
	v_dual_mov_b32 v3, s20 :: v_dual_mov_b32 v4, s21
.LBB79_117:
	s_branch .LBB79_156
.LBB79_118:
	s_cmp_eq_u32 s26, 4
                                        ; implicit-def: $vgpr1_vgpr2
                                        ; implicit-def: $vgpr3_vgpr4
	s_cbranch_scc0 .LBB79_156
; %bb.119:
	s_mov_b32 s21, 0
	s_lshl_b32 s2, s20, 10
	s_mov_b32 s3, s21
	s_lshr_b64 s[4:5], s[16:17], 10
	s_lshl_b64 s[6:7], s[2:3], 2
	s_cmp_lg_u64 s[4:5], s[20:21]
	s_add_nc_u64 s[4:5], s[22:23], s[6:7]
	s_cbranch_scc0 .LBB79_125
; %bb.120:
	v_lshlrev_b32_e32 v1, 2, v0
	s_clause 0x3
	global_load_b32 v2, v1, s[4:5]
	global_load_b32 v3, v1, s[4:5] offset:1024
	global_load_b32 v4, v1, s[4:5] offset:2048
	;; [unrolled: 1-line block ×3, first 2 shown]
	s_wait_loadcnt 0x3
	v_and_b32_e32 v2, 1, v2
	s_wait_loadcnt 0x2
	v_and_b32_e32 v3, 1, v3
	;; [unrolled: 2-line block ×4, first 2 shown]
	v_dual_mov_b32 v3, 0 :: v_dual_add_nc_u32 v2, v3, v2
	s_delay_alu instid0(VALU_DEP_1) | instskip(NEXT) | instid1(VALU_DEP_1)
	v_add3_u32 v1, v2, v4, v1
	v_mov_b32_dpp v2, v1 quad_perm:[1,0,3,2] row_mask:0xf bank_mask:0xf
	s_delay_alu instid0(VALU_DEP_1) | instskip(NEXT) | instid1(VALU_DEP_4)
	v_add_co_u32 v1, s3, v1, v2
	v_mov_b32_dpp v2, v3 quad_perm:[1,0,3,2] row_mask:0xf bank_mask:0xf
	v_add_co_ci_u32_e64 v4, null, 0, 0, s3
	s_delay_alu instid0(VALU_DEP_3) | instskip(SKIP_1) | instid1(VALU_DEP_1)
	v_mov_b32_dpp v5, v1 quad_perm:[2,3,0,1] row_mask:0xf bank_mask:0xf
	v_add_co_u32 v1, vcc_lo, 0, v1
	v_add_co_ci_u32_e64 v2, null, v2, v4, vcc_lo
	s_mov_b32 s3, exec_lo
	v_add_co_u32 v1, vcc_lo, v1, v5
	v_mov_b32_dpp v4, v2 quad_perm:[2,3,0,1] row_mask:0xf bank_mask:0xf
	s_wait_alu 0xfffd
	v_add_co_ci_u32_e64 v2, null, 0, v2, vcc_lo
	s_delay_alu instid0(VALU_DEP_3) | instskip(SKIP_2) | instid1(VALU_DEP_3)
	v_mov_b32_dpp v5, v1 row_ror:4 row_mask:0xf bank_mask:0xf
	v_add_co_u32 v1, vcc_lo, v1, 0
	s_wait_alu 0xfffd
	v_add_co_ci_u32_e64 v2, null, v2, v4, vcc_lo
	s_delay_alu instid0(VALU_DEP_2) | instskip(NEXT) | instid1(VALU_DEP_2)
	v_add_co_u32 v1, vcc_lo, v1, v5
	v_mov_b32_dpp v4, v2 row_ror:4 row_mask:0xf bank_mask:0xf
	s_wait_alu 0xfffd
	v_add_co_ci_u32_e64 v2, null, 0, v2, vcc_lo
	s_delay_alu instid0(VALU_DEP_3) | instskip(SKIP_2) | instid1(VALU_DEP_3)
	v_mov_b32_dpp v5, v1 row_ror:8 row_mask:0xf bank_mask:0xf
	v_add_co_u32 v1, vcc_lo, v1, 0
	s_wait_alu 0xfffd
	v_add_co_ci_u32_e64 v2, null, v2, v4, vcc_lo
	s_delay_alu instid0(VALU_DEP_2) | instskip(NEXT) | instid1(VALU_DEP_2)
	v_add_co_u32 v1, vcc_lo, v1, v5
	v_mov_b32_dpp v4, v2 row_ror:8 row_mask:0xf bank_mask:0xf
	s_wait_alu 0xfffd
	v_add_co_ci_u32_e64 v2, null, 0, v2, vcc_lo
	ds_swizzle_b32 v5, v1 offset:swizzle(BROADCAST,32,15)
	v_add_co_u32 v1, vcc_lo, v1, 0
	s_wait_alu 0xfffd
	v_add_co_ci_u32_e64 v2, null, v2, v4, vcc_lo
	ds_swizzle_b32 v4, v2 offset:swizzle(BROADCAST,32,15)
	s_wait_dscnt 0x1
	v_add_co_u32 v1, vcc_lo, v1, v5
	s_wait_alu 0xfffd
	v_add_co_ci_u32_e64 v2, null, 0, v2, vcc_lo
	ds_bpermute_b32 v1, v3, v1 offset:124
	s_wait_dscnt 0x1
	v_add_nc_u32_e32 v2, v4, v2
	ds_bpermute_b32 v2, v3, v2 offset:124
	v_mbcnt_lo_u32_b32 v3, -1, 0
	s_delay_alu instid0(VALU_DEP_1)
	v_cmpx_eq_u32_e32 0, v3
	s_cbranch_execz .LBB79_122
; %bb.121:
	v_lshrrev_b32_e32 v4, 2, v0
	s_delay_alu instid0(VALU_DEP_1)
	v_and_b32_e32 v4, 56, v4
	s_wait_dscnt 0x0
	ds_store_b64 v4, v[1:2] offset:192
.LBB79_122:
	s_wait_alu 0xfffe
	s_or_b32 exec_lo, exec_lo, s3
	s_delay_alu instid0(SALU_CYCLE_1)
	s_mov_b32 s3, exec_lo
	s_wait_dscnt 0x0
	s_barrier_signal -1
	s_barrier_wait -1
	global_inv scope:SCOPE_SE
	v_cmpx_gt_u32_e32 32, v0
	s_cbranch_execz .LBB79_124
; %bb.123:
	v_lshl_or_b32 v1, v3, 3, 0xc0
	v_and_b32_e32 v4, 7, v3
	ds_load_b64 v[1:2], v1
	v_cmp_ne_u32_e32 vcc_lo, 7, v4
	s_wait_alu 0xfffd
	v_add_co_ci_u32_e64 v5, null, 0, v3, vcc_lo
	v_cmp_gt_u32_e32 vcc_lo, 6, v4
	s_delay_alu instid0(VALU_DEP_2) | instskip(SKIP_2) | instid1(VALU_DEP_1)
	v_lshlrev_b32_e32 v5, 2, v5
	s_wait_alu 0xfffd
	v_cndmask_b32_e64 v4, 0, 2, vcc_lo
	v_add_lshl_u32 v4, v4, v3, 2
	v_lshlrev_b32_e32 v3, 2, v3
	s_wait_dscnt 0x0
	ds_bpermute_b32 v6, v5, v1
	ds_bpermute_b32 v5, v5, v2
	v_or_b32_e32 v3, 16, v3
	s_wait_dscnt 0x1
	v_add_co_u32 v1, vcc_lo, v1, v6
	s_wait_alu 0xfffd
	v_add_co_ci_u32_e64 v2, null, 0, v2, vcc_lo
	ds_bpermute_b32 v6, v4, v1
	v_add_co_u32 v1, vcc_lo, 0, v1
	s_wait_dscnt 0x1
	s_wait_alu 0xfffd
	v_add_co_ci_u32_e64 v2, null, v5, v2, vcc_lo
	ds_bpermute_b32 v4, v4, v2
	s_wait_dscnt 0x1
	v_add_co_u32 v1, vcc_lo, v1, v6
	s_wait_alu 0xfffd
	v_add_co_ci_u32_e64 v2, null, 0, v2, vcc_lo
	ds_bpermute_b32 v5, v3, v1
	v_add_co_u32 v1, vcc_lo, v1, 0
	s_wait_dscnt 0x1
	s_wait_alu 0xfffd
	v_add_co_ci_u32_e64 v2, null, v2, v4, vcc_lo
	ds_bpermute_b32 v3, v3, v2
	s_wait_dscnt 0x1
	v_add_co_u32 v1, vcc_lo, v1, v5
	s_wait_alu 0xfffd
	v_add_co_ci_u32_e64 v2, null, 0, v2, vcc_lo
	s_delay_alu instid0(VALU_DEP_2) | instskip(SKIP_2) | instid1(VALU_DEP_2)
	v_add_co_u32 v1, vcc_lo, v1, 0
	s_wait_dscnt 0x0
	s_wait_alu 0xfffd
	v_add_co_ci_u32_e64 v2, null, v2, v3, vcc_lo
.LBB79_124:
	s_wait_alu 0xfffe
	s_or_b32 exec_lo, exec_lo, s3
	s_branch .LBB79_155
.LBB79_125:
                                        ; implicit-def: $vgpr1_vgpr2
	s_cbranch_execz .LBB79_155
; %bb.126:
	v_mov_b32_e32 v1, 0
	s_sub_co_i32 s6, s16, s2
	s_mov_b32 s2, exec_lo
	s_delay_alu instid0(VALU_DEP_1)
	v_dual_mov_b32 v2, v1 :: v_dual_mov_b32 v3, v1
	v_dual_mov_b32 v4, v1 :: v_dual_mov_b32 v5, v1
	;; [unrolled: 1-line block ×3, first 2 shown]
	v_mov_b32_e32 v8, v1
	v_cmpx_gt_u32_e64 s6, v0
	s_cbranch_execz .LBB79_128
; %bb.127:
	v_dual_mov_b32 v3, v1 :: v_dual_lshlrev_b32 v2, 2, v0
	v_dual_mov_b32 v8, v1 :: v_dual_mov_b32 v9, v1
	v_dual_mov_b32 v4, v1 :: v_dual_mov_b32 v5, v1
	global_load_b32 v2, v2, s[4:5]
	v_dual_mov_b32 v6, v1 :: v_dual_mov_b32 v7, v1
	s_wait_loadcnt 0x0
	v_and_b32_e32 v2, 1, v2
	s_delay_alu instid0(VALU_DEP_1)
	v_mov_b32_e32 v1, v2
	v_mov_b32_e32 v2, v3
	;; [unrolled: 1-line block ×8, first 2 shown]
.LBB79_128:
	s_or_b32 exec_lo, exec_lo, s2
	v_or_b32_e32 v9, 0x100, v0
	s_delay_alu instid0(VALU_DEP_1)
	v_cmp_gt_u32_e32 vcc_lo, s6, v9
	s_and_saveexec_b32 s2, vcc_lo
	s_cbranch_execz .LBB79_130
; %bb.129:
	v_dual_mov_b32 v4, 0 :: v_dual_lshlrev_b32 v3, 2, v0
	global_load_b32 v3, v3, s[4:5] offset:1024
	s_wait_loadcnt 0x0
	v_and_b32_e32 v3, 1, v3
.LBB79_130:
	s_or_b32 exec_lo, exec_lo, s2
	v_or_b32_e32 v9, 0x200, v0
	s_delay_alu instid0(VALU_DEP_1)
	v_cmp_gt_u32_e64 s2, s6, v9
	s_and_saveexec_b32 s3, s2
	s_cbranch_execz .LBB79_132
; %bb.131:
	v_dual_mov_b32 v6, 0 :: v_dual_lshlrev_b32 v5, 2, v0
	global_load_b32 v5, v5, s[4:5] offset:2048
	s_wait_loadcnt 0x0
	v_and_b32_e32 v5, 1, v5
.LBB79_132:
	s_or_b32 exec_lo, exec_lo, s3
	v_or_b32_e32 v9, 0x300, v0
	s_delay_alu instid0(VALU_DEP_1)
	v_cmp_gt_u32_e64 s3, s6, v9
	s_and_saveexec_b32 s7, s3
	s_cbranch_execz .LBB79_134
; %bb.133:
	v_dual_mov_b32 v8, 0 :: v_dual_lshlrev_b32 v7, 2, v0
	global_load_b32 v7, v7, s[4:5] offset:3072
	s_wait_loadcnt 0x0
	v_and_b32_e32 v7, 1, v7
.LBB79_134:
	s_wait_alu 0xfffe
	s_or_b32 exec_lo, exec_lo, s7
	v_dual_cndmask_b32 v9, 0, v3 :: v_dual_cndmask_b32 v4, 0, v4
	v_mbcnt_lo_u32_b32 v3, -1, 0
	v_cndmask_b32_e64 v5, 0, v5, s2
	s_delay_alu instid0(VALU_DEP_3)
	v_add_co_u32 v1, vcc_lo, v9, v1
	s_wait_alu 0xfffd
	v_add_co_ci_u32_e64 v2, null, v4, v2, vcc_lo
	v_cmp_ne_u32_e32 vcc_lo, 31, v3
	v_cndmask_b32_e64 v4, 0, v6, s2
	v_cndmask_b32_e64 v6, 0, v7, s3
	s_min_u32 s2, s6, 0x100
	s_wait_alu 0xfffd
	v_add_co_ci_u32_e64 v7, null, 0, v3, vcc_lo
	v_add_co_u32 v1, vcc_lo, v1, v5
	s_wait_alu 0xfffd
	v_add_co_ci_u32_e64 v2, null, v2, v4, vcc_lo
	v_cndmask_b32_e64 v4, 0, v8, s3
	s_delay_alu instid0(VALU_DEP_3)
	v_add_co_u32 v1, vcc_lo, v1, v6
	v_lshlrev_b32_e32 v5, 2, v7
	v_add_nc_u32_e32 v6, 1, v3
	s_wait_alu 0xfffd
	v_add_co_ci_u32_e64 v2, null, v2, v4, vcc_lo
	v_and_b32_e32 v4, 0xe0, v0
	s_wait_alu 0xfffe
	s_delay_alu instid0(VALU_DEP_1) | instskip(NEXT) | instid1(VALU_DEP_1)
	v_sub_nc_u32_e64 v4, s2, v4 clamp
	v_cmp_lt_u32_e32 vcc_lo, v6, v4
	v_mov_b32_e32 v6, v1
	ds_bpermute_b32 v7, v5, v1
	ds_bpermute_b32 v5, v5, v2
	s_and_saveexec_b32 s3, vcc_lo
	s_cbranch_execz .LBB79_136
; %bb.135:
	s_wait_dscnt 0x1
	v_add_co_u32 v6, vcc_lo, v1, v7
	s_wait_alu 0xfffd
	v_add_co_ci_u32_e64 v2, null, 0, v2, vcc_lo
	s_delay_alu instid0(VALU_DEP_2) | instskip(SKIP_2) | instid1(VALU_DEP_2)
	v_add_co_u32 v1, vcc_lo, v6, 0
	s_wait_dscnt 0x0
	s_wait_alu 0xfffd
	v_add_co_ci_u32_e64 v2, null, v2, v5, vcc_lo
.LBB79_136:
	s_wait_alu 0xfffe
	s_or_b32 exec_lo, exec_lo, s3
	v_cmp_gt_u32_e32 vcc_lo, 30, v3
	v_add_nc_u32_e32 v8, 2, v3
	s_mov_b32 s3, exec_lo
	s_wait_dscnt 0x0
	s_wait_alu 0xfffd
	v_cndmask_b32_e64 v5, 0, 2, vcc_lo
	s_delay_alu instid0(VALU_DEP_1)
	v_add_lshl_u32 v5, v5, v3, 2
	ds_bpermute_b32 v7, v5, v6
	ds_bpermute_b32 v5, v5, v2
	v_cmpx_lt_u32_e64 v8, v4
	s_cbranch_execz .LBB79_138
; %bb.137:
	s_wait_dscnt 0x1
	v_add_co_u32 v6, vcc_lo, v1, v7
	s_wait_alu 0xfffd
	v_add_co_ci_u32_e64 v2, null, 0, v2, vcc_lo
	s_delay_alu instid0(VALU_DEP_2) | instskip(SKIP_2) | instid1(VALU_DEP_2)
	v_add_co_u32 v1, vcc_lo, 0, v6
	s_wait_dscnt 0x0
	s_wait_alu 0xfffd
	v_add_co_ci_u32_e64 v2, null, v5, v2, vcc_lo
.LBB79_138:
	s_wait_alu 0xfffe
	s_or_b32 exec_lo, exec_lo, s3
	v_cmp_gt_u32_e32 vcc_lo, 28, v3
	v_add_nc_u32_e32 v8, 4, v3
	s_mov_b32 s3, exec_lo
	s_wait_dscnt 0x0
	s_wait_alu 0xfffd
	v_cndmask_b32_e64 v5, 0, 4, vcc_lo
	s_delay_alu instid0(VALU_DEP_1)
	v_add_lshl_u32 v5, v5, v3, 2
	ds_bpermute_b32 v7, v5, v6
	ds_bpermute_b32 v5, v5, v2
	v_cmpx_lt_u32_e64 v8, v4
	s_cbranch_execz .LBB79_140
; %bb.139:
	s_wait_dscnt 0x1
	v_add_co_u32 v6, vcc_lo, v1, v7
	s_wait_alu 0xfffd
	v_add_co_ci_u32_e64 v2, null, 0, v2, vcc_lo
	s_delay_alu instid0(VALU_DEP_2) | instskip(SKIP_2) | instid1(VALU_DEP_2)
	v_add_co_u32 v1, vcc_lo, 0, v6
	s_wait_dscnt 0x0
	s_wait_alu 0xfffd
	v_add_co_ci_u32_e64 v2, null, v5, v2, vcc_lo
.LBB79_140:
	s_wait_alu 0xfffe
	s_or_b32 exec_lo, exec_lo, s3
	v_cmp_gt_u32_e32 vcc_lo, 24, v3
	v_add_nc_u32_e32 v8, 8, v3
	s_mov_b32 s3, exec_lo
	s_wait_dscnt 0x0
	s_wait_alu 0xfffd
	v_cndmask_b32_e64 v5, 0, 8, vcc_lo
	s_delay_alu instid0(VALU_DEP_1)
	v_add_lshl_u32 v5, v5, v3, 2
	ds_bpermute_b32 v7, v5, v6
	ds_bpermute_b32 v5, v5, v2
	v_cmpx_lt_u32_e64 v8, v4
	s_cbranch_execz .LBB79_142
; %bb.141:
	s_wait_dscnt 0x1
	v_add_co_u32 v6, vcc_lo, v1, v7
	s_wait_alu 0xfffd
	v_add_co_ci_u32_e64 v2, null, 0, v2, vcc_lo
	s_delay_alu instid0(VALU_DEP_2) | instskip(SKIP_2) | instid1(VALU_DEP_2)
	v_add_co_u32 v1, vcc_lo, 0, v6
	s_wait_dscnt 0x0
	s_wait_alu 0xfffd
	v_add_co_ci_u32_e64 v2, null, v5, v2, vcc_lo
.LBB79_142:
	s_wait_alu 0xfffe
	s_or_b32 exec_lo, exec_lo, s3
	s_wait_dscnt 0x0
	v_lshlrev_b32_e32 v5, 2, v3
	s_mov_b32 s3, exec_lo
	s_delay_alu instid0(VALU_DEP_1) | instskip(SKIP_3) | instid1(VALU_DEP_1)
	v_or_b32_e32 v8, 64, v5
	ds_bpermute_b32 v7, v8, v6
	ds_bpermute_b32 v6, v8, v2
	v_add_nc_u32_e32 v8, 16, v3
	v_cmpx_lt_u32_e64 v8, v4
	s_cbranch_execz .LBB79_144
; %bb.143:
	s_wait_dscnt 0x1
	v_add_co_u32 v1, vcc_lo, v1, v7
	s_wait_alu 0xfffd
	v_add_co_ci_u32_e64 v2, null, 0, v2, vcc_lo
	s_delay_alu instid0(VALU_DEP_2) | instskip(SKIP_2) | instid1(VALU_DEP_2)
	v_add_co_u32 v1, vcc_lo, v1, 0
	s_wait_dscnt 0x0
	s_wait_alu 0xfffd
	v_add_co_ci_u32_e64 v2, null, v2, v6, vcc_lo
.LBB79_144:
	s_wait_alu 0xfffe
	s_or_b32 exec_lo, exec_lo, s3
	s_delay_alu instid0(SALU_CYCLE_1)
	s_mov_b32 s3, exec_lo
	v_cmpx_eq_u32_e32 0, v3
; %bb.145:
	v_lshrrev_b32_e32 v4, 2, v0
	s_delay_alu instid0(VALU_DEP_1)
	v_and_b32_e32 v4, 56, v4
	ds_store_b64 v4, v[1:2] offset:320
; %bb.146:
	s_wait_alu 0xfffe
	s_or_b32 exec_lo, exec_lo, s3
	s_delay_alu instid0(SALU_CYCLE_1)
	s_mov_b32 s3, exec_lo
	s_wait_loadcnt_dscnt 0x0
	s_barrier_signal -1
	s_barrier_wait -1
	global_inv scope:SCOPE_SE
	v_cmpx_gt_u32_e32 8, v0
	s_cbranch_execz .LBB79_154
; %bb.147:
	v_lshlrev_b32_e32 v1, 3, v3
	v_and_b32_e32 v4, 7, v3
	s_add_co_i32 s2, s2, 31
	s_wait_alu 0xfffe
	s_lshr_b32 s2, s2, 5
	ds_load_b64 v[1:2], v1 offset:320
	v_cmp_ne_u32_e32 vcc_lo, 7, v4
	s_wait_alu 0xfffd
	v_add_co_ci_u32_e64 v6, null, 0, v3, vcc_lo
	s_delay_alu instid0(VALU_DEP_1)
	v_lshlrev_b32_e32 v6, 2, v6
	s_wait_dscnt 0x0
	ds_bpermute_b32 v8, v6, v1
	ds_bpermute_b32 v7, v6, v2
	v_add_nc_u32_e32 v6, 1, v4
	s_wait_alu 0xfffe
	s_delay_alu instid0(VALU_DEP_1)
	v_cmp_gt_u32_e32 vcc_lo, s2, v6
	v_mov_b32_e32 v6, v1
	s_and_saveexec_b32 s4, vcc_lo
	s_cbranch_execz .LBB79_149
; %bb.148:
	s_wait_dscnt 0x1
	v_add_co_u32 v6, vcc_lo, v1, v8
	s_wait_alu 0xfffd
	v_add_co_ci_u32_e64 v2, null, 0, v2, vcc_lo
	s_delay_alu instid0(VALU_DEP_2) | instskip(SKIP_2) | instid1(VALU_DEP_2)
	v_add_co_u32 v1, vcc_lo, 0, v6
	s_wait_dscnt 0x0
	s_wait_alu 0xfffd
	v_add_co_ci_u32_e64 v2, null, v7, v2, vcc_lo
.LBB79_149:
	s_or_b32 exec_lo, exec_lo, s4
	v_cmp_gt_u32_e32 vcc_lo, 6, v4
	s_wait_dscnt 0x1
	v_add_nc_u32_e32 v8, 2, v4
	s_mov_b32 s4, exec_lo
	s_wait_dscnt 0x0
	s_wait_alu 0xfffd
	v_cndmask_b32_e64 v7, 0, 2, vcc_lo
	s_delay_alu instid0(VALU_DEP_1)
	v_add_lshl_u32 v3, v7, v3, 2
	ds_bpermute_b32 v7, v3, v6
	ds_bpermute_b32 v3, v3, v2
	v_cmpx_gt_u32_e64 s2, v8
	s_cbranch_execz .LBB79_151
; %bb.150:
	s_wait_dscnt 0x1
	v_add_co_u32 v6, vcc_lo, v1, v7
	s_wait_alu 0xfffd
	v_add_co_ci_u32_e64 v2, null, 0, v2, vcc_lo
	s_delay_alu instid0(VALU_DEP_2) | instskip(SKIP_2) | instid1(VALU_DEP_2)
	v_add_co_u32 v1, vcc_lo, 0, v6
	s_wait_dscnt 0x0
	s_wait_alu 0xfffd
	v_add_co_ci_u32_e64 v2, null, v3, v2, vcc_lo
.LBB79_151:
	s_or_b32 exec_lo, exec_lo, s4
	s_wait_dscnt 0x0
	v_or_b32_e32 v3, 16, v5
	v_add_nc_u32_e32 v4, 4, v4
	ds_bpermute_b32 v5, v3, v6
	ds_bpermute_b32 v3, v3, v2
	v_cmp_gt_u32_e32 vcc_lo, s2, v4
	s_and_saveexec_b32 s2, vcc_lo
	s_cbranch_execz .LBB79_153
; %bb.152:
	s_wait_dscnt 0x1
	v_add_co_u32 v1, vcc_lo, v1, v5
	s_wait_alu 0xfffd
	v_add_co_ci_u32_e64 v2, null, 0, v2, vcc_lo
	s_delay_alu instid0(VALU_DEP_2) | instskip(SKIP_2) | instid1(VALU_DEP_2)
	v_add_co_u32 v1, vcc_lo, v1, 0
	s_wait_dscnt 0x0
	s_wait_alu 0xfffd
	v_add_co_ci_u32_e64 v2, null, v2, v3, vcc_lo
.LBB79_153:
	s_wait_alu 0xfffe
	s_or_b32 exec_lo, exec_lo, s2
.LBB79_154:
	s_wait_alu 0xfffe
	s_or_b32 exec_lo, exec_lo, s3
.LBB79_155:
	v_cmp_eq_u32_e64 s2, 0, v0
	s_wait_dscnt 0x0
	v_dual_mov_b32 v3, s20 :: v_dual_mov_b32 v4, s21
.LBB79_156:
	s_branch .LBB79_226
.LBB79_157:
	s_cmp_gt_i32 s26, 1
	s_cbranch_scc0 .LBB79_165
; %bb.158:
	s_cmp_eq_u32 s26, 2
                                        ; implicit-def: $vgpr1_vgpr2
                                        ; implicit-def: $vgpr3_vgpr4
	s_cbranch_scc0 .LBB79_166
; %bb.159:
	s_mov_b32 s21, 0
	s_lshl_b32 s4, s20, 9
	s_mov_b32 s5, s21
	s_lshr_b64 s[2:3], s[16:17], 9
	s_lshl_b64 s[6:7], s[4:5], 2
	s_cmp_lg_u64 s[2:3], s[20:21]
	s_add_nc_u64 s[2:3], s[22:23], s[6:7]
	s_cbranch_scc0 .LBB79_167
; %bb.160:
	v_lshlrev_b32_e32 v1, 2, v0
	s_clause 0x1
	global_load_b32 v2, v1, s[2:3]
	global_load_b32 v1, v1, s[2:3] offset:1024
	s_wait_loadcnt 0x1
	v_dual_mov_b32 v3, 0 :: v_dual_and_b32 v2, 1, v2
	s_wait_loadcnt 0x0
	v_and_b32_e32 v1, 1, v1
	s_delay_alu instid0(VALU_DEP_1) | instskip(NEXT) | instid1(VALU_DEP_1)
	v_add_nc_u32_e32 v1, v1, v2
	v_mov_b32_dpp v2, v1 quad_perm:[1,0,3,2] row_mask:0xf bank_mask:0xf
	s_delay_alu instid0(VALU_DEP_1) | instskip(SKIP_2) | instid1(VALU_DEP_3)
	v_add_co_u32 v1, s5, v1, v2
	v_mov_b32_dpp v2, v3 quad_perm:[1,0,3,2] row_mask:0xf bank_mask:0xf
	v_add_co_ci_u32_e64 v4, null, 0, 0, s5
	v_mov_b32_dpp v5, v1 quad_perm:[2,3,0,1] row_mask:0xf bank_mask:0xf
	v_add_co_u32 v1, vcc_lo, 0, v1
	s_delay_alu instid0(VALU_DEP_1)
	v_add_co_ci_u32_e64 v2, null, v2, v4, vcc_lo
	s_mov_b32 s5, exec_lo
	v_add_co_u32 v1, vcc_lo, v1, v5
	v_mov_b32_dpp v4, v2 quad_perm:[2,3,0,1] row_mask:0xf bank_mask:0xf
	s_wait_alu 0xfffd
	v_add_co_ci_u32_e64 v2, null, 0, v2, vcc_lo
	s_delay_alu instid0(VALU_DEP_3) | instskip(SKIP_2) | instid1(VALU_DEP_3)
	v_mov_b32_dpp v5, v1 row_ror:4 row_mask:0xf bank_mask:0xf
	v_add_co_u32 v1, vcc_lo, v1, 0
	s_wait_alu 0xfffd
	v_add_co_ci_u32_e64 v2, null, v2, v4, vcc_lo
	s_delay_alu instid0(VALU_DEP_2) | instskip(NEXT) | instid1(VALU_DEP_2)
	v_add_co_u32 v1, vcc_lo, v1, v5
	v_mov_b32_dpp v4, v2 row_ror:4 row_mask:0xf bank_mask:0xf
	s_wait_alu 0xfffd
	v_add_co_ci_u32_e64 v2, null, 0, v2, vcc_lo
	s_delay_alu instid0(VALU_DEP_3) | instskip(SKIP_2) | instid1(VALU_DEP_3)
	v_mov_b32_dpp v5, v1 row_ror:8 row_mask:0xf bank_mask:0xf
	v_add_co_u32 v1, vcc_lo, v1, 0
	s_wait_alu 0xfffd
	v_add_co_ci_u32_e64 v2, null, v2, v4, vcc_lo
	s_delay_alu instid0(VALU_DEP_2) | instskip(NEXT) | instid1(VALU_DEP_2)
	v_add_co_u32 v1, vcc_lo, v1, v5
	v_mov_b32_dpp v4, v2 row_ror:8 row_mask:0xf bank_mask:0xf
	s_wait_alu 0xfffd
	v_add_co_ci_u32_e64 v2, null, 0, v2, vcc_lo
	ds_swizzle_b32 v5, v1 offset:swizzle(BROADCAST,32,15)
	v_add_co_u32 v1, vcc_lo, v1, 0
	s_wait_alu 0xfffd
	v_add_co_ci_u32_e64 v2, null, v2, v4, vcc_lo
	ds_swizzle_b32 v4, v2 offset:swizzle(BROADCAST,32,15)
	s_wait_dscnt 0x1
	v_add_co_u32 v1, vcc_lo, v1, v5
	s_wait_alu 0xfffd
	v_add_co_ci_u32_e64 v2, null, 0, v2, vcc_lo
	ds_bpermute_b32 v1, v3, v1 offset:124
	s_wait_dscnt 0x1
	v_add_nc_u32_e32 v2, v4, v2
	ds_bpermute_b32 v2, v3, v2 offset:124
	v_mbcnt_lo_u32_b32 v3, -1, 0
	s_delay_alu instid0(VALU_DEP_1)
	v_cmpx_eq_u32_e32 0, v3
	s_cbranch_execz .LBB79_162
; %bb.161:
	v_lshrrev_b32_e32 v4, 2, v0
	s_delay_alu instid0(VALU_DEP_1)
	v_and_b32_e32 v4, 56, v4
	s_wait_dscnt 0x0
	ds_store_b64 v4, v[1:2] offset:128
.LBB79_162:
	s_wait_alu 0xfffe
	s_or_b32 exec_lo, exec_lo, s5
	s_delay_alu instid0(SALU_CYCLE_1)
	s_mov_b32 s5, exec_lo
	s_wait_dscnt 0x0
	s_barrier_signal -1
	s_barrier_wait -1
	global_inv scope:SCOPE_SE
	v_cmpx_gt_u32_e32 32, v0
	s_cbranch_execz .LBB79_164
; %bb.163:
	v_and_b32_e32 v4, 7, v3
	s_delay_alu instid0(VALU_DEP_1)
	v_lshlrev_b32_e32 v1, 3, v4
	v_cmp_ne_u32_e32 vcc_lo, 7, v4
	ds_load_b64 v[1:2], v1 offset:128
	s_wait_alu 0xfffd
	v_add_co_ci_u32_e64 v5, null, 0, v3, vcc_lo
	v_cmp_gt_u32_e32 vcc_lo, 6, v4
	s_delay_alu instid0(VALU_DEP_2) | instskip(SKIP_2) | instid1(VALU_DEP_1)
	v_lshlrev_b32_e32 v5, 2, v5
	s_wait_alu 0xfffd
	v_cndmask_b32_e64 v4, 0, 2, vcc_lo
	v_add_lshl_u32 v4, v4, v3, 2
	v_lshlrev_b32_e32 v3, 2, v3
	s_delay_alu instid0(VALU_DEP_1)
	v_or_b32_e32 v3, 16, v3
	s_wait_dscnt 0x0
	ds_bpermute_b32 v6, v5, v1
	ds_bpermute_b32 v5, v5, v2
	s_wait_dscnt 0x1
	v_add_co_u32 v1, vcc_lo, v1, v6
	s_wait_alu 0xfffd
	v_add_co_ci_u32_e64 v2, null, 0, v2, vcc_lo
	ds_bpermute_b32 v6, v4, v1
	v_add_co_u32 v1, vcc_lo, 0, v1
	s_wait_dscnt 0x1
	s_wait_alu 0xfffd
	v_add_co_ci_u32_e64 v2, null, v5, v2, vcc_lo
	ds_bpermute_b32 v4, v4, v2
	s_wait_dscnt 0x1
	v_add_co_u32 v1, vcc_lo, v1, v6
	s_wait_alu 0xfffd
	v_add_co_ci_u32_e64 v2, null, 0, v2, vcc_lo
	ds_bpermute_b32 v5, v3, v1
	v_add_co_u32 v1, vcc_lo, v1, 0
	s_wait_dscnt 0x1
	s_wait_alu 0xfffd
	v_add_co_ci_u32_e64 v2, null, v2, v4, vcc_lo
	ds_bpermute_b32 v3, v3, v2
	s_wait_dscnt 0x1
	v_add_co_u32 v1, vcc_lo, v1, v5
	s_wait_alu 0xfffd
	v_add_co_ci_u32_e64 v2, null, 0, v2, vcc_lo
	s_delay_alu instid0(VALU_DEP_2) | instskip(SKIP_2) | instid1(VALU_DEP_2)
	v_add_co_u32 v1, vcc_lo, v1, 0
	s_wait_dscnt 0x0
	s_wait_alu 0xfffd
	v_add_co_ci_u32_e64 v2, null, v2, v3, vcc_lo
.LBB79_164:
	s_wait_alu 0xfffe
	s_or_b32 exec_lo, exec_lo, s5
	s_branch .LBB79_193
.LBB79_165:
                                        ; implicit-def: $vgpr1_vgpr2
                                        ; implicit-def: $vgpr3_vgpr4
	s_cbranch_execnz .LBB79_194
	s_branch .LBB79_226
.LBB79_166:
	s_branch .LBB79_226
.LBB79_167:
                                        ; implicit-def: $vgpr1_vgpr2
	s_cbranch_execz .LBB79_193
; %bb.168:
	v_mov_b32_e32 v1, 0
	s_sub_co_i32 s4, s16, s4
	s_mov_b32 s5, exec_lo
	s_delay_alu instid0(VALU_DEP_1)
	v_dual_mov_b32 v2, v1 :: v_dual_mov_b32 v3, v1
	v_mov_b32_e32 v4, v1
	v_cmpx_gt_u32_e64 s4, v0
	s_cbranch_execz .LBB79_170
; %bb.169:
	v_dual_mov_b32 v3, v1 :: v_dual_lshlrev_b32 v2, 2, v0
	v_dual_mov_b32 v4, v1 :: v_dual_mov_b32 v5, v1
	global_load_b32 v2, v2, s[2:3]
	s_wait_loadcnt 0x0
	v_and_b32_e32 v2, 1, v2
	s_delay_alu instid0(VALU_DEP_1)
	v_mov_b32_e32 v1, v2
	v_mov_b32_e32 v2, v3
	;; [unrolled: 1-line block ×4, first 2 shown]
.LBB79_170:
	s_or_b32 exec_lo, exec_lo, s5
	v_or_b32_e32 v5, 0x100, v0
	s_delay_alu instid0(VALU_DEP_1)
	v_cmp_gt_u32_e32 vcc_lo, s4, v5
	s_and_saveexec_b32 s5, vcc_lo
	s_cbranch_execz .LBB79_172
; %bb.171:
	v_dual_mov_b32 v4, 0 :: v_dual_lshlrev_b32 v3, 2, v0
	global_load_b32 v3, v3, s[2:3] offset:1024
	s_wait_loadcnt 0x0
	v_and_b32_e32 v3, 1, v3
.LBB79_172:
	s_wait_alu 0xfffe
	s_or_b32 exec_lo, exec_lo, s5
	v_mbcnt_lo_u32_b32 v5, -1, 0
	s_delay_alu instid0(VALU_DEP_2) | instskip(NEXT) | instid1(VALU_DEP_2)
	v_dual_cndmask_b32 v3, 0, v3 :: v_dual_cndmask_b32 v4, 0, v4
	v_cmp_ne_u32_e64 s2, 31, v5
	s_delay_alu instid0(VALU_DEP_2) | instskip(SKIP_1) | instid1(VALU_DEP_3)
	v_add_co_u32 v1, vcc_lo, v3, v1
	s_wait_alu 0xfffd
	v_add_co_ci_u32_e64 v2, null, v4, v2, vcc_lo
	s_delay_alu instid0(VALU_DEP_3) | instskip(SKIP_2) | instid1(VALU_DEP_2)
	v_add_co_ci_u32_e64 v6, null, 0, v5, s2
	v_and_b32_e32 v3, 0xe0, v0
	s_min_u32 s2, s4, 0x100
	v_lshlrev_b32_e32 v6, 2, v6
	s_wait_alu 0xfffe
	s_delay_alu instid0(VALU_DEP_2) | instskip(SKIP_3) | instid1(VALU_DEP_1)
	v_sub_nc_u32_e64 v3, s2, v3 clamp
	ds_bpermute_b32 v7, v6, v1
	ds_bpermute_b32 v4, v6, v2
	v_add_nc_u32_e32 v6, 1, v5
	v_cmp_lt_u32_e32 vcc_lo, v6, v3
	v_mov_b32_e32 v6, v1
	s_and_saveexec_b32 s3, vcc_lo
	s_cbranch_execz .LBB79_174
; %bb.173:
	s_wait_dscnt 0x1
	v_add_co_u32 v6, vcc_lo, v1, v7
	s_wait_alu 0xfffd
	v_add_co_ci_u32_e64 v2, null, 0, v2, vcc_lo
	s_delay_alu instid0(VALU_DEP_2) | instskip(SKIP_2) | instid1(VALU_DEP_2)
	v_add_co_u32 v1, vcc_lo, 0, v6
	s_wait_dscnt 0x0
	s_wait_alu 0xfffd
	v_add_co_ci_u32_e64 v2, null, v4, v2, vcc_lo
.LBB79_174:
	s_wait_alu 0xfffe
	s_or_b32 exec_lo, exec_lo, s3
	v_cmp_gt_u32_e32 vcc_lo, 30, v5
	v_add_nc_u32_e32 v8, 2, v5
	s_mov_b32 s3, exec_lo
	s_wait_dscnt 0x0
	s_wait_alu 0xfffd
	v_cndmask_b32_e64 v4, 0, 2, vcc_lo
	s_delay_alu instid0(VALU_DEP_1)
	v_add_lshl_u32 v4, v4, v5, 2
	ds_bpermute_b32 v7, v4, v6
	ds_bpermute_b32 v4, v4, v2
	v_cmpx_lt_u32_e64 v8, v3
	s_cbranch_execz .LBB79_176
; %bb.175:
	s_wait_dscnt 0x1
	v_add_co_u32 v6, vcc_lo, v1, v7
	s_wait_alu 0xfffd
	v_add_co_ci_u32_e64 v2, null, 0, v2, vcc_lo
	s_delay_alu instid0(VALU_DEP_2) | instskip(SKIP_2) | instid1(VALU_DEP_2)
	v_add_co_u32 v1, vcc_lo, 0, v6
	s_wait_dscnt 0x0
	s_wait_alu 0xfffd
	v_add_co_ci_u32_e64 v2, null, v4, v2, vcc_lo
.LBB79_176:
	s_wait_alu 0xfffe
	s_or_b32 exec_lo, exec_lo, s3
	v_cmp_gt_u32_e32 vcc_lo, 28, v5
	v_add_nc_u32_e32 v8, 4, v5
	s_mov_b32 s3, exec_lo
	s_wait_dscnt 0x0
	s_wait_alu 0xfffd
	v_cndmask_b32_e64 v4, 0, 4, vcc_lo
	s_delay_alu instid0(VALU_DEP_1)
	v_add_lshl_u32 v4, v4, v5, 2
	ds_bpermute_b32 v7, v4, v6
	ds_bpermute_b32 v4, v4, v2
	v_cmpx_lt_u32_e64 v8, v3
	;; [unrolled: 25-line block ×3, first 2 shown]
	s_cbranch_execz .LBB79_180
; %bb.179:
	s_wait_dscnt 0x1
	v_add_co_u32 v6, vcc_lo, v1, v7
	s_wait_alu 0xfffd
	v_add_co_ci_u32_e64 v2, null, 0, v2, vcc_lo
	s_delay_alu instid0(VALU_DEP_2) | instskip(SKIP_2) | instid1(VALU_DEP_2)
	v_add_co_u32 v1, vcc_lo, 0, v6
	s_wait_dscnt 0x0
	s_wait_alu 0xfffd
	v_add_co_ci_u32_e64 v2, null, v4, v2, vcc_lo
.LBB79_180:
	s_wait_alu 0xfffe
	s_or_b32 exec_lo, exec_lo, s3
	s_wait_dscnt 0x0
	v_lshlrev_b32_e32 v4, 2, v5
	s_mov_b32 s3, exec_lo
	s_delay_alu instid0(VALU_DEP_1) | instskip(SKIP_3) | instid1(VALU_DEP_1)
	v_or_b32_e32 v8, 64, v4
	ds_bpermute_b32 v7, v8, v6
	ds_bpermute_b32 v6, v8, v2
	v_add_nc_u32_e32 v8, 16, v5
	v_cmpx_lt_u32_e64 v8, v3
	s_cbranch_execz .LBB79_182
; %bb.181:
	s_wait_dscnt 0x1
	v_add_co_u32 v1, vcc_lo, v1, v7
	s_wait_alu 0xfffd
	v_add_co_ci_u32_e64 v2, null, 0, v2, vcc_lo
	s_delay_alu instid0(VALU_DEP_2) | instskip(SKIP_2) | instid1(VALU_DEP_2)
	v_add_co_u32 v1, vcc_lo, v1, 0
	s_wait_dscnt 0x0
	s_wait_alu 0xfffd
	v_add_co_ci_u32_e64 v2, null, v2, v6, vcc_lo
.LBB79_182:
	s_wait_alu 0xfffe
	s_or_b32 exec_lo, exec_lo, s3
	s_delay_alu instid0(SALU_CYCLE_1)
	s_mov_b32 s3, exec_lo
	v_cmpx_eq_u32_e32 0, v5
; %bb.183:
	v_lshrrev_b32_e32 v3, 2, v0
	s_delay_alu instid0(VALU_DEP_1)
	v_and_b32_e32 v3, 56, v3
	ds_store_b64 v3, v[1:2] offset:320
; %bb.184:
	s_wait_alu 0xfffe
	s_or_b32 exec_lo, exec_lo, s3
	s_delay_alu instid0(SALU_CYCLE_1)
	s_mov_b32 s3, exec_lo
	s_wait_loadcnt_dscnt 0x0
	s_barrier_signal -1
	s_barrier_wait -1
	global_inv scope:SCOPE_SE
	v_cmpx_gt_u32_e32 8, v0
	s_cbranch_execz .LBB79_192
; %bb.185:
	v_lshlrev_b32_e32 v1, 3, v5
	s_add_co_i32 s2, s2, 31
	s_wait_alu 0xfffe
	s_lshr_b32 s2, s2, 5
	ds_load_b64 v[1:2], v1 offset:320
	v_and_b32_e32 v3, 7, v5
	s_delay_alu instid0(VALU_DEP_1) | instskip(SKIP_2) | instid1(VALU_DEP_1)
	v_cmp_ne_u32_e32 vcc_lo, 7, v3
	s_wait_alu 0xfffd
	v_add_co_ci_u32_e64 v6, null, 0, v5, vcc_lo
	v_lshlrev_b32_e32 v6, 2, v6
	s_wait_dscnt 0x0
	ds_bpermute_b32 v8, v6, v1
	ds_bpermute_b32 v7, v6, v2
	v_add_nc_u32_e32 v6, 1, v3
	s_wait_alu 0xfffe
	s_delay_alu instid0(VALU_DEP_1)
	v_cmp_gt_u32_e32 vcc_lo, s2, v6
	v_mov_b32_e32 v6, v1
	s_and_saveexec_b32 s4, vcc_lo
	s_cbranch_execz .LBB79_187
; %bb.186:
	s_wait_dscnt 0x1
	v_add_co_u32 v6, vcc_lo, v1, v8
	s_wait_alu 0xfffd
	v_add_co_ci_u32_e64 v2, null, 0, v2, vcc_lo
	s_delay_alu instid0(VALU_DEP_2) | instskip(SKIP_2) | instid1(VALU_DEP_2)
	v_add_co_u32 v1, vcc_lo, 0, v6
	s_wait_dscnt 0x0
	s_wait_alu 0xfffd
	v_add_co_ci_u32_e64 v2, null, v7, v2, vcc_lo
.LBB79_187:
	s_wait_alu 0xfffe
	s_or_b32 exec_lo, exec_lo, s4
	v_cmp_gt_u32_e32 vcc_lo, 6, v3
	s_wait_dscnt 0x1
	v_add_nc_u32_e32 v8, 2, v3
	s_mov_b32 s4, exec_lo
	s_wait_dscnt 0x0
	s_wait_alu 0xfffd
	v_cndmask_b32_e64 v7, 0, 2, vcc_lo
	s_delay_alu instid0(VALU_DEP_1)
	v_add_lshl_u32 v5, v7, v5, 2
	ds_bpermute_b32 v7, v5, v6
	ds_bpermute_b32 v5, v5, v2
	v_cmpx_gt_u32_e64 s2, v8
	s_cbranch_execz .LBB79_189
; %bb.188:
	s_wait_dscnt 0x1
	v_add_co_u32 v6, vcc_lo, v1, v7
	s_wait_alu 0xfffd
	v_add_co_ci_u32_e64 v2, null, 0, v2, vcc_lo
	s_delay_alu instid0(VALU_DEP_2) | instskip(SKIP_2) | instid1(VALU_DEP_2)
	v_add_co_u32 v1, vcc_lo, 0, v6
	s_wait_dscnt 0x0
	s_wait_alu 0xfffd
	v_add_co_ci_u32_e64 v2, null, v5, v2, vcc_lo
.LBB79_189:
	s_wait_alu 0xfffe
	s_or_b32 exec_lo, exec_lo, s4
	v_or_b32_e32 v4, 16, v4
	v_add_nc_u32_e32 v3, 4, v3
	s_wait_dscnt 0x0
	ds_bpermute_b32 v5, v4, v6
	ds_bpermute_b32 v4, v4, v2
	v_cmp_gt_u32_e32 vcc_lo, s2, v3
	s_and_saveexec_b32 s2, vcc_lo
	s_cbranch_execz .LBB79_191
; %bb.190:
	s_wait_dscnt 0x1
	v_add_co_u32 v1, vcc_lo, v1, v5
	s_wait_alu 0xfffd
	v_add_co_ci_u32_e64 v2, null, 0, v2, vcc_lo
	s_delay_alu instid0(VALU_DEP_2) | instskip(SKIP_2) | instid1(VALU_DEP_2)
	v_add_co_u32 v1, vcc_lo, v1, 0
	s_wait_dscnt 0x0
	s_wait_alu 0xfffd
	v_add_co_ci_u32_e64 v2, null, v2, v4, vcc_lo
.LBB79_191:
	s_wait_alu 0xfffe
	s_or_b32 exec_lo, exec_lo, s2
.LBB79_192:
	s_wait_alu 0xfffe
	s_or_b32 exec_lo, exec_lo, s3
.LBB79_193:
	v_cmp_eq_u32_e64 s2, 0, v0
	s_wait_dscnt 0x0
	v_dual_mov_b32 v3, s20 :: v_dual_mov_b32 v4, s21
	s_branch .LBB79_226
.LBB79_194:
	s_cmp_eq_u32 s26, 1
                                        ; implicit-def: $vgpr1_vgpr2
                                        ; implicit-def: $vgpr3_vgpr4
	s_cbranch_scc0 .LBB79_226
; %bb.195:
	s_mov_b32 s3, 0
	v_mbcnt_lo_u32_b32 v3, -1, 0
	s_lshr_b64 s[4:5], s[16:17], 8
	s_mov_b32 s21, s3
	s_lshl_b32 s2, s20, 8
	s_cmp_lg_u64 s[4:5], s[20:21]
	s_cbranch_scc0 .LBB79_201
; %bb.196:
	v_dual_mov_b32 v4, 0 :: v_dual_lshlrev_b32 v1, 2, v0
	s_lshl_b64 s[4:5], s[2:3], 2
	s_delay_alu instid0(SALU_CYCLE_1) | instskip(SKIP_3) | instid1(VALU_DEP_1)
	s_add_nc_u64 s[4:5], s[22:23], s[4:5]
	global_load_b32 v1, v1, s[4:5]
	s_wait_loadcnt 0x0
	v_and_b32_e32 v1, 1, v1
	v_mov_b32_dpp v2, v1 quad_perm:[1,0,3,2] row_mask:0xf bank_mask:0xf
	s_delay_alu instid0(VALU_DEP_1) | instskip(SKIP_2) | instid1(VALU_DEP_3)
	v_add_co_u32 v1, s4, v2, v1
	v_mov_b32_dpp v2, v4 quad_perm:[1,0,3,2] row_mask:0xf bank_mask:0xf
	v_add_co_ci_u32_e64 v5, null, 0, 0, s4
	v_mov_b32_dpp v6, v1 quad_perm:[2,3,0,1] row_mask:0xf bank_mask:0xf
	v_add_co_u32 v1, vcc_lo, 0, v1
	s_delay_alu instid0(VALU_DEP_1)
	v_add_co_ci_u32_e64 v2, null, v2, v5, vcc_lo
	s_mov_b32 s4, exec_lo
	v_add_co_u32 v1, vcc_lo, v1, v6
	v_mov_b32_dpp v5, v2 quad_perm:[2,3,0,1] row_mask:0xf bank_mask:0xf
	s_wait_alu 0xfffd
	v_add_co_ci_u32_e64 v2, null, 0, v2, vcc_lo
	s_delay_alu instid0(VALU_DEP_3) | instskip(SKIP_2) | instid1(VALU_DEP_3)
	v_mov_b32_dpp v6, v1 row_ror:4 row_mask:0xf bank_mask:0xf
	v_add_co_u32 v1, vcc_lo, v1, 0
	s_wait_alu 0xfffd
	v_add_co_ci_u32_e64 v2, null, v2, v5, vcc_lo
	s_delay_alu instid0(VALU_DEP_2) | instskip(NEXT) | instid1(VALU_DEP_2)
	v_add_co_u32 v1, vcc_lo, v1, v6
	v_mov_b32_dpp v5, v2 row_ror:4 row_mask:0xf bank_mask:0xf
	s_wait_alu 0xfffd
	v_add_co_ci_u32_e64 v2, null, 0, v2, vcc_lo
	s_delay_alu instid0(VALU_DEP_3) | instskip(SKIP_2) | instid1(VALU_DEP_3)
	v_mov_b32_dpp v6, v1 row_ror:8 row_mask:0xf bank_mask:0xf
	v_add_co_u32 v1, vcc_lo, v1, 0
	s_wait_alu 0xfffd
	v_add_co_ci_u32_e64 v2, null, v2, v5, vcc_lo
	s_delay_alu instid0(VALU_DEP_2) | instskip(NEXT) | instid1(VALU_DEP_2)
	v_add_co_u32 v1, vcc_lo, v1, v6
	v_mov_b32_dpp v5, v2 row_ror:8 row_mask:0xf bank_mask:0xf
	s_wait_alu 0xfffd
	v_add_co_ci_u32_e64 v2, null, 0, v2, vcc_lo
	ds_swizzle_b32 v6, v1 offset:swizzle(BROADCAST,32,15)
	v_add_co_u32 v1, vcc_lo, v1, 0
	s_wait_alu 0xfffd
	v_add_co_ci_u32_e64 v2, null, v2, v5, vcc_lo
	ds_swizzle_b32 v5, v2 offset:swizzle(BROADCAST,32,15)
	s_wait_dscnt 0x1
	v_add_co_u32 v1, vcc_lo, v1, v6
	s_wait_alu 0xfffd
	v_add_co_ci_u32_e64 v2, null, 0, v2, vcc_lo
	ds_bpermute_b32 v1, v4, v1 offset:124
	s_wait_dscnt 0x1
	v_add_nc_u32_e32 v2, v5, v2
	ds_bpermute_b32 v2, v4, v2 offset:124
	v_cmpx_eq_u32_e32 0, v3
	s_cbranch_execz .LBB79_198
; %bb.197:
	v_lshrrev_b32_e32 v4, 2, v0
	s_delay_alu instid0(VALU_DEP_1)
	v_and_b32_e32 v4, 56, v4
	s_wait_dscnt 0x0
	ds_store_b64 v4, v[1:2] offset:64
.LBB79_198:
	s_wait_alu 0xfffe
	s_or_b32 exec_lo, exec_lo, s4
	s_delay_alu instid0(SALU_CYCLE_1)
	s_mov_b32 s4, exec_lo
	s_wait_dscnt 0x0
	s_barrier_signal -1
	s_barrier_wait -1
	global_inv scope:SCOPE_SE
	v_cmpx_gt_u32_e32 32, v0
	s_cbranch_execz .LBB79_200
; %bb.199:
	v_and_b32_e32 v4, 7, v3
	s_delay_alu instid0(VALU_DEP_1)
	v_lshlrev_b32_e32 v1, 3, v4
	v_cmp_ne_u32_e32 vcc_lo, 7, v4
	ds_load_b64 v[1:2], v1 offset:64
	s_wait_alu 0xfffd
	v_add_co_ci_u32_e64 v5, null, 0, v3, vcc_lo
	v_cmp_gt_u32_e32 vcc_lo, 6, v4
	s_delay_alu instid0(VALU_DEP_2) | instskip(SKIP_2) | instid1(VALU_DEP_1)
	v_lshlrev_b32_e32 v5, 2, v5
	s_wait_alu 0xfffd
	v_cndmask_b32_e64 v4, 0, 2, vcc_lo
	v_add_lshl_u32 v4, v4, v3, 2
	s_wait_dscnt 0x0
	ds_bpermute_b32 v6, v5, v1
	ds_bpermute_b32 v5, v5, v2
	s_wait_dscnt 0x1
	v_add_co_u32 v1, vcc_lo, v1, v6
	s_wait_alu 0xfffd
	v_add_co_ci_u32_e64 v2, null, 0, v2, vcc_lo
	ds_bpermute_b32 v6, v4, v1
	v_add_co_u32 v1, vcc_lo, 0, v1
	s_wait_dscnt 0x1
	s_wait_alu 0xfffd
	v_add_co_ci_u32_e64 v2, null, v5, v2, vcc_lo
	v_lshlrev_b32_e32 v5, 2, v3
	ds_bpermute_b32 v4, v4, v2
	v_or_b32_e32 v5, 16, v5
	s_wait_dscnt 0x1
	v_add_co_u32 v1, vcc_lo, v1, v6
	s_wait_alu 0xfffd
	v_add_co_ci_u32_e64 v2, null, 0, v2, vcc_lo
	ds_bpermute_b32 v6, v5, v1
	v_add_co_u32 v1, vcc_lo, v1, 0
	s_wait_dscnt 0x1
	s_wait_alu 0xfffd
	v_add_co_ci_u32_e64 v2, null, v2, v4, vcc_lo
	ds_bpermute_b32 v4, v5, v2
	s_wait_dscnt 0x1
	v_add_co_u32 v1, vcc_lo, v1, v6
	s_wait_alu 0xfffd
	v_add_co_ci_u32_e64 v2, null, 0, v2, vcc_lo
	s_delay_alu instid0(VALU_DEP_2) | instskip(SKIP_2) | instid1(VALU_DEP_2)
	v_add_co_u32 v1, vcc_lo, v1, 0
	s_wait_dscnt 0x0
	s_wait_alu 0xfffd
	v_add_co_ci_u32_e64 v2, null, v2, v4, vcc_lo
.LBB79_200:
	s_wait_alu 0xfffe
	s_or_b32 exec_lo, exec_lo, s4
	s_branch .LBB79_225
.LBB79_201:
                                        ; implicit-def: $vgpr1_vgpr2
	s_cbranch_execz .LBB79_225
; %bb.202:
	s_sub_co_i32 s4, s16, s2
	s_mov_b32 s5, exec_lo
                                        ; implicit-def: $vgpr1_vgpr2
	v_cmpx_gt_u32_e64 s4, v0
	s_cbranch_execz .LBB79_204
; %bb.203:
	v_dual_mov_b32 v2, 0 :: v_dual_lshlrev_b32 v1, 2, v0
	s_lshl_b64 s[2:3], s[2:3], 2
	s_delay_alu instid0(SALU_CYCLE_1)
	s_add_nc_u64 s[2:3], s[22:23], s[2:3]
	global_load_b32 v1, v1, s[2:3]
	s_wait_loadcnt 0x0
	v_and_b32_e32 v1, 1, v1
.LBB79_204:
	s_or_b32 exec_lo, exec_lo, s5
	v_cmp_ne_u32_e32 vcc_lo, 31, v3
	s_min_u32 s2, s4, 0x100
	v_add_nc_u32_e32 v6, 1, v3
	v_add_co_ci_u32_e64 v4, null, 0, v3, vcc_lo
	s_delay_alu instid0(VALU_DEP_1) | instskip(SKIP_3) | instid1(VALU_DEP_1)
	v_lshlrev_b32_e32 v4, 2, v4
	ds_bpermute_b32 v7, v4, v1
	ds_bpermute_b32 v5, v4, v2
	v_and_b32_e32 v4, 0xe0, v0
	v_sub_nc_u32_e64 v4, s2, v4 clamp
	s_delay_alu instid0(VALU_DEP_1)
	v_cmp_lt_u32_e32 vcc_lo, v6, v4
	v_mov_b32_e32 v6, v1
	s_and_saveexec_b32 s3, vcc_lo
	s_cbranch_execz .LBB79_206
; %bb.205:
	s_wait_dscnt 0x1
	v_add_co_u32 v6, vcc_lo, v1, v7
	s_wait_alu 0xfffd
	v_add_co_ci_u32_e64 v2, null, 0, v2, vcc_lo
	s_delay_alu instid0(VALU_DEP_2) | instskip(SKIP_2) | instid1(VALU_DEP_2)
	v_add_co_u32 v1, vcc_lo, 0, v6
	s_wait_dscnt 0x0
	s_wait_alu 0xfffd
	v_add_co_ci_u32_e64 v2, null, v5, v2, vcc_lo
.LBB79_206:
	s_wait_alu 0xfffe
	s_or_b32 exec_lo, exec_lo, s3
	v_cmp_gt_u32_e32 vcc_lo, 30, v3
	v_add_nc_u32_e32 v8, 2, v3
	s_mov_b32 s3, exec_lo
	s_wait_dscnt 0x0
	s_wait_alu 0xfffd
	v_cndmask_b32_e64 v5, 0, 2, vcc_lo
	s_delay_alu instid0(VALU_DEP_1)
	v_add_lshl_u32 v5, v5, v3, 2
	ds_bpermute_b32 v7, v5, v6
	ds_bpermute_b32 v5, v5, v2
	v_cmpx_lt_u32_e64 v8, v4
	s_cbranch_execz .LBB79_208
; %bb.207:
	s_wait_dscnt 0x1
	v_add_co_u32 v6, vcc_lo, v1, v7
	s_wait_alu 0xfffd
	v_add_co_ci_u32_e64 v2, null, 0, v2, vcc_lo
	s_delay_alu instid0(VALU_DEP_2) | instskip(SKIP_2) | instid1(VALU_DEP_2)
	v_add_co_u32 v1, vcc_lo, 0, v6
	s_wait_dscnt 0x0
	s_wait_alu 0xfffd
	v_add_co_ci_u32_e64 v2, null, v5, v2, vcc_lo
.LBB79_208:
	s_wait_alu 0xfffe
	s_or_b32 exec_lo, exec_lo, s3
	v_cmp_gt_u32_e32 vcc_lo, 28, v3
	v_add_nc_u32_e32 v8, 4, v3
	s_mov_b32 s3, exec_lo
	s_wait_dscnt 0x0
	s_wait_alu 0xfffd
	v_cndmask_b32_e64 v5, 0, 4, vcc_lo
	s_delay_alu instid0(VALU_DEP_1)
	v_add_lshl_u32 v5, v5, v3, 2
	ds_bpermute_b32 v7, v5, v6
	ds_bpermute_b32 v5, v5, v2
	v_cmpx_lt_u32_e64 v8, v4
	;; [unrolled: 25-line block ×3, first 2 shown]
	s_cbranch_execz .LBB79_212
; %bb.211:
	s_wait_dscnt 0x1
	v_add_co_u32 v6, vcc_lo, v1, v7
	s_wait_alu 0xfffd
	v_add_co_ci_u32_e64 v2, null, 0, v2, vcc_lo
	s_delay_alu instid0(VALU_DEP_2) | instskip(SKIP_2) | instid1(VALU_DEP_2)
	v_add_co_u32 v1, vcc_lo, 0, v6
	s_wait_dscnt 0x0
	s_wait_alu 0xfffd
	v_add_co_ci_u32_e64 v2, null, v5, v2, vcc_lo
.LBB79_212:
	s_wait_alu 0xfffe
	s_or_b32 exec_lo, exec_lo, s3
	s_wait_dscnt 0x0
	v_lshlrev_b32_e32 v5, 2, v3
	s_mov_b32 s3, exec_lo
	s_delay_alu instid0(VALU_DEP_1) | instskip(SKIP_3) | instid1(VALU_DEP_1)
	v_or_b32_e32 v8, 64, v5
	ds_bpermute_b32 v7, v8, v6
	ds_bpermute_b32 v6, v8, v2
	v_add_nc_u32_e32 v8, 16, v3
	v_cmpx_lt_u32_e64 v8, v4
	s_cbranch_execz .LBB79_214
; %bb.213:
	s_wait_dscnt 0x1
	v_add_co_u32 v1, vcc_lo, v1, v7
	s_wait_alu 0xfffd
	v_add_co_ci_u32_e64 v2, null, 0, v2, vcc_lo
	s_delay_alu instid0(VALU_DEP_2) | instskip(SKIP_2) | instid1(VALU_DEP_2)
	v_add_co_u32 v1, vcc_lo, v1, 0
	s_wait_dscnt 0x0
	s_wait_alu 0xfffd
	v_add_co_ci_u32_e64 v2, null, v2, v6, vcc_lo
.LBB79_214:
	s_wait_alu 0xfffe
	s_or_b32 exec_lo, exec_lo, s3
	s_delay_alu instid0(SALU_CYCLE_1)
	s_mov_b32 s3, exec_lo
	v_cmpx_eq_u32_e32 0, v3
; %bb.215:
	v_lshrrev_b32_e32 v4, 2, v0
	s_delay_alu instid0(VALU_DEP_1)
	v_and_b32_e32 v4, 56, v4
	ds_store_b64 v4, v[1:2] offset:320
; %bb.216:
	s_wait_alu 0xfffe
	s_or_b32 exec_lo, exec_lo, s3
	s_delay_alu instid0(SALU_CYCLE_1)
	s_mov_b32 s3, exec_lo
	s_wait_loadcnt_dscnt 0x0
	s_barrier_signal -1
	s_barrier_wait -1
	global_inv scope:SCOPE_SE
	v_cmpx_gt_u32_e32 8, v0
	s_cbranch_execz .LBB79_224
; %bb.217:
	v_lshlrev_b32_e32 v1, 3, v3
	v_and_b32_e32 v4, 7, v3
	s_add_co_i32 s2, s2, 31
	s_wait_alu 0xfffe
	s_lshr_b32 s2, s2, 5
	ds_load_b64 v[1:2], v1 offset:320
	v_cmp_ne_u32_e32 vcc_lo, 7, v4
	s_wait_alu 0xfffd
	v_add_co_ci_u32_e64 v6, null, 0, v3, vcc_lo
	s_delay_alu instid0(VALU_DEP_1)
	v_lshlrev_b32_e32 v6, 2, v6
	s_wait_dscnt 0x0
	ds_bpermute_b32 v8, v6, v1
	ds_bpermute_b32 v7, v6, v2
	v_add_nc_u32_e32 v6, 1, v4
	s_wait_alu 0xfffe
	s_delay_alu instid0(VALU_DEP_1)
	v_cmp_gt_u32_e32 vcc_lo, s2, v6
	v_mov_b32_e32 v6, v1
	s_and_saveexec_b32 s4, vcc_lo
	s_cbranch_execz .LBB79_219
; %bb.218:
	s_wait_dscnt 0x1
	v_add_co_u32 v6, vcc_lo, v1, v8
	s_wait_alu 0xfffd
	v_add_co_ci_u32_e64 v2, null, 0, v2, vcc_lo
	s_delay_alu instid0(VALU_DEP_2) | instskip(SKIP_2) | instid1(VALU_DEP_2)
	v_add_co_u32 v1, vcc_lo, 0, v6
	s_wait_dscnt 0x0
	s_wait_alu 0xfffd
	v_add_co_ci_u32_e64 v2, null, v7, v2, vcc_lo
.LBB79_219:
	s_wait_alu 0xfffe
	s_or_b32 exec_lo, exec_lo, s4
	v_cmp_gt_u32_e32 vcc_lo, 6, v4
	s_wait_dscnt 0x1
	v_add_nc_u32_e32 v8, 2, v4
	s_mov_b32 s4, exec_lo
	s_wait_dscnt 0x0
	s_wait_alu 0xfffd
	v_cndmask_b32_e64 v7, 0, 2, vcc_lo
	s_delay_alu instid0(VALU_DEP_1)
	v_add_lshl_u32 v3, v7, v3, 2
	ds_bpermute_b32 v7, v3, v6
	ds_bpermute_b32 v3, v3, v2
	v_cmpx_gt_u32_e64 s2, v8
	s_cbranch_execz .LBB79_221
; %bb.220:
	s_wait_dscnt 0x1
	v_add_co_u32 v6, vcc_lo, v1, v7
	s_wait_alu 0xfffd
	v_add_co_ci_u32_e64 v2, null, 0, v2, vcc_lo
	s_delay_alu instid0(VALU_DEP_2) | instskip(SKIP_2) | instid1(VALU_DEP_2)
	v_add_co_u32 v1, vcc_lo, 0, v6
	s_wait_dscnt 0x0
	s_wait_alu 0xfffd
	v_add_co_ci_u32_e64 v2, null, v3, v2, vcc_lo
.LBB79_221:
	s_wait_alu 0xfffe
	s_or_b32 exec_lo, exec_lo, s4
	s_wait_dscnt 0x0
	v_or_b32_e32 v3, 16, v5
	v_add_nc_u32_e32 v4, 4, v4
	ds_bpermute_b32 v5, v3, v6
	ds_bpermute_b32 v3, v3, v2
	v_cmp_gt_u32_e32 vcc_lo, s2, v4
	s_and_saveexec_b32 s2, vcc_lo
	s_cbranch_execz .LBB79_223
; %bb.222:
	s_wait_dscnt 0x1
	v_add_co_u32 v1, vcc_lo, v1, v5
	s_wait_alu 0xfffd
	v_add_co_ci_u32_e64 v2, null, 0, v2, vcc_lo
	s_delay_alu instid0(VALU_DEP_2) | instskip(SKIP_2) | instid1(VALU_DEP_2)
	v_add_co_u32 v1, vcc_lo, v1, 0
	s_wait_dscnt 0x0
	s_wait_alu 0xfffd
	v_add_co_ci_u32_e64 v2, null, v2, v3, vcc_lo
.LBB79_223:
	s_wait_alu 0xfffe
	s_or_b32 exec_lo, exec_lo, s2
.LBB79_224:
	s_wait_alu 0xfffe
	s_or_b32 exec_lo, exec_lo, s3
.LBB79_225:
	v_cmp_eq_u32_e64 s2, 0, v0
	s_wait_dscnt 0x0
	v_dual_mov_b32 v3, s20 :: v_dual_mov_b32 v4, s21
.LBB79_226:
	s_delay_alu instid0(VALU_DEP_2)
	s_and_saveexec_b32 s3, s2
	s_cbranch_execz .LBB79_228
; %bb.227:
	s_load_b64 s[0:1], s[0:1], 0x28
	s_cmp_lg_u64 s[16:17], 0
	v_lshlrev_b64_e32 v[3:4], 3, v[3:4]
	s_cselect_b32 vcc_lo, -1, 0
	s_wait_alu 0xfffe
	v_dual_cndmask_b32 v5, 0, v2 :: v_dual_cndmask_b32 v2, 0, v1
	s_delay_alu instid0(VALU_DEP_2)
	v_add_co_u32 v0, vcc_lo, s18, v3
	s_wait_alu 0xfffd
	v_add_co_ci_u32_e64 v1, null, s19, v4, vcc_lo
	s_wait_kmcnt 0x0
	v_add_co_u32 v2, vcc_lo, v2, s0
	s_wait_alu 0xfffd
	v_add_co_ci_u32_e64 v3, null, s1, v5, vcc_lo
	global_store_b64 v[0:1], v[2:3], off
.LBB79_228:
	s_endpgm
	.section	.rodata,"a",@progbits
	.p2align	6, 0x0
	.amdhsa_kernel _ZN7rocprim17ROCPRIM_400000_NS6detail17trampoline_kernelINS0_14default_configENS1_22reduce_config_selectorIlEEZNS1_11reduce_implILb1ES3_N6thrust23THRUST_200600_302600_NS11hip_rocprim26transform_input_iterator_tIlNS8_6detail15normal_iteratorINS8_10device_ptrIiEEEE6is_oddIiEEEPllNS8_4plusIlEEEE10hipError_tPvRmT1_T2_T3_mT4_P12ihipStream_tbEUlT_E1_NS1_11comp_targetILNS1_3genE10ELNS1_11target_archE1201ELNS1_3gpuE5ELNS1_3repE0EEENS1_30default_config_static_selectorELNS0_4arch9wavefront6targetE0EEEvSP_
		.amdhsa_group_segment_fixed_size 384
		.amdhsa_private_segment_fixed_size 0
		.amdhsa_kernarg_size 56
		.amdhsa_user_sgpr_count 2
		.amdhsa_user_sgpr_dispatch_ptr 0
		.amdhsa_user_sgpr_queue_ptr 0
		.amdhsa_user_sgpr_kernarg_segment_ptr 1
		.amdhsa_user_sgpr_dispatch_id 0
		.amdhsa_user_sgpr_private_segment_size 0
		.amdhsa_wavefront_size32 1
		.amdhsa_uses_dynamic_stack 0
		.amdhsa_enable_private_segment 0
		.amdhsa_system_sgpr_workgroup_id_x 1
		.amdhsa_system_sgpr_workgroup_id_y 0
		.amdhsa_system_sgpr_workgroup_id_z 0
		.amdhsa_system_sgpr_workgroup_info 0
		.amdhsa_system_vgpr_workitem_id 0
		.amdhsa_next_free_vgpr 34
		.amdhsa_next_free_sgpr 30
		.amdhsa_reserve_vcc 1
		.amdhsa_float_round_mode_32 0
		.amdhsa_float_round_mode_16_64 0
		.amdhsa_float_denorm_mode_32 3
		.amdhsa_float_denorm_mode_16_64 3
		.amdhsa_fp16_overflow 0
		.amdhsa_workgroup_processor_mode 1
		.amdhsa_memory_ordered 1
		.amdhsa_forward_progress 1
		.amdhsa_inst_pref_size 112
		.amdhsa_round_robin_scheduling 0
		.amdhsa_exception_fp_ieee_invalid_op 0
		.amdhsa_exception_fp_denorm_src 0
		.amdhsa_exception_fp_ieee_div_zero 0
		.amdhsa_exception_fp_ieee_overflow 0
		.amdhsa_exception_fp_ieee_underflow 0
		.amdhsa_exception_fp_ieee_inexact 0
		.amdhsa_exception_int_div_zero 0
	.end_amdhsa_kernel
	.section	.text._ZN7rocprim17ROCPRIM_400000_NS6detail17trampoline_kernelINS0_14default_configENS1_22reduce_config_selectorIlEEZNS1_11reduce_implILb1ES3_N6thrust23THRUST_200600_302600_NS11hip_rocprim26transform_input_iterator_tIlNS8_6detail15normal_iteratorINS8_10device_ptrIiEEEE6is_oddIiEEEPllNS8_4plusIlEEEE10hipError_tPvRmT1_T2_T3_mT4_P12ihipStream_tbEUlT_E1_NS1_11comp_targetILNS1_3genE10ELNS1_11target_archE1201ELNS1_3gpuE5ELNS1_3repE0EEENS1_30default_config_static_selectorELNS0_4arch9wavefront6targetE0EEEvSP_,"axG",@progbits,_ZN7rocprim17ROCPRIM_400000_NS6detail17trampoline_kernelINS0_14default_configENS1_22reduce_config_selectorIlEEZNS1_11reduce_implILb1ES3_N6thrust23THRUST_200600_302600_NS11hip_rocprim26transform_input_iterator_tIlNS8_6detail15normal_iteratorINS8_10device_ptrIiEEEE6is_oddIiEEEPllNS8_4plusIlEEEE10hipError_tPvRmT1_T2_T3_mT4_P12ihipStream_tbEUlT_E1_NS1_11comp_targetILNS1_3genE10ELNS1_11target_archE1201ELNS1_3gpuE5ELNS1_3repE0EEENS1_30default_config_static_selectorELNS0_4arch9wavefront6targetE0EEEvSP_,comdat
.Lfunc_end79:
	.size	_ZN7rocprim17ROCPRIM_400000_NS6detail17trampoline_kernelINS0_14default_configENS1_22reduce_config_selectorIlEEZNS1_11reduce_implILb1ES3_N6thrust23THRUST_200600_302600_NS11hip_rocprim26transform_input_iterator_tIlNS8_6detail15normal_iteratorINS8_10device_ptrIiEEEE6is_oddIiEEEPllNS8_4plusIlEEEE10hipError_tPvRmT1_T2_T3_mT4_P12ihipStream_tbEUlT_E1_NS1_11comp_targetILNS1_3genE10ELNS1_11target_archE1201ELNS1_3gpuE5ELNS1_3repE0EEENS1_30default_config_static_selectorELNS0_4arch9wavefront6targetE0EEEvSP_, .Lfunc_end79-_ZN7rocprim17ROCPRIM_400000_NS6detail17trampoline_kernelINS0_14default_configENS1_22reduce_config_selectorIlEEZNS1_11reduce_implILb1ES3_N6thrust23THRUST_200600_302600_NS11hip_rocprim26transform_input_iterator_tIlNS8_6detail15normal_iteratorINS8_10device_ptrIiEEEE6is_oddIiEEEPllNS8_4plusIlEEEE10hipError_tPvRmT1_T2_T3_mT4_P12ihipStream_tbEUlT_E1_NS1_11comp_targetILNS1_3genE10ELNS1_11target_archE1201ELNS1_3gpuE5ELNS1_3repE0EEENS1_30default_config_static_selectorELNS0_4arch9wavefront6targetE0EEEvSP_
                                        ; -- End function
	.set _ZN7rocprim17ROCPRIM_400000_NS6detail17trampoline_kernelINS0_14default_configENS1_22reduce_config_selectorIlEEZNS1_11reduce_implILb1ES3_N6thrust23THRUST_200600_302600_NS11hip_rocprim26transform_input_iterator_tIlNS8_6detail15normal_iteratorINS8_10device_ptrIiEEEE6is_oddIiEEEPllNS8_4plusIlEEEE10hipError_tPvRmT1_T2_T3_mT4_P12ihipStream_tbEUlT_E1_NS1_11comp_targetILNS1_3genE10ELNS1_11target_archE1201ELNS1_3gpuE5ELNS1_3repE0EEENS1_30default_config_static_selectorELNS0_4arch9wavefront6targetE0EEEvSP_.num_vgpr, 34
	.set _ZN7rocprim17ROCPRIM_400000_NS6detail17trampoline_kernelINS0_14default_configENS1_22reduce_config_selectorIlEEZNS1_11reduce_implILb1ES3_N6thrust23THRUST_200600_302600_NS11hip_rocprim26transform_input_iterator_tIlNS8_6detail15normal_iteratorINS8_10device_ptrIiEEEE6is_oddIiEEEPllNS8_4plusIlEEEE10hipError_tPvRmT1_T2_T3_mT4_P12ihipStream_tbEUlT_E1_NS1_11comp_targetILNS1_3genE10ELNS1_11target_archE1201ELNS1_3gpuE5ELNS1_3repE0EEENS1_30default_config_static_selectorELNS0_4arch9wavefront6targetE0EEEvSP_.num_agpr, 0
	.set _ZN7rocprim17ROCPRIM_400000_NS6detail17trampoline_kernelINS0_14default_configENS1_22reduce_config_selectorIlEEZNS1_11reduce_implILb1ES3_N6thrust23THRUST_200600_302600_NS11hip_rocprim26transform_input_iterator_tIlNS8_6detail15normal_iteratorINS8_10device_ptrIiEEEE6is_oddIiEEEPllNS8_4plusIlEEEE10hipError_tPvRmT1_T2_T3_mT4_P12ihipStream_tbEUlT_E1_NS1_11comp_targetILNS1_3genE10ELNS1_11target_archE1201ELNS1_3gpuE5ELNS1_3repE0EEENS1_30default_config_static_selectorELNS0_4arch9wavefront6targetE0EEEvSP_.numbered_sgpr, 30
	.set _ZN7rocprim17ROCPRIM_400000_NS6detail17trampoline_kernelINS0_14default_configENS1_22reduce_config_selectorIlEEZNS1_11reduce_implILb1ES3_N6thrust23THRUST_200600_302600_NS11hip_rocprim26transform_input_iterator_tIlNS8_6detail15normal_iteratorINS8_10device_ptrIiEEEE6is_oddIiEEEPllNS8_4plusIlEEEE10hipError_tPvRmT1_T2_T3_mT4_P12ihipStream_tbEUlT_E1_NS1_11comp_targetILNS1_3genE10ELNS1_11target_archE1201ELNS1_3gpuE5ELNS1_3repE0EEENS1_30default_config_static_selectorELNS0_4arch9wavefront6targetE0EEEvSP_.num_named_barrier, 0
	.set _ZN7rocprim17ROCPRIM_400000_NS6detail17trampoline_kernelINS0_14default_configENS1_22reduce_config_selectorIlEEZNS1_11reduce_implILb1ES3_N6thrust23THRUST_200600_302600_NS11hip_rocprim26transform_input_iterator_tIlNS8_6detail15normal_iteratorINS8_10device_ptrIiEEEE6is_oddIiEEEPllNS8_4plusIlEEEE10hipError_tPvRmT1_T2_T3_mT4_P12ihipStream_tbEUlT_E1_NS1_11comp_targetILNS1_3genE10ELNS1_11target_archE1201ELNS1_3gpuE5ELNS1_3repE0EEENS1_30default_config_static_selectorELNS0_4arch9wavefront6targetE0EEEvSP_.private_seg_size, 0
	.set _ZN7rocprim17ROCPRIM_400000_NS6detail17trampoline_kernelINS0_14default_configENS1_22reduce_config_selectorIlEEZNS1_11reduce_implILb1ES3_N6thrust23THRUST_200600_302600_NS11hip_rocprim26transform_input_iterator_tIlNS8_6detail15normal_iteratorINS8_10device_ptrIiEEEE6is_oddIiEEEPllNS8_4plusIlEEEE10hipError_tPvRmT1_T2_T3_mT4_P12ihipStream_tbEUlT_E1_NS1_11comp_targetILNS1_3genE10ELNS1_11target_archE1201ELNS1_3gpuE5ELNS1_3repE0EEENS1_30default_config_static_selectorELNS0_4arch9wavefront6targetE0EEEvSP_.uses_vcc, 1
	.set _ZN7rocprim17ROCPRIM_400000_NS6detail17trampoline_kernelINS0_14default_configENS1_22reduce_config_selectorIlEEZNS1_11reduce_implILb1ES3_N6thrust23THRUST_200600_302600_NS11hip_rocprim26transform_input_iterator_tIlNS8_6detail15normal_iteratorINS8_10device_ptrIiEEEE6is_oddIiEEEPllNS8_4plusIlEEEE10hipError_tPvRmT1_T2_T3_mT4_P12ihipStream_tbEUlT_E1_NS1_11comp_targetILNS1_3genE10ELNS1_11target_archE1201ELNS1_3gpuE5ELNS1_3repE0EEENS1_30default_config_static_selectorELNS0_4arch9wavefront6targetE0EEEvSP_.uses_flat_scratch, 0
	.set _ZN7rocprim17ROCPRIM_400000_NS6detail17trampoline_kernelINS0_14default_configENS1_22reduce_config_selectorIlEEZNS1_11reduce_implILb1ES3_N6thrust23THRUST_200600_302600_NS11hip_rocprim26transform_input_iterator_tIlNS8_6detail15normal_iteratorINS8_10device_ptrIiEEEE6is_oddIiEEEPllNS8_4plusIlEEEE10hipError_tPvRmT1_T2_T3_mT4_P12ihipStream_tbEUlT_E1_NS1_11comp_targetILNS1_3genE10ELNS1_11target_archE1201ELNS1_3gpuE5ELNS1_3repE0EEENS1_30default_config_static_selectorELNS0_4arch9wavefront6targetE0EEEvSP_.has_dyn_sized_stack, 0
	.set _ZN7rocprim17ROCPRIM_400000_NS6detail17trampoline_kernelINS0_14default_configENS1_22reduce_config_selectorIlEEZNS1_11reduce_implILb1ES3_N6thrust23THRUST_200600_302600_NS11hip_rocprim26transform_input_iterator_tIlNS8_6detail15normal_iteratorINS8_10device_ptrIiEEEE6is_oddIiEEEPllNS8_4plusIlEEEE10hipError_tPvRmT1_T2_T3_mT4_P12ihipStream_tbEUlT_E1_NS1_11comp_targetILNS1_3genE10ELNS1_11target_archE1201ELNS1_3gpuE5ELNS1_3repE0EEENS1_30default_config_static_selectorELNS0_4arch9wavefront6targetE0EEEvSP_.has_recursion, 0
	.set _ZN7rocprim17ROCPRIM_400000_NS6detail17trampoline_kernelINS0_14default_configENS1_22reduce_config_selectorIlEEZNS1_11reduce_implILb1ES3_N6thrust23THRUST_200600_302600_NS11hip_rocprim26transform_input_iterator_tIlNS8_6detail15normal_iteratorINS8_10device_ptrIiEEEE6is_oddIiEEEPllNS8_4plusIlEEEE10hipError_tPvRmT1_T2_T3_mT4_P12ihipStream_tbEUlT_E1_NS1_11comp_targetILNS1_3genE10ELNS1_11target_archE1201ELNS1_3gpuE5ELNS1_3repE0EEENS1_30default_config_static_selectorELNS0_4arch9wavefront6targetE0EEEvSP_.has_indirect_call, 0
	.section	.AMDGPU.csdata,"",@progbits
; Kernel info:
; codeLenInByte = 14224
; TotalNumSgprs: 32
; NumVgprs: 34
; ScratchSize: 0
; MemoryBound: 0
; FloatMode: 240
; IeeeMode: 1
; LDSByteSize: 384 bytes/workgroup (compile time only)
; SGPRBlocks: 0
; VGPRBlocks: 4
; NumSGPRsForWavesPerEU: 32
; NumVGPRsForWavesPerEU: 34
; Occupancy: 16
; WaveLimiterHint : 1
; COMPUTE_PGM_RSRC2:SCRATCH_EN: 0
; COMPUTE_PGM_RSRC2:USER_SGPR: 2
; COMPUTE_PGM_RSRC2:TRAP_HANDLER: 0
; COMPUTE_PGM_RSRC2:TGID_X_EN: 1
; COMPUTE_PGM_RSRC2:TGID_Y_EN: 0
; COMPUTE_PGM_RSRC2:TGID_Z_EN: 0
; COMPUTE_PGM_RSRC2:TIDIG_COMP_CNT: 0
	.section	.text._ZN7rocprim17ROCPRIM_400000_NS6detail17trampoline_kernelINS0_14default_configENS1_22reduce_config_selectorIlEEZNS1_11reduce_implILb1ES3_N6thrust23THRUST_200600_302600_NS11hip_rocprim26transform_input_iterator_tIlNS8_6detail15normal_iteratorINS8_10device_ptrIiEEEE6is_oddIiEEEPllNS8_4plusIlEEEE10hipError_tPvRmT1_T2_T3_mT4_P12ihipStream_tbEUlT_E1_NS1_11comp_targetILNS1_3genE10ELNS1_11target_archE1200ELNS1_3gpuE4ELNS1_3repE0EEENS1_30default_config_static_selectorELNS0_4arch9wavefront6targetE0EEEvSP_,"axG",@progbits,_ZN7rocprim17ROCPRIM_400000_NS6detail17trampoline_kernelINS0_14default_configENS1_22reduce_config_selectorIlEEZNS1_11reduce_implILb1ES3_N6thrust23THRUST_200600_302600_NS11hip_rocprim26transform_input_iterator_tIlNS8_6detail15normal_iteratorINS8_10device_ptrIiEEEE6is_oddIiEEEPllNS8_4plusIlEEEE10hipError_tPvRmT1_T2_T3_mT4_P12ihipStream_tbEUlT_E1_NS1_11comp_targetILNS1_3genE10ELNS1_11target_archE1200ELNS1_3gpuE4ELNS1_3repE0EEENS1_30default_config_static_selectorELNS0_4arch9wavefront6targetE0EEEvSP_,comdat
	.protected	_ZN7rocprim17ROCPRIM_400000_NS6detail17trampoline_kernelINS0_14default_configENS1_22reduce_config_selectorIlEEZNS1_11reduce_implILb1ES3_N6thrust23THRUST_200600_302600_NS11hip_rocprim26transform_input_iterator_tIlNS8_6detail15normal_iteratorINS8_10device_ptrIiEEEE6is_oddIiEEEPllNS8_4plusIlEEEE10hipError_tPvRmT1_T2_T3_mT4_P12ihipStream_tbEUlT_E1_NS1_11comp_targetILNS1_3genE10ELNS1_11target_archE1200ELNS1_3gpuE4ELNS1_3repE0EEENS1_30default_config_static_selectorELNS0_4arch9wavefront6targetE0EEEvSP_ ; -- Begin function _ZN7rocprim17ROCPRIM_400000_NS6detail17trampoline_kernelINS0_14default_configENS1_22reduce_config_selectorIlEEZNS1_11reduce_implILb1ES3_N6thrust23THRUST_200600_302600_NS11hip_rocprim26transform_input_iterator_tIlNS8_6detail15normal_iteratorINS8_10device_ptrIiEEEE6is_oddIiEEEPllNS8_4plusIlEEEE10hipError_tPvRmT1_T2_T3_mT4_P12ihipStream_tbEUlT_E1_NS1_11comp_targetILNS1_3genE10ELNS1_11target_archE1200ELNS1_3gpuE4ELNS1_3repE0EEENS1_30default_config_static_selectorELNS0_4arch9wavefront6targetE0EEEvSP_
	.globl	_ZN7rocprim17ROCPRIM_400000_NS6detail17trampoline_kernelINS0_14default_configENS1_22reduce_config_selectorIlEEZNS1_11reduce_implILb1ES3_N6thrust23THRUST_200600_302600_NS11hip_rocprim26transform_input_iterator_tIlNS8_6detail15normal_iteratorINS8_10device_ptrIiEEEE6is_oddIiEEEPllNS8_4plusIlEEEE10hipError_tPvRmT1_T2_T3_mT4_P12ihipStream_tbEUlT_E1_NS1_11comp_targetILNS1_3genE10ELNS1_11target_archE1200ELNS1_3gpuE4ELNS1_3repE0EEENS1_30default_config_static_selectorELNS0_4arch9wavefront6targetE0EEEvSP_
	.p2align	8
	.type	_ZN7rocprim17ROCPRIM_400000_NS6detail17trampoline_kernelINS0_14default_configENS1_22reduce_config_selectorIlEEZNS1_11reduce_implILb1ES3_N6thrust23THRUST_200600_302600_NS11hip_rocprim26transform_input_iterator_tIlNS8_6detail15normal_iteratorINS8_10device_ptrIiEEEE6is_oddIiEEEPllNS8_4plusIlEEEE10hipError_tPvRmT1_T2_T3_mT4_P12ihipStream_tbEUlT_E1_NS1_11comp_targetILNS1_3genE10ELNS1_11target_archE1200ELNS1_3gpuE4ELNS1_3repE0EEENS1_30default_config_static_selectorELNS0_4arch9wavefront6targetE0EEEvSP_,@function
_ZN7rocprim17ROCPRIM_400000_NS6detail17trampoline_kernelINS0_14default_configENS1_22reduce_config_selectorIlEEZNS1_11reduce_implILb1ES3_N6thrust23THRUST_200600_302600_NS11hip_rocprim26transform_input_iterator_tIlNS8_6detail15normal_iteratorINS8_10device_ptrIiEEEE6is_oddIiEEEPllNS8_4plusIlEEEE10hipError_tPvRmT1_T2_T3_mT4_P12ihipStream_tbEUlT_E1_NS1_11comp_targetILNS1_3genE10ELNS1_11target_archE1200ELNS1_3gpuE4ELNS1_3repE0EEENS1_30default_config_static_selectorELNS0_4arch9wavefront6targetE0EEEvSP_: ; @_ZN7rocprim17ROCPRIM_400000_NS6detail17trampoline_kernelINS0_14default_configENS1_22reduce_config_selectorIlEEZNS1_11reduce_implILb1ES3_N6thrust23THRUST_200600_302600_NS11hip_rocprim26transform_input_iterator_tIlNS8_6detail15normal_iteratorINS8_10device_ptrIiEEEE6is_oddIiEEEPllNS8_4plusIlEEEE10hipError_tPvRmT1_T2_T3_mT4_P12ihipStream_tbEUlT_E1_NS1_11comp_targetILNS1_3genE10ELNS1_11target_archE1200ELNS1_3gpuE4ELNS1_3repE0EEENS1_30default_config_static_selectorELNS0_4arch9wavefront6targetE0EEEvSP_
; %bb.0:
	.section	.rodata,"a",@progbits
	.p2align	6, 0x0
	.amdhsa_kernel _ZN7rocprim17ROCPRIM_400000_NS6detail17trampoline_kernelINS0_14default_configENS1_22reduce_config_selectorIlEEZNS1_11reduce_implILb1ES3_N6thrust23THRUST_200600_302600_NS11hip_rocprim26transform_input_iterator_tIlNS8_6detail15normal_iteratorINS8_10device_ptrIiEEEE6is_oddIiEEEPllNS8_4plusIlEEEE10hipError_tPvRmT1_T2_T3_mT4_P12ihipStream_tbEUlT_E1_NS1_11comp_targetILNS1_3genE10ELNS1_11target_archE1200ELNS1_3gpuE4ELNS1_3repE0EEENS1_30default_config_static_selectorELNS0_4arch9wavefront6targetE0EEEvSP_
		.amdhsa_group_segment_fixed_size 0
		.amdhsa_private_segment_fixed_size 0
		.amdhsa_kernarg_size 56
		.amdhsa_user_sgpr_count 2
		.amdhsa_user_sgpr_dispatch_ptr 0
		.amdhsa_user_sgpr_queue_ptr 0
		.amdhsa_user_sgpr_kernarg_segment_ptr 1
		.amdhsa_user_sgpr_dispatch_id 0
		.amdhsa_user_sgpr_private_segment_size 0
		.amdhsa_wavefront_size32 1
		.amdhsa_uses_dynamic_stack 0
		.amdhsa_enable_private_segment 0
		.amdhsa_system_sgpr_workgroup_id_x 1
		.amdhsa_system_sgpr_workgroup_id_y 0
		.amdhsa_system_sgpr_workgroup_id_z 0
		.amdhsa_system_sgpr_workgroup_info 0
		.amdhsa_system_vgpr_workitem_id 0
		.amdhsa_next_free_vgpr 1
		.amdhsa_next_free_sgpr 1
		.amdhsa_reserve_vcc 0
		.amdhsa_float_round_mode_32 0
		.amdhsa_float_round_mode_16_64 0
		.amdhsa_float_denorm_mode_32 3
		.amdhsa_float_denorm_mode_16_64 3
		.amdhsa_fp16_overflow 0
		.amdhsa_workgroup_processor_mode 1
		.amdhsa_memory_ordered 1
		.amdhsa_forward_progress 1
		.amdhsa_inst_pref_size 0
		.amdhsa_round_robin_scheduling 0
		.amdhsa_exception_fp_ieee_invalid_op 0
		.amdhsa_exception_fp_denorm_src 0
		.amdhsa_exception_fp_ieee_div_zero 0
		.amdhsa_exception_fp_ieee_overflow 0
		.amdhsa_exception_fp_ieee_underflow 0
		.amdhsa_exception_fp_ieee_inexact 0
		.amdhsa_exception_int_div_zero 0
	.end_amdhsa_kernel
	.section	.text._ZN7rocprim17ROCPRIM_400000_NS6detail17trampoline_kernelINS0_14default_configENS1_22reduce_config_selectorIlEEZNS1_11reduce_implILb1ES3_N6thrust23THRUST_200600_302600_NS11hip_rocprim26transform_input_iterator_tIlNS8_6detail15normal_iteratorINS8_10device_ptrIiEEEE6is_oddIiEEEPllNS8_4plusIlEEEE10hipError_tPvRmT1_T2_T3_mT4_P12ihipStream_tbEUlT_E1_NS1_11comp_targetILNS1_3genE10ELNS1_11target_archE1200ELNS1_3gpuE4ELNS1_3repE0EEENS1_30default_config_static_selectorELNS0_4arch9wavefront6targetE0EEEvSP_,"axG",@progbits,_ZN7rocprim17ROCPRIM_400000_NS6detail17trampoline_kernelINS0_14default_configENS1_22reduce_config_selectorIlEEZNS1_11reduce_implILb1ES3_N6thrust23THRUST_200600_302600_NS11hip_rocprim26transform_input_iterator_tIlNS8_6detail15normal_iteratorINS8_10device_ptrIiEEEE6is_oddIiEEEPllNS8_4plusIlEEEE10hipError_tPvRmT1_T2_T3_mT4_P12ihipStream_tbEUlT_E1_NS1_11comp_targetILNS1_3genE10ELNS1_11target_archE1200ELNS1_3gpuE4ELNS1_3repE0EEENS1_30default_config_static_selectorELNS0_4arch9wavefront6targetE0EEEvSP_,comdat
.Lfunc_end80:
	.size	_ZN7rocprim17ROCPRIM_400000_NS6detail17trampoline_kernelINS0_14default_configENS1_22reduce_config_selectorIlEEZNS1_11reduce_implILb1ES3_N6thrust23THRUST_200600_302600_NS11hip_rocprim26transform_input_iterator_tIlNS8_6detail15normal_iteratorINS8_10device_ptrIiEEEE6is_oddIiEEEPllNS8_4plusIlEEEE10hipError_tPvRmT1_T2_T3_mT4_P12ihipStream_tbEUlT_E1_NS1_11comp_targetILNS1_3genE10ELNS1_11target_archE1200ELNS1_3gpuE4ELNS1_3repE0EEENS1_30default_config_static_selectorELNS0_4arch9wavefront6targetE0EEEvSP_, .Lfunc_end80-_ZN7rocprim17ROCPRIM_400000_NS6detail17trampoline_kernelINS0_14default_configENS1_22reduce_config_selectorIlEEZNS1_11reduce_implILb1ES3_N6thrust23THRUST_200600_302600_NS11hip_rocprim26transform_input_iterator_tIlNS8_6detail15normal_iteratorINS8_10device_ptrIiEEEE6is_oddIiEEEPllNS8_4plusIlEEEE10hipError_tPvRmT1_T2_T3_mT4_P12ihipStream_tbEUlT_E1_NS1_11comp_targetILNS1_3genE10ELNS1_11target_archE1200ELNS1_3gpuE4ELNS1_3repE0EEENS1_30default_config_static_selectorELNS0_4arch9wavefront6targetE0EEEvSP_
                                        ; -- End function
	.set _ZN7rocprim17ROCPRIM_400000_NS6detail17trampoline_kernelINS0_14default_configENS1_22reduce_config_selectorIlEEZNS1_11reduce_implILb1ES3_N6thrust23THRUST_200600_302600_NS11hip_rocprim26transform_input_iterator_tIlNS8_6detail15normal_iteratorINS8_10device_ptrIiEEEE6is_oddIiEEEPllNS8_4plusIlEEEE10hipError_tPvRmT1_T2_T3_mT4_P12ihipStream_tbEUlT_E1_NS1_11comp_targetILNS1_3genE10ELNS1_11target_archE1200ELNS1_3gpuE4ELNS1_3repE0EEENS1_30default_config_static_selectorELNS0_4arch9wavefront6targetE0EEEvSP_.num_vgpr, 0
	.set _ZN7rocprim17ROCPRIM_400000_NS6detail17trampoline_kernelINS0_14default_configENS1_22reduce_config_selectorIlEEZNS1_11reduce_implILb1ES3_N6thrust23THRUST_200600_302600_NS11hip_rocprim26transform_input_iterator_tIlNS8_6detail15normal_iteratorINS8_10device_ptrIiEEEE6is_oddIiEEEPllNS8_4plusIlEEEE10hipError_tPvRmT1_T2_T3_mT4_P12ihipStream_tbEUlT_E1_NS1_11comp_targetILNS1_3genE10ELNS1_11target_archE1200ELNS1_3gpuE4ELNS1_3repE0EEENS1_30default_config_static_selectorELNS0_4arch9wavefront6targetE0EEEvSP_.num_agpr, 0
	.set _ZN7rocprim17ROCPRIM_400000_NS6detail17trampoline_kernelINS0_14default_configENS1_22reduce_config_selectorIlEEZNS1_11reduce_implILb1ES3_N6thrust23THRUST_200600_302600_NS11hip_rocprim26transform_input_iterator_tIlNS8_6detail15normal_iteratorINS8_10device_ptrIiEEEE6is_oddIiEEEPllNS8_4plusIlEEEE10hipError_tPvRmT1_T2_T3_mT4_P12ihipStream_tbEUlT_E1_NS1_11comp_targetILNS1_3genE10ELNS1_11target_archE1200ELNS1_3gpuE4ELNS1_3repE0EEENS1_30default_config_static_selectorELNS0_4arch9wavefront6targetE0EEEvSP_.numbered_sgpr, 0
	.set _ZN7rocprim17ROCPRIM_400000_NS6detail17trampoline_kernelINS0_14default_configENS1_22reduce_config_selectorIlEEZNS1_11reduce_implILb1ES3_N6thrust23THRUST_200600_302600_NS11hip_rocprim26transform_input_iterator_tIlNS8_6detail15normal_iteratorINS8_10device_ptrIiEEEE6is_oddIiEEEPllNS8_4plusIlEEEE10hipError_tPvRmT1_T2_T3_mT4_P12ihipStream_tbEUlT_E1_NS1_11comp_targetILNS1_3genE10ELNS1_11target_archE1200ELNS1_3gpuE4ELNS1_3repE0EEENS1_30default_config_static_selectorELNS0_4arch9wavefront6targetE0EEEvSP_.num_named_barrier, 0
	.set _ZN7rocprim17ROCPRIM_400000_NS6detail17trampoline_kernelINS0_14default_configENS1_22reduce_config_selectorIlEEZNS1_11reduce_implILb1ES3_N6thrust23THRUST_200600_302600_NS11hip_rocprim26transform_input_iterator_tIlNS8_6detail15normal_iteratorINS8_10device_ptrIiEEEE6is_oddIiEEEPllNS8_4plusIlEEEE10hipError_tPvRmT1_T2_T3_mT4_P12ihipStream_tbEUlT_E1_NS1_11comp_targetILNS1_3genE10ELNS1_11target_archE1200ELNS1_3gpuE4ELNS1_3repE0EEENS1_30default_config_static_selectorELNS0_4arch9wavefront6targetE0EEEvSP_.private_seg_size, 0
	.set _ZN7rocprim17ROCPRIM_400000_NS6detail17trampoline_kernelINS0_14default_configENS1_22reduce_config_selectorIlEEZNS1_11reduce_implILb1ES3_N6thrust23THRUST_200600_302600_NS11hip_rocprim26transform_input_iterator_tIlNS8_6detail15normal_iteratorINS8_10device_ptrIiEEEE6is_oddIiEEEPllNS8_4plusIlEEEE10hipError_tPvRmT1_T2_T3_mT4_P12ihipStream_tbEUlT_E1_NS1_11comp_targetILNS1_3genE10ELNS1_11target_archE1200ELNS1_3gpuE4ELNS1_3repE0EEENS1_30default_config_static_selectorELNS0_4arch9wavefront6targetE0EEEvSP_.uses_vcc, 0
	.set _ZN7rocprim17ROCPRIM_400000_NS6detail17trampoline_kernelINS0_14default_configENS1_22reduce_config_selectorIlEEZNS1_11reduce_implILb1ES3_N6thrust23THRUST_200600_302600_NS11hip_rocprim26transform_input_iterator_tIlNS8_6detail15normal_iteratorINS8_10device_ptrIiEEEE6is_oddIiEEEPllNS8_4plusIlEEEE10hipError_tPvRmT1_T2_T3_mT4_P12ihipStream_tbEUlT_E1_NS1_11comp_targetILNS1_3genE10ELNS1_11target_archE1200ELNS1_3gpuE4ELNS1_3repE0EEENS1_30default_config_static_selectorELNS0_4arch9wavefront6targetE0EEEvSP_.uses_flat_scratch, 0
	.set _ZN7rocprim17ROCPRIM_400000_NS6detail17trampoline_kernelINS0_14default_configENS1_22reduce_config_selectorIlEEZNS1_11reduce_implILb1ES3_N6thrust23THRUST_200600_302600_NS11hip_rocprim26transform_input_iterator_tIlNS8_6detail15normal_iteratorINS8_10device_ptrIiEEEE6is_oddIiEEEPllNS8_4plusIlEEEE10hipError_tPvRmT1_T2_T3_mT4_P12ihipStream_tbEUlT_E1_NS1_11comp_targetILNS1_3genE10ELNS1_11target_archE1200ELNS1_3gpuE4ELNS1_3repE0EEENS1_30default_config_static_selectorELNS0_4arch9wavefront6targetE0EEEvSP_.has_dyn_sized_stack, 0
	.set _ZN7rocprim17ROCPRIM_400000_NS6detail17trampoline_kernelINS0_14default_configENS1_22reduce_config_selectorIlEEZNS1_11reduce_implILb1ES3_N6thrust23THRUST_200600_302600_NS11hip_rocprim26transform_input_iterator_tIlNS8_6detail15normal_iteratorINS8_10device_ptrIiEEEE6is_oddIiEEEPllNS8_4plusIlEEEE10hipError_tPvRmT1_T2_T3_mT4_P12ihipStream_tbEUlT_E1_NS1_11comp_targetILNS1_3genE10ELNS1_11target_archE1200ELNS1_3gpuE4ELNS1_3repE0EEENS1_30default_config_static_selectorELNS0_4arch9wavefront6targetE0EEEvSP_.has_recursion, 0
	.set _ZN7rocprim17ROCPRIM_400000_NS6detail17trampoline_kernelINS0_14default_configENS1_22reduce_config_selectorIlEEZNS1_11reduce_implILb1ES3_N6thrust23THRUST_200600_302600_NS11hip_rocprim26transform_input_iterator_tIlNS8_6detail15normal_iteratorINS8_10device_ptrIiEEEE6is_oddIiEEEPllNS8_4plusIlEEEE10hipError_tPvRmT1_T2_T3_mT4_P12ihipStream_tbEUlT_E1_NS1_11comp_targetILNS1_3genE10ELNS1_11target_archE1200ELNS1_3gpuE4ELNS1_3repE0EEENS1_30default_config_static_selectorELNS0_4arch9wavefront6targetE0EEEvSP_.has_indirect_call, 0
	.section	.AMDGPU.csdata,"",@progbits
; Kernel info:
; codeLenInByte = 0
; TotalNumSgprs: 0
; NumVgprs: 0
; ScratchSize: 0
; MemoryBound: 0
; FloatMode: 240
; IeeeMode: 1
; LDSByteSize: 0 bytes/workgroup (compile time only)
; SGPRBlocks: 0
; VGPRBlocks: 0
; NumSGPRsForWavesPerEU: 1
; NumVGPRsForWavesPerEU: 1
; Occupancy: 16
; WaveLimiterHint : 0
; COMPUTE_PGM_RSRC2:SCRATCH_EN: 0
; COMPUTE_PGM_RSRC2:USER_SGPR: 2
; COMPUTE_PGM_RSRC2:TRAP_HANDLER: 0
; COMPUTE_PGM_RSRC2:TGID_X_EN: 1
; COMPUTE_PGM_RSRC2:TGID_Y_EN: 0
; COMPUTE_PGM_RSRC2:TGID_Z_EN: 0
; COMPUTE_PGM_RSRC2:TIDIG_COMP_CNT: 0
	.section	.text._ZN7rocprim17ROCPRIM_400000_NS6detail17trampoline_kernelINS0_14default_configENS1_22reduce_config_selectorIlEEZNS1_11reduce_implILb1ES3_N6thrust23THRUST_200600_302600_NS11hip_rocprim26transform_input_iterator_tIlNS8_6detail15normal_iteratorINS8_10device_ptrIiEEEE6is_oddIiEEEPllNS8_4plusIlEEEE10hipError_tPvRmT1_T2_T3_mT4_P12ihipStream_tbEUlT_E1_NS1_11comp_targetILNS1_3genE9ELNS1_11target_archE1100ELNS1_3gpuE3ELNS1_3repE0EEENS1_30default_config_static_selectorELNS0_4arch9wavefront6targetE0EEEvSP_,"axG",@progbits,_ZN7rocprim17ROCPRIM_400000_NS6detail17trampoline_kernelINS0_14default_configENS1_22reduce_config_selectorIlEEZNS1_11reduce_implILb1ES3_N6thrust23THRUST_200600_302600_NS11hip_rocprim26transform_input_iterator_tIlNS8_6detail15normal_iteratorINS8_10device_ptrIiEEEE6is_oddIiEEEPllNS8_4plusIlEEEE10hipError_tPvRmT1_T2_T3_mT4_P12ihipStream_tbEUlT_E1_NS1_11comp_targetILNS1_3genE9ELNS1_11target_archE1100ELNS1_3gpuE3ELNS1_3repE0EEENS1_30default_config_static_selectorELNS0_4arch9wavefront6targetE0EEEvSP_,comdat
	.protected	_ZN7rocprim17ROCPRIM_400000_NS6detail17trampoline_kernelINS0_14default_configENS1_22reduce_config_selectorIlEEZNS1_11reduce_implILb1ES3_N6thrust23THRUST_200600_302600_NS11hip_rocprim26transform_input_iterator_tIlNS8_6detail15normal_iteratorINS8_10device_ptrIiEEEE6is_oddIiEEEPllNS8_4plusIlEEEE10hipError_tPvRmT1_T2_T3_mT4_P12ihipStream_tbEUlT_E1_NS1_11comp_targetILNS1_3genE9ELNS1_11target_archE1100ELNS1_3gpuE3ELNS1_3repE0EEENS1_30default_config_static_selectorELNS0_4arch9wavefront6targetE0EEEvSP_ ; -- Begin function _ZN7rocprim17ROCPRIM_400000_NS6detail17trampoline_kernelINS0_14default_configENS1_22reduce_config_selectorIlEEZNS1_11reduce_implILb1ES3_N6thrust23THRUST_200600_302600_NS11hip_rocprim26transform_input_iterator_tIlNS8_6detail15normal_iteratorINS8_10device_ptrIiEEEE6is_oddIiEEEPllNS8_4plusIlEEEE10hipError_tPvRmT1_T2_T3_mT4_P12ihipStream_tbEUlT_E1_NS1_11comp_targetILNS1_3genE9ELNS1_11target_archE1100ELNS1_3gpuE3ELNS1_3repE0EEENS1_30default_config_static_selectorELNS0_4arch9wavefront6targetE0EEEvSP_
	.globl	_ZN7rocprim17ROCPRIM_400000_NS6detail17trampoline_kernelINS0_14default_configENS1_22reduce_config_selectorIlEEZNS1_11reduce_implILb1ES3_N6thrust23THRUST_200600_302600_NS11hip_rocprim26transform_input_iterator_tIlNS8_6detail15normal_iteratorINS8_10device_ptrIiEEEE6is_oddIiEEEPllNS8_4plusIlEEEE10hipError_tPvRmT1_T2_T3_mT4_P12ihipStream_tbEUlT_E1_NS1_11comp_targetILNS1_3genE9ELNS1_11target_archE1100ELNS1_3gpuE3ELNS1_3repE0EEENS1_30default_config_static_selectorELNS0_4arch9wavefront6targetE0EEEvSP_
	.p2align	8
	.type	_ZN7rocprim17ROCPRIM_400000_NS6detail17trampoline_kernelINS0_14default_configENS1_22reduce_config_selectorIlEEZNS1_11reduce_implILb1ES3_N6thrust23THRUST_200600_302600_NS11hip_rocprim26transform_input_iterator_tIlNS8_6detail15normal_iteratorINS8_10device_ptrIiEEEE6is_oddIiEEEPllNS8_4plusIlEEEE10hipError_tPvRmT1_T2_T3_mT4_P12ihipStream_tbEUlT_E1_NS1_11comp_targetILNS1_3genE9ELNS1_11target_archE1100ELNS1_3gpuE3ELNS1_3repE0EEENS1_30default_config_static_selectorELNS0_4arch9wavefront6targetE0EEEvSP_,@function
_ZN7rocprim17ROCPRIM_400000_NS6detail17trampoline_kernelINS0_14default_configENS1_22reduce_config_selectorIlEEZNS1_11reduce_implILb1ES3_N6thrust23THRUST_200600_302600_NS11hip_rocprim26transform_input_iterator_tIlNS8_6detail15normal_iteratorINS8_10device_ptrIiEEEE6is_oddIiEEEPllNS8_4plusIlEEEE10hipError_tPvRmT1_T2_T3_mT4_P12ihipStream_tbEUlT_E1_NS1_11comp_targetILNS1_3genE9ELNS1_11target_archE1100ELNS1_3gpuE3ELNS1_3repE0EEENS1_30default_config_static_selectorELNS0_4arch9wavefront6targetE0EEEvSP_: ; @_ZN7rocprim17ROCPRIM_400000_NS6detail17trampoline_kernelINS0_14default_configENS1_22reduce_config_selectorIlEEZNS1_11reduce_implILb1ES3_N6thrust23THRUST_200600_302600_NS11hip_rocprim26transform_input_iterator_tIlNS8_6detail15normal_iteratorINS8_10device_ptrIiEEEE6is_oddIiEEEPllNS8_4plusIlEEEE10hipError_tPvRmT1_T2_T3_mT4_P12ihipStream_tbEUlT_E1_NS1_11comp_targetILNS1_3genE9ELNS1_11target_archE1100ELNS1_3gpuE3ELNS1_3repE0EEENS1_30default_config_static_selectorELNS0_4arch9wavefront6targetE0EEEvSP_
; %bb.0:
	.section	.rodata,"a",@progbits
	.p2align	6, 0x0
	.amdhsa_kernel _ZN7rocprim17ROCPRIM_400000_NS6detail17trampoline_kernelINS0_14default_configENS1_22reduce_config_selectorIlEEZNS1_11reduce_implILb1ES3_N6thrust23THRUST_200600_302600_NS11hip_rocprim26transform_input_iterator_tIlNS8_6detail15normal_iteratorINS8_10device_ptrIiEEEE6is_oddIiEEEPllNS8_4plusIlEEEE10hipError_tPvRmT1_T2_T3_mT4_P12ihipStream_tbEUlT_E1_NS1_11comp_targetILNS1_3genE9ELNS1_11target_archE1100ELNS1_3gpuE3ELNS1_3repE0EEENS1_30default_config_static_selectorELNS0_4arch9wavefront6targetE0EEEvSP_
		.amdhsa_group_segment_fixed_size 0
		.amdhsa_private_segment_fixed_size 0
		.amdhsa_kernarg_size 56
		.amdhsa_user_sgpr_count 2
		.amdhsa_user_sgpr_dispatch_ptr 0
		.amdhsa_user_sgpr_queue_ptr 0
		.amdhsa_user_sgpr_kernarg_segment_ptr 1
		.amdhsa_user_sgpr_dispatch_id 0
		.amdhsa_user_sgpr_private_segment_size 0
		.amdhsa_wavefront_size32 1
		.amdhsa_uses_dynamic_stack 0
		.amdhsa_enable_private_segment 0
		.amdhsa_system_sgpr_workgroup_id_x 1
		.amdhsa_system_sgpr_workgroup_id_y 0
		.amdhsa_system_sgpr_workgroup_id_z 0
		.amdhsa_system_sgpr_workgroup_info 0
		.amdhsa_system_vgpr_workitem_id 0
		.amdhsa_next_free_vgpr 1
		.amdhsa_next_free_sgpr 1
		.amdhsa_reserve_vcc 0
		.amdhsa_float_round_mode_32 0
		.amdhsa_float_round_mode_16_64 0
		.amdhsa_float_denorm_mode_32 3
		.amdhsa_float_denorm_mode_16_64 3
		.amdhsa_fp16_overflow 0
		.amdhsa_workgroup_processor_mode 1
		.amdhsa_memory_ordered 1
		.amdhsa_forward_progress 1
		.amdhsa_inst_pref_size 0
		.amdhsa_round_robin_scheduling 0
		.amdhsa_exception_fp_ieee_invalid_op 0
		.amdhsa_exception_fp_denorm_src 0
		.amdhsa_exception_fp_ieee_div_zero 0
		.amdhsa_exception_fp_ieee_overflow 0
		.amdhsa_exception_fp_ieee_underflow 0
		.amdhsa_exception_fp_ieee_inexact 0
		.amdhsa_exception_int_div_zero 0
	.end_amdhsa_kernel
	.section	.text._ZN7rocprim17ROCPRIM_400000_NS6detail17trampoline_kernelINS0_14default_configENS1_22reduce_config_selectorIlEEZNS1_11reduce_implILb1ES3_N6thrust23THRUST_200600_302600_NS11hip_rocprim26transform_input_iterator_tIlNS8_6detail15normal_iteratorINS8_10device_ptrIiEEEE6is_oddIiEEEPllNS8_4plusIlEEEE10hipError_tPvRmT1_T2_T3_mT4_P12ihipStream_tbEUlT_E1_NS1_11comp_targetILNS1_3genE9ELNS1_11target_archE1100ELNS1_3gpuE3ELNS1_3repE0EEENS1_30default_config_static_selectorELNS0_4arch9wavefront6targetE0EEEvSP_,"axG",@progbits,_ZN7rocprim17ROCPRIM_400000_NS6detail17trampoline_kernelINS0_14default_configENS1_22reduce_config_selectorIlEEZNS1_11reduce_implILb1ES3_N6thrust23THRUST_200600_302600_NS11hip_rocprim26transform_input_iterator_tIlNS8_6detail15normal_iteratorINS8_10device_ptrIiEEEE6is_oddIiEEEPllNS8_4plusIlEEEE10hipError_tPvRmT1_T2_T3_mT4_P12ihipStream_tbEUlT_E1_NS1_11comp_targetILNS1_3genE9ELNS1_11target_archE1100ELNS1_3gpuE3ELNS1_3repE0EEENS1_30default_config_static_selectorELNS0_4arch9wavefront6targetE0EEEvSP_,comdat
.Lfunc_end81:
	.size	_ZN7rocprim17ROCPRIM_400000_NS6detail17trampoline_kernelINS0_14default_configENS1_22reduce_config_selectorIlEEZNS1_11reduce_implILb1ES3_N6thrust23THRUST_200600_302600_NS11hip_rocprim26transform_input_iterator_tIlNS8_6detail15normal_iteratorINS8_10device_ptrIiEEEE6is_oddIiEEEPllNS8_4plusIlEEEE10hipError_tPvRmT1_T2_T3_mT4_P12ihipStream_tbEUlT_E1_NS1_11comp_targetILNS1_3genE9ELNS1_11target_archE1100ELNS1_3gpuE3ELNS1_3repE0EEENS1_30default_config_static_selectorELNS0_4arch9wavefront6targetE0EEEvSP_, .Lfunc_end81-_ZN7rocprim17ROCPRIM_400000_NS6detail17trampoline_kernelINS0_14default_configENS1_22reduce_config_selectorIlEEZNS1_11reduce_implILb1ES3_N6thrust23THRUST_200600_302600_NS11hip_rocprim26transform_input_iterator_tIlNS8_6detail15normal_iteratorINS8_10device_ptrIiEEEE6is_oddIiEEEPllNS8_4plusIlEEEE10hipError_tPvRmT1_T2_T3_mT4_P12ihipStream_tbEUlT_E1_NS1_11comp_targetILNS1_3genE9ELNS1_11target_archE1100ELNS1_3gpuE3ELNS1_3repE0EEENS1_30default_config_static_selectorELNS0_4arch9wavefront6targetE0EEEvSP_
                                        ; -- End function
	.set _ZN7rocprim17ROCPRIM_400000_NS6detail17trampoline_kernelINS0_14default_configENS1_22reduce_config_selectorIlEEZNS1_11reduce_implILb1ES3_N6thrust23THRUST_200600_302600_NS11hip_rocprim26transform_input_iterator_tIlNS8_6detail15normal_iteratorINS8_10device_ptrIiEEEE6is_oddIiEEEPllNS8_4plusIlEEEE10hipError_tPvRmT1_T2_T3_mT4_P12ihipStream_tbEUlT_E1_NS1_11comp_targetILNS1_3genE9ELNS1_11target_archE1100ELNS1_3gpuE3ELNS1_3repE0EEENS1_30default_config_static_selectorELNS0_4arch9wavefront6targetE0EEEvSP_.num_vgpr, 0
	.set _ZN7rocprim17ROCPRIM_400000_NS6detail17trampoline_kernelINS0_14default_configENS1_22reduce_config_selectorIlEEZNS1_11reduce_implILb1ES3_N6thrust23THRUST_200600_302600_NS11hip_rocprim26transform_input_iterator_tIlNS8_6detail15normal_iteratorINS8_10device_ptrIiEEEE6is_oddIiEEEPllNS8_4plusIlEEEE10hipError_tPvRmT1_T2_T3_mT4_P12ihipStream_tbEUlT_E1_NS1_11comp_targetILNS1_3genE9ELNS1_11target_archE1100ELNS1_3gpuE3ELNS1_3repE0EEENS1_30default_config_static_selectorELNS0_4arch9wavefront6targetE0EEEvSP_.num_agpr, 0
	.set _ZN7rocprim17ROCPRIM_400000_NS6detail17trampoline_kernelINS0_14default_configENS1_22reduce_config_selectorIlEEZNS1_11reduce_implILb1ES3_N6thrust23THRUST_200600_302600_NS11hip_rocprim26transform_input_iterator_tIlNS8_6detail15normal_iteratorINS8_10device_ptrIiEEEE6is_oddIiEEEPllNS8_4plusIlEEEE10hipError_tPvRmT1_T2_T3_mT4_P12ihipStream_tbEUlT_E1_NS1_11comp_targetILNS1_3genE9ELNS1_11target_archE1100ELNS1_3gpuE3ELNS1_3repE0EEENS1_30default_config_static_selectorELNS0_4arch9wavefront6targetE0EEEvSP_.numbered_sgpr, 0
	.set _ZN7rocprim17ROCPRIM_400000_NS6detail17trampoline_kernelINS0_14default_configENS1_22reduce_config_selectorIlEEZNS1_11reduce_implILb1ES3_N6thrust23THRUST_200600_302600_NS11hip_rocprim26transform_input_iterator_tIlNS8_6detail15normal_iteratorINS8_10device_ptrIiEEEE6is_oddIiEEEPllNS8_4plusIlEEEE10hipError_tPvRmT1_T2_T3_mT4_P12ihipStream_tbEUlT_E1_NS1_11comp_targetILNS1_3genE9ELNS1_11target_archE1100ELNS1_3gpuE3ELNS1_3repE0EEENS1_30default_config_static_selectorELNS0_4arch9wavefront6targetE0EEEvSP_.num_named_barrier, 0
	.set _ZN7rocprim17ROCPRIM_400000_NS6detail17trampoline_kernelINS0_14default_configENS1_22reduce_config_selectorIlEEZNS1_11reduce_implILb1ES3_N6thrust23THRUST_200600_302600_NS11hip_rocprim26transform_input_iterator_tIlNS8_6detail15normal_iteratorINS8_10device_ptrIiEEEE6is_oddIiEEEPllNS8_4plusIlEEEE10hipError_tPvRmT1_T2_T3_mT4_P12ihipStream_tbEUlT_E1_NS1_11comp_targetILNS1_3genE9ELNS1_11target_archE1100ELNS1_3gpuE3ELNS1_3repE0EEENS1_30default_config_static_selectorELNS0_4arch9wavefront6targetE0EEEvSP_.private_seg_size, 0
	.set _ZN7rocprim17ROCPRIM_400000_NS6detail17trampoline_kernelINS0_14default_configENS1_22reduce_config_selectorIlEEZNS1_11reduce_implILb1ES3_N6thrust23THRUST_200600_302600_NS11hip_rocprim26transform_input_iterator_tIlNS8_6detail15normal_iteratorINS8_10device_ptrIiEEEE6is_oddIiEEEPllNS8_4plusIlEEEE10hipError_tPvRmT1_T2_T3_mT4_P12ihipStream_tbEUlT_E1_NS1_11comp_targetILNS1_3genE9ELNS1_11target_archE1100ELNS1_3gpuE3ELNS1_3repE0EEENS1_30default_config_static_selectorELNS0_4arch9wavefront6targetE0EEEvSP_.uses_vcc, 0
	.set _ZN7rocprim17ROCPRIM_400000_NS6detail17trampoline_kernelINS0_14default_configENS1_22reduce_config_selectorIlEEZNS1_11reduce_implILb1ES3_N6thrust23THRUST_200600_302600_NS11hip_rocprim26transform_input_iterator_tIlNS8_6detail15normal_iteratorINS8_10device_ptrIiEEEE6is_oddIiEEEPllNS8_4plusIlEEEE10hipError_tPvRmT1_T2_T3_mT4_P12ihipStream_tbEUlT_E1_NS1_11comp_targetILNS1_3genE9ELNS1_11target_archE1100ELNS1_3gpuE3ELNS1_3repE0EEENS1_30default_config_static_selectorELNS0_4arch9wavefront6targetE0EEEvSP_.uses_flat_scratch, 0
	.set _ZN7rocprim17ROCPRIM_400000_NS6detail17trampoline_kernelINS0_14default_configENS1_22reduce_config_selectorIlEEZNS1_11reduce_implILb1ES3_N6thrust23THRUST_200600_302600_NS11hip_rocprim26transform_input_iterator_tIlNS8_6detail15normal_iteratorINS8_10device_ptrIiEEEE6is_oddIiEEEPllNS8_4plusIlEEEE10hipError_tPvRmT1_T2_T3_mT4_P12ihipStream_tbEUlT_E1_NS1_11comp_targetILNS1_3genE9ELNS1_11target_archE1100ELNS1_3gpuE3ELNS1_3repE0EEENS1_30default_config_static_selectorELNS0_4arch9wavefront6targetE0EEEvSP_.has_dyn_sized_stack, 0
	.set _ZN7rocprim17ROCPRIM_400000_NS6detail17trampoline_kernelINS0_14default_configENS1_22reduce_config_selectorIlEEZNS1_11reduce_implILb1ES3_N6thrust23THRUST_200600_302600_NS11hip_rocprim26transform_input_iterator_tIlNS8_6detail15normal_iteratorINS8_10device_ptrIiEEEE6is_oddIiEEEPllNS8_4plusIlEEEE10hipError_tPvRmT1_T2_T3_mT4_P12ihipStream_tbEUlT_E1_NS1_11comp_targetILNS1_3genE9ELNS1_11target_archE1100ELNS1_3gpuE3ELNS1_3repE0EEENS1_30default_config_static_selectorELNS0_4arch9wavefront6targetE0EEEvSP_.has_recursion, 0
	.set _ZN7rocprim17ROCPRIM_400000_NS6detail17trampoline_kernelINS0_14default_configENS1_22reduce_config_selectorIlEEZNS1_11reduce_implILb1ES3_N6thrust23THRUST_200600_302600_NS11hip_rocprim26transform_input_iterator_tIlNS8_6detail15normal_iteratorINS8_10device_ptrIiEEEE6is_oddIiEEEPllNS8_4plusIlEEEE10hipError_tPvRmT1_T2_T3_mT4_P12ihipStream_tbEUlT_E1_NS1_11comp_targetILNS1_3genE9ELNS1_11target_archE1100ELNS1_3gpuE3ELNS1_3repE0EEENS1_30default_config_static_selectorELNS0_4arch9wavefront6targetE0EEEvSP_.has_indirect_call, 0
	.section	.AMDGPU.csdata,"",@progbits
; Kernel info:
; codeLenInByte = 0
; TotalNumSgprs: 0
; NumVgprs: 0
; ScratchSize: 0
; MemoryBound: 0
; FloatMode: 240
; IeeeMode: 1
; LDSByteSize: 0 bytes/workgroup (compile time only)
; SGPRBlocks: 0
; VGPRBlocks: 0
; NumSGPRsForWavesPerEU: 1
; NumVGPRsForWavesPerEU: 1
; Occupancy: 16
; WaveLimiterHint : 0
; COMPUTE_PGM_RSRC2:SCRATCH_EN: 0
; COMPUTE_PGM_RSRC2:USER_SGPR: 2
; COMPUTE_PGM_RSRC2:TRAP_HANDLER: 0
; COMPUTE_PGM_RSRC2:TGID_X_EN: 1
; COMPUTE_PGM_RSRC2:TGID_Y_EN: 0
; COMPUTE_PGM_RSRC2:TGID_Z_EN: 0
; COMPUTE_PGM_RSRC2:TIDIG_COMP_CNT: 0
	.section	.text._ZN7rocprim17ROCPRIM_400000_NS6detail17trampoline_kernelINS0_14default_configENS1_22reduce_config_selectorIlEEZNS1_11reduce_implILb1ES3_N6thrust23THRUST_200600_302600_NS11hip_rocprim26transform_input_iterator_tIlNS8_6detail15normal_iteratorINS8_10device_ptrIiEEEE6is_oddIiEEEPllNS8_4plusIlEEEE10hipError_tPvRmT1_T2_T3_mT4_P12ihipStream_tbEUlT_E1_NS1_11comp_targetILNS1_3genE8ELNS1_11target_archE1030ELNS1_3gpuE2ELNS1_3repE0EEENS1_30default_config_static_selectorELNS0_4arch9wavefront6targetE0EEEvSP_,"axG",@progbits,_ZN7rocprim17ROCPRIM_400000_NS6detail17trampoline_kernelINS0_14default_configENS1_22reduce_config_selectorIlEEZNS1_11reduce_implILb1ES3_N6thrust23THRUST_200600_302600_NS11hip_rocprim26transform_input_iterator_tIlNS8_6detail15normal_iteratorINS8_10device_ptrIiEEEE6is_oddIiEEEPllNS8_4plusIlEEEE10hipError_tPvRmT1_T2_T3_mT4_P12ihipStream_tbEUlT_E1_NS1_11comp_targetILNS1_3genE8ELNS1_11target_archE1030ELNS1_3gpuE2ELNS1_3repE0EEENS1_30default_config_static_selectorELNS0_4arch9wavefront6targetE0EEEvSP_,comdat
	.protected	_ZN7rocprim17ROCPRIM_400000_NS6detail17trampoline_kernelINS0_14default_configENS1_22reduce_config_selectorIlEEZNS1_11reduce_implILb1ES3_N6thrust23THRUST_200600_302600_NS11hip_rocprim26transform_input_iterator_tIlNS8_6detail15normal_iteratorINS8_10device_ptrIiEEEE6is_oddIiEEEPllNS8_4plusIlEEEE10hipError_tPvRmT1_T2_T3_mT4_P12ihipStream_tbEUlT_E1_NS1_11comp_targetILNS1_3genE8ELNS1_11target_archE1030ELNS1_3gpuE2ELNS1_3repE0EEENS1_30default_config_static_selectorELNS0_4arch9wavefront6targetE0EEEvSP_ ; -- Begin function _ZN7rocprim17ROCPRIM_400000_NS6detail17trampoline_kernelINS0_14default_configENS1_22reduce_config_selectorIlEEZNS1_11reduce_implILb1ES3_N6thrust23THRUST_200600_302600_NS11hip_rocprim26transform_input_iterator_tIlNS8_6detail15normal_iteratorINS8_10device_ptrIiEEEE6is_oddIiEEEPllNS8_4plusIlEEEE10hipError_tPvRmT1_T2_T3_mT4_P12ihipStream_tbEUlT_E1_NS1_11comp_targetILNS1_3genE8ELNS1_11target_archE1030ELNS1_3gpuE2ELNS1_3repE0EEENS1_30default_config_static_selectorELNS0_4arch9wavefront6targetE0EEEvSP_
	.globl	_ZN7rocprim17ROCPRIM_400000_NS6detail17trampoline_kernelINS0_14default_configENS1_22reduce_config_selectorIlEEZNS1_11reduce_implILb1ES3_N6thrust23THRUST_200600_302600_NS11hip_rocprim26transform_input_iterator_tIlNS8_6detail15normal_iteratorINS8_10device_ptrIiEEEE6is_oddIiEEEPllNS8_4plusIlEEEE10hipError_tPvRmT1_T2_T3_mT4_P12ihipStream_tbEUlT_E1_NS1_11comp_targetILNS1_3genE8ELNS1_11target_archE1030ELNS1_3gpuE2ELNS1_3repE0EEENS1_30default_config_static_selectorELNS0_4arch9wavefront6targetE0EEEvSP_
	.p2align	8
	.type	_ZN7rocprim17ROCPRIM_400000_NS6detail17trampoline_kernelINS0_14default_configENS1_22reduce_config_selectorIlEEZNS1_11reduce_implILb1ES3_N6thrust23THRUST_200600_302600_NS11hip_rocprim26transform_input_iterator_tIlNS8_6detail15normal_iteratorINS8_10device_ptrIiEEEE6is_oddIiEEEPllNS8_4plusIlEEEE10hipError_tPvRmT1_T2_T3_mT4_P12ihipStream_tbEUlT_E1_NS1_11comp_targetILNS1_3genE8ELNS1_11target_archE1030ELNS1_3gpuE2ELNS1_3repE0EEENS1_30default_config_static_selectorELNS0_4arch9wavefront6targetE0EEEvSP_,@function
_ZN7rocprim17ROCPRIM_400000_NS6detail17trampoline_kernelINS0_14default_configENS1_22reduce_config_selectorIlEEZNS1_11reduce_implILb1ES3_N6thrust23THRUST_200600_302600_NS11hip_rocprim26transform_input_iterator_tIlNS8_6detail15normal_iteratorINS8_10device_ptrIiEEEE6is_oddIiEEEPllNS8_4plusIlEEEE10hipError_tPvRmT1_T2_T3_mT4_P12ihipStream_tbEUlT_E1_NS1_11comp_targetILNS1_3genE8ELNS1_11target_archE1030ELNS1_3gpuE2ELNS1_3repE0EEENS1_30default_config_static_selectorELNS0_4arch9wavefront6targetE0EEEvSP_: ; @_ZN7rocprim17ROCPRIM_400000_NS6detail17trampoline_kernelINS0_14default_configENS1_22reduce_config_selectorIlEEZNS1_11reduce_implILb1ES3_N6thrust23THRUST_200600_302600_NS11hip_rocprim26transform_input_iterator_tIlNS8_6detail15normal_iteratorINS8_10device_ptrIiEEEE6is_oddIiEEEPllNS8_4plusIlEEEE10hipError_tPvRmT1_T2_T3_mT4_P12ihipStream_tbEUlT_E1_NS1_11comp_targetILNS1_3genE8ELNS1_11target_archE1030ELNS1_3gpuE2ELNS1_3repE0EEENS1_30default_config_static_selectorELNS0_4arch9wavefront6targetE0EEEvSP_
; %bb.0:
	.section	.rodata,"a",@progbits
	.p2align	6, 0x0
	.amdhsa_kernel _ZN7rocprim17ROCPRIM_400000_NS6detail17trampoline_kernelINS0_14default_configENS1_22reduce_config_selectorIlEEZNS1_11reduce_implILb1ES3_N6thrust23THRUST_200600_302600_NS11hip_rocprim26transform_input_iterator_tIlNS8_6detail15normal_iteratorINS8_10device_ptrIiEEEE6is_oddIiEEEPllNS8_4plusIlEEEE10hipError_tPvRmT1_T2_T3_mT4_P12ihipStream_tbEUlT_E1_NS1_11comp_targetILNS1_3genE8ELNS1_11target_archE1030ELNS1_3gpuE2ELNS1_3repE0EEENS1_30default_config_static_selectorELNS0_4arch9wavefront6targetE0EEEvSP_
		.amdhsa_group_segment_fixed_size 0
		.amdhsa_private_segment_fixed_size 0
		.amdhsa_kernarg_size 56
		.amdhsa_user_sgpr_count 2
		.amdhsa_user_sgpr_dispatch_ptr 0
		.amdhsa_user_sgpr_queue_ptr 0
		.amdhsa_user_sgpr_kernarg_segment_ptr 1
		.amdhsa_user_sgpr_dispatch_id 0
		.amdhsa_user_sgpr_private_segment_size 0
		.amdhsa_wavefront_size32 1
		.amdhsa_uses_dynamic_stack 0
		.amdhsa_enable_private_segment 0
		.amdhsa_system_sgpr_workgroup_id_x 1
		.amdhsa_system_sgpr_workgroup_id_y 0
		.amdhsa_system_sgpr_workgroup_id_z 0
		.amdhsa_system_sgpr_workgroup_info 0
		.amdhsa_system_vgpr_workitem_id 0
		.amdhsa_next_free_vgpr 1
		.amdhsa_next_free_sgpr 1
		.amdhsa_reserve_vcc 0
		.amdhsa_float_round_mode_32 0
		.amdhsa_float_round_mode_16_64 0
		.amdhsa_float_denorm_mode_32 3
		.amdhsa_float_denorm_mode_16_64 3
		.amdhsa_fp16_overflow 0
		.amdhsa_workgroup_processor_mode 1
		.amdhsa_memory_ordered 1
		.amdhsa_forward_progress 1
		.amdhsa_inst_pref_size 0
		.amdhsa_round_robin_scheduling 0
		.amdhsa_exception_fp_ieee_invalid_op 0
		.amdhsa_exception_fp_denorm_src 0
		.amdhsa_exception_fp_ieee_div_zero 0
		.amdhsa_exception_fp_ieee_overflow 0
		.amdhsa_exception_fp_ieee_underflow 0
		.amdhsa_exception_fp_ieee_inexact 0
		.amdhsa_exception_int_div_zero 0
	.end_amdhsa_kernel
	.section	.text._ZN7rocprim17ROCPRIM_400000_NS6detail17trampoline_kernelINS0_14default_configENS1_22reduce_config_selectorIlEEZNS1_11reduce_implILb1ES3_N6thrust23THRUST_200600_302600_NS11hip_rocprim26transform_input_iterator_tIlNS8_6detail15normal_iteratorINS8_10device_ptrIiEEEE6is_oddIiEEEPllNS8_4plusIlEEEE10hipError_tPvRmT1_T2_T3_mT4_P12ihipStream_tbEUlT_E1_NS1_11comp_targetILNS1_3genE8ELNS1_11target_archE1030ELNS1_3gpuE2ELNS1_3repE0EEENS1_30default_config_static_selectorELNS0_4arch9wavefront6targetE0EEEvSP_,"axG",@progbits,_ZN7rocprim17ROCPRIM_400000_NS6detail17trampoline_kernelINS0_14default_configENS1_22reduce_config_selectorIlEEZNS1_11reduce_implILb1ES3_N6thrust23THRUST_200600_302600_NS11hip_rocprim26transform_input_iterator_tIlNS8_6detail15normal_iteratorINS8_10device_ptrIiEEEE6is_oddIiEEEPllNS8_4plusIlEEEE10hipError_tPvRmT1_T2_T3_mT4_P12ihipStream_tbEUlT_E1_NS1_11comp_targetILNS1_3genE8ELNS1_11target_archE1030ELNS1_3gpuE2ELNS1_3repE0EEENS1_30default_config_static_selectorELNS0_4arch9wavefront6targetE0EEEvSP_,comdat
.Lfunc_end82:
	.size	_ZN7rocprim17ROCPRIM_400000_NS6detail17trampoline_kernelINS0_14default_configENS1_22reduce_config_selectorIlEEZNS1_11reduce_implILb1ES3_N6thrust23THRUST_200600_302600_NS11hip_rocprim26transform_input_iterator_tIlNS8_6detail15normal_iteratorINS8_10device_ptrIiEEEE6is_oddIiEEEPllNS8_4plusIlEEEE10hipError_tPvRmT1_T2_T3_mT4_P12ihipStream_tbEUlT_E1_NS1_11comp_targetILNS1_3genE8ELNS1_11target_archE1030ELNS1_3gpuE2ELNS1_3repE0EEENS1_30default_config_static_selectorELNS0_4arch9wavefront6targetE0EEEvSP_, .Lfunc_end82-_ZN7rocprim17ROCPRIM_400000_NS6detail17trampoline_kernelINS0_14default_configENS1_22reduce_config_selectorIlEEZNS1_11reduce_implILb1ES3_N6thrust23THRUST_200600_302600_NS11hip_rocprim26transform_input_iterator_tIlNS8_6detail15normal_iteratorINS8_10device_ptrIiEEEE6is_oddIiEEEPllNS8_4plusIlEEEE10hipError_tPvRmT1_T2_T3_mT4_P12ihipStream_tbEUlT_E1_NS1_11comp_targetILNS1_3genE8ELNS1_11target_archE1030ELNS1_3gpuE2ELNS1_3repE0EEENS1_30default_config_static_selectorELNS0_4arch9wavefront6targetE0EEEvSP_
                                        ; -- End function
	.set _ZN7rocprim17ROCPRIM_400000_NS6detail17trampoline_kernelINS0_14default_configENS1_22reduce_config_selectorIlEEZNS1_11reduce_implILb1ES3_N6thrust23THRUST_200600_302600_NS11hip_rocprim26transform_input_iterator_tIlNS8_6detail15normal_iteratorINS8_10device_ptrIiEEEE6is_oddIiEEEPllNS8_4plusIlEEEE10hipError_tPvRmT1_T2_T3_mT4_P12ihipStream_tbEUlT_E1_NS1_11comp_targetILNS1_3genE8ELNS1_11target_archE1030ELNS1_3gpuE2ELNS1_3repE0EEENS1_30default_config_static_selectorELNS0_4arch9wavefront6targetE0EEEvSP_.num_vgpr, 0
	.set _ZN7rocprim17ROCPRIM_400000_NS6detail17trampoline_kernelINS0_14default_configENS1_22reduce_config_selectorIlEEZNS1_11reduce_implILb1ES3_N6thrust23THRUST_200600_302600_NS11hip_rocprim26transform_input_iterator_tIlNS8_6detail15normal_iteratorINS8_10device_ptrIiEEEE6is_oddIiEEEPllNS8_4plusIlEEEE10hipError_tPvRmT1_T2_T3_mT4_P12ihipStream_tbEUlT_E1_NS1_11comp_targetILNS1_3genE8ELNS1_11target_archE1030ELNS1_3gpuE2ELNS1_3repE0EEENS1_30default_config_static_selectorELNS0_4arch9wavefront6targetE0EEEvSP_.num_agpr, 0
	.set _ZN7rocprim17ROCPRIM_400000_NS6detail17trampoline_kernelINS0_14default_configENS1_22reduce_config_selectorIlEEZNS1_11reduce_implILb1ES3_N6thrust23THRUST_200600_302600_NS11hip_rocprim26transform_input_iterator_tIlNS8_6detail15normal_iteratorINS8_10device_ptrIiEEEE6is_oddIiEEEPllNS8_4plusIlEEEE10hipError_tPvRmT1_T2_T3_mT4_P12ihipStream_tbEUlT_E1_NS1_11comp_targetILNS1_3genE8ELNS1_11target_archE1030ELNS1_3gpuE2ELNS1_3repE0EEENS1_30default_config_static_selectorELNS0_4arch9wavefront6targetE0EEEvSP_.numbered_sgpr, 0
	.set _ZN7rocprim17ROCPRIM_400000_NS6detail17trampoline_kernelINS0_14default_configENS1_22reduce_config_selectorIlEEZNS1_11reduce_implILb1ES3_N6thrust23THRUST_200600_302600_NS11hip_rocprim26transform_input_iterator_tIlNS8_6detail15normal_iteratorINS8_10device_ptrIiEEEE6is_oddIiEEEPllNS8_4plusIlEEEE10hipError_tPvRmT1_T2_T3_mT4_P12ihipStream_tbEUlT_E1_NS1_11comp_targetILNS1_3genE8ELNS1_11target_archE1030ELNS1_3gpuE2ELNS1_3repE0EEENS1_30default_config_static_selectorELNS0_4arch9wavefront6targetE0EEEvSP_.num_named_barrier, 0
	.set _ZN7rocprim17ROCPRIM_400000_NS6detail17trampoline_kernelINS0_14default_configENS1_22reduce_config_selectorIlEEZNS1_11reduce_implILb1ES3_N6thrust23THRUST_200600_302600_NS11hip_rocprim26transform_input_iterator_tIlNS8_6detail15normal_iteratorINS8_10device_ptrIiEEEE6is_oddIiEEEPllNS8_4plusIlEEEE10hipError_tPvRmT1_T2_T3_mT4_P12ihipStream_tbEUlT_E1_NS1_11comp_targetILNS1_3genE8ELNS1_11target_archE1030ELNS1_3gpuE2ELNS1_3repE0EEENS1_30default_config_static_selectorELNS0_4arch9wavefront6targetE0EEEvSP_.private_seg_size, 0
	.set _ZN7rocprim17ROCPRIM_400000_NS6detail17trampoline_kernelINS0_14default_configENS1_22reduce_config_selectorIlEEZNS1_11reduce_implILb1ES3_N6thrust23THRUST_200600_302600_NS11hip_rocprim26transform_input_iterator_tIlNS8_6detail15normal_iteratorINS8_10device_ptrIiEEEE6is_oddIiEEEPllNS8_4plusIlEEEE10hipError_tPvRmT1_T2_T3_mT4_P12ihipStream_tbEUlT_E1_NS1_11comp_targetILNS1_3genE8ELNS1_11target_archE1030ELNS1_3gpuE2ELNS1_3repE0EEENS1_30default_config_static_selectorELNS0_4arch9wavefront6targetE0EEEvSP_.uses_vcc, 0
	.set _ZN7rocprim17ROCPRIM_400000_NS6detail17trampoline_kernelINS0_14default_configENS1_22reduce_config_selectorIlEEZNS1_11reduce_implILb1ES3_N6thrust23THRUST_200600_302600_NS11hip_rocprim26transform_input_iterator_tIlNS8_6detail15normal_iteratorINS8_10device_ptrIiEEEE6is_oddIiEEEPllNS8_4plusIlEEEE10hipError_tPvRmT1_T2_T3_mT4_P12ihipStream_tbEUlT_E1_NS1_11comp_targetILNS1_3genE8ELNS1_11target_archE1030ELNS1_3gpuE2ELNS1_3repE0EEENS1_30default_config_static_selectorELNS0_4arch9wavefront6targetE0EEEvSP_.uses_flat_scratch, 0
	.set _ZN7rocprim17ROCPRIM_400000_NS6detail17trampoline_kernelINS0_14default_configENS1_22reduce_config_selectorIlEEZNS1_11reduce_implILb1ES3_N6thrust23THRUST_200600_302600_NS11hip_rocprim26transform_input_iterator_tIlNS8_6detail15normal_iteratorINS8_10device_ptrIiEEEE6is_oddIiEEEPllNS8_4plusIlEEEE10hipError_tPvRmT1_T2_T3_mT4_P12ihipStream_tbEUlT_E1_NS1_11comp_targetILNS1_3genE8ELNS1_11target_archE1030ELNS1_3gpuE2ELNS1_3repE0EEENS1_30default_config_static_selectorELNS0_4arch9wavefront6targetE0EEEvSP_.has_dyn_sized_stack, 0
	.set _ZN7rocprim17ROCPRIM_400000_NS6detail17trampoline_kernelINS0_14default_configENS1_22reduce_config_selectorIlEEZNS1_11reduce_implILb1ES3_N6thrust23THRUST_200600_302600_NS11hip_rocprim26transform_input_iterator_tIlNS8_6detail15normal_iteratorINS8_10device_ptrIiEEEE6is_oddIiEEEPllNS8_4plusIlEEEE10hipError_tPvRmT1_T2_T3_mT4_P12ihipStream_tbEUlT_E1_NS1_11comp_targetILNS1_3genE8ELNS1_11target_archE1030ELNS1_3gpuE2ELNS1_3repE0EEENS1_30default_config_static_selectorELNS0_4arch9wavefront6targetE0EEEvSP_.has_recursion, 0
	.set _ZN7rocprim17ROCPRIM_400000_NS6detail17trampoline_kernelINS0_14default_configENS1_22reduce_config_selectorIlEEZNS1_11reduce_implILb1ES3_N6thrust23THRUST_200600_302600_NS11hip_rocprim26transform_input_iterator_tIlNS8_6detail15normal_iteratorINS8_10device_ptrIiEEEE6is_oddIiEEEPllNS8_4plusIlEEEE10hipError_tPvRmT1_T2_T3_mT4_P12ihipStream_tbEUlT_E1_NS1_11comp_targetILNS1_3genE8ELNS1_11target_archE1030ELNS1_3gpuE2ELNS1_3repE0EEENS1_30default_config_static_selectorELNS0_4arch9wavefront6targetE0EEEvSP_.has_indirect_call, 0
	.section	.AMDGPU.csdata,"",@progbits
; Kernel info:
; codeLenInByte = 0
; TotalNumSgprs: 0
; NumVgprs: 0
; ScratchSize: 0
; MemoryBound: 0
; FloatMode: 240
; IeeeMode: 1
; LDSByteSize: 0 bytes/workgroup (compile time only)
; SGPRBlocks: 0
; VGPRBlocks: 0
; NumSGPRsForWavesPerEU: 1
; NumVGPRsForWavesPerEU: 1
; Occupancy: 16
; WaveLimiterHint : 0
; COMPUTE_PGM_RSRC2:SCRATCH_EN: 0
; COMPUTE_PGM_RSRC2:USER_SGPR: 2
; COMPUTE_PGM_RSRC2:TRAP_HANDLER: 0
; COMPUTE_PGM_RSRC2:TGID_X_EN: 1
; COMPUTE_PGM_RSRC2:TGID_Y_EN: 0
; COMPUTE_PGM_RSRC2:TGID_Z_EN: 0
; COMPUTE_PGM_RSRC2:TIDIG_COMP_CNT: 0
	.section	.text._ZN7rocprim17ROCPRIM_400000_NS6detail17trampoline_kernelINS0_14default_configENS1_25partition_config_selectorILNS1_17partition_subalgoE6EiNS0_10empty_typeEbEEZZNS1_14partition_implILS5_6ELb0ES3_mN6thrust23THRUST_200600_302600_NS6detail15normal_iteratorINSA_10device_ptrIiEEEEPS6_SG_NS0_5tupleIJSF_S6_EEENSH_IJSG_SG_EEES6_PlJNSB_9not_fun_tI6is_oddIiEEEEEE10hipError_tPvRmT3_T4_T5_T6_T7_T9_mT8_P12ihipStream_tbDpT10_ENKUlT_T0_E_clISt17integral_constantIbLb0EES18_EEDaS13_S14_EUlS13_E_NS1_11comp_targetILNS1_3genE0ELNS1_11target_archE4294967295ELNS1_3gpuE0ELNS1_3repE0EEENS1_30default_config_static_selectorELNS0_4arch9wavefront6targetE0EEEvT1_,"axG",@progbits,_ZN7rocprim17ROCPRIM_400000_NS6detail17trampoline_kernelINS0_14default_configENS1_25partition_config_selectorILNS1_17partition_subalgoE6EiNS0_10empty_typeEbEEZZNS1_14partition_implILS5_6ELb0ES3_mN6thrust23THRUST_200600_302600_NS6detail15normal_iteratorINSA_10device_ptrIiEEEEPS6_SG_NS0_5tupleIJSF_S6_EEENSH_IJSG_SG_EEES6_PlJNSB_9not_fun_tI6is_oddIiEEEEEE10hipError_tPvRmT3_T4_T5_T6_T7_T9_mT8_P12ihipStream_tbDpT10_ENKUlT_T0_E_clISt17integral_constantIbLb0EES18_EEDaS13_S14_EUlS13_E_NS1_11comp_targetILNS1_3genE0ELNS1_11target_archE4294967295ELNS1_3gpuE0ELNS1_3repE0EEENS1_30default_config_static_selectorELNS0_4arch9wavefront6targetE0EEEvT1_,comdat
	.protected	_ZN7rocprim17ROCPRIM_400000_NS6detail17trampoline_kernelINS0_14default_configENS1_25partition_config_selectorILNS1_17partition_subalgoE6EiNS0_10empty_typeEbEEZZNS1_14partition_implILS5_6ELb0ES3_mN6thrust23THRUST_200600_302600_NS6detail15normal_iteratorINSA_10device_ptrIiEEEEPS6_SG_NS0_5tupleIJSF_S6_EEENSH_IJSG_SG_EEES6_PlJNSB_9not_fun_tI6is_oddIiEEEEEE10hipError_tPvRmT3_T4_T5_T6_T7_T9_mT8_P12ihipStream_tbDpT10_ENKUlT_T0_E_clISt17integral_constantIbLb0EES18_EEDaS13_S14_EUlS13_E_NS1_11comp_targetILNS1_3genE0ELNS1_11target_archE4294967295ELNS1_3gpuE0ELNS1_3repE0EEENS1_30default_config_static_selectorELNS0_4arch9wavefront6targetE0EEEvT1_ ; -- Begin function _ZN7rocprim17ROCPRIM_400000_NS6detail17trampoline_kernelINS0_14default_configENS1_25partition_config_selectorILNS1_17partition_subalgoE6EiNS0_10empty_typeEbEEZZNS1_14partition_implILS5_6ELb0ES3_mN6thrust23THRUST_200600_302600_NS6detail15normal_iteratorINSA_10device_ptrIiEEEEPS6_SG_NS0_5tupleIJSF_S6_EEENSH_IJSG_SG_EEES6_PlJNSB_9not_fun_tI6is_oddIiEEEEEE10hipError_tPvRmT3_T4_T5_T6_T7_T9_mT8_P12ihipStream_tbDpT10_ENKUlT_T0_E_clISt17integral_constantIbLb0EES18_EEDaS13_S14_EUlS13_E_NS1_11comp_targetILNS1_3genE0ELNS1_11target_archE4294967295ELNS1_3gpuE0ELNS1_3repE0EEENS1_30default_config_static_selectorELNS0_4arch9wavefront6targetE0EEEvT1_
	.globl	_ZN7rocprim17ROCPRIM_400000_NS6detail17trampoline_kernelINS0_14default_configENS1_25partition_config_selectorILNS1_17partition_subalgoE6EiNS0_10empty_typeEbEEZZNS1_14partition_implILS5_6ELb0ES3_mN6thrust23THRUST_200600_302600_NS6detail15normal_iteratorINSA_10device_ptrIiEEEEPS6_SG_NS0_5tupleIJSF_S6_EEENSH_IJSG_SG_EEES6_PlJNSB_9not_fun_tI6is_oddIiEEEEEE10hipError_tPvRmT3_T4_T5_T6_T7_T9_mT8_P12ihipStream_tbDpT10_ENKUlT_T0_E_clISt17integral_constantIbLb0EES18_EEDaS13_S14_EUlS13_E_NS1_11comp_targetILNS1_3genE0ELNS1_11target_archE4294967295ELNS1_3gpuE0ELNS1_3repE0EEENS1_30default_config_static_selectorELNS0_4arch9wavefront6targetE0EEEvT1_
	.p2align	8
	.type	_ZN7rocprim17ROCPRIM_400000_NS6detail17trampoline_kernelINS0_14default_configENS1_25partition_config_selectorILNS1_17partition_subalgoE6EiNS0_10empty_typeEbEEZZNS1_14partition_implILS5_6ELb0ES3_mN6thrust23THRUST_200600_302600_NS6detail15normal_iteratorINSA_10device_ptrIiEEEEPS6_SG_NS0_5tupleIJSF_S6_EEENSH_IJSG_SG_EEES6_PlJNSB_9not_fun_tI6is_oddIiEEEEEE10hipError_tPvRmT3_T4_T5_T6_T7_T9_mT8_P12ihipStream_tbDpT10_ENKUlT_T0_E_clISt17integral_constantIbLb0EES18_EEDaS13_S14_EUlS13_E_NS1_11comp_targetILNS1_3genE0ELNS1_11target_archE4294967295ELNS1_3gpuE0ELNS1_3repE0EEENS1_30default_config_static_selectorELNS0_4arch9wavefront6targetE0EEEvT1_,@function
_ZN7rocprim17ROCPRIM_400000_NS6detail17trampoline_kernelINS0_14default_configENS1_25partition_config_selectorILNS1_17partition_subalgoE6EiNS0_10empty_typeEbEEZZNS1_14partition_implILS5_6ELb0ES3_mN6thrust23THRUST_200600_302600_NS6detail15normal_iteratorINSA_10device_ptrIiEEEEPS6_SG_NS0_5tupleIJSF_S6_EEENSH_IJSG_SG_EEES6_PlJNSB_9not_fun_tI6is_oddIiEEEEEE10hipError_tPvRmT3_T4_T5_T6_T7_T9_mT8_P12ihipStream_tbDpT10_ENKUlT_T0_E_clISt17integral_constantIbLb0EES18_EEDaS13_S14_EUlS13_E_NS1_11comp_targetILNS1_3genE0ELNS1_11target_archE4294967295ELNS1_3gpuE0ELNS1_3repE0EEENS1_30default_config_static_selectorELNS0_4arch9wavefront6targetE0EEEvT1_: ; @_ZN7rocprim17ROCPRIM_400000_NS6detail17trampoline_kernelINS0_14default_configENS1_25partition_config_selectorILNS1_17partition_subalgoE6EiNS0_10empty_typeEbEEZZNS1_14partition_implILS5_6ELb0ES3_mN6thrust23THRUST_200600_302600_NS6detail15normal_iteratorINSA_10device_ptrIiEEEEPS6_SG_NS0_5tupleIJSF_S6_EEENSH_IJSG_SG_EEES6_PlJNSB_9not_fun_tI6is_oddIiEEEEEE10hipError_tPvRmT3_T4_T5_T6_T7_T9_mT8_P12ihipStream_tbDpT10_ENKUlT_T0_E_clISt17integral_constantIbLb0EES18_EEDaS13_S14_EUlS13_E_NS1_11comp_targetILNS1_3genE0ELNS1_11target_archE4294967295ELNS1_3gpuE0ELNS1_3repE0EEENS1_30default_config_static_selectorELNS0_4arch9wavefront6targetE0EEEvT1_
; %bb.0:
	.section	.rodata,"a",@progbits
	.p2align	6, 0x0
	.amdhsa_kernel _ZN7rocprim17ROCPRIM_400000_NS6detail17trampoline_kernelINS0_14default_configENS1_25partition_config_selectorILNS1_17partition_subalgoE6EiNS0_10empty_typeEbEEZZNS1_14partition_implILS5_6ELb0ES3_mN6thrust23THRUST_200600_302600_NS6detail15normal_iteratorINSA_10device_ptrIiEEEEPS6_SG_NS0_5tupleIJSF_S6_EEENSH_IJSG_SG_EEES6_PlJNSB_9not_fun_tI6is_oddIiEEEEEE10hipError_tPvRmT3_T4_T5_T6_T7_T9_mT8_P12ihipStream_tbDpT10_ENKUlT_T0_E_clISt17integral_constantIbLb0EES18_EEDaS13_S14_EUlS13_E_NS1_11comp_targetILNS1_3genE0ELNS1_11target_archE4294967295ELNS1_3gpuE0ELNS1_3repE0EEENS1_30default_config_static_selectorELNS0_4arch9wavefront6targetE0EEEvT1_
		.amdhsa_group_segment_fixed_size 0
		.amdhsa_private_segment_fixed_size 0
		.amdhsa_kernarg_size 112
		.amdhsa_user_sgpr_count 2
		.amdhsa_user_sgpr_dispatch_ptr 0
		.amdhsa_user_sgpr_queue_ptr 0
		.amdhsa_user_sgpr_kernarg_segment_ptr 1
		.amdhsa_user_sgpr_dispatch_id 0
		.amdhsa_user_sgpr_private_segment_size 0
		.amdhsa_wavefront_size32 1
		.amdhsa_uses_dynamic_stack 0
		.amdhsa_enable_private_segment 0
		.amdhsa_system_sgpr_workgroup_id_x 1
		.amdhsa_system_sgpr_workgroup_id_y 0
		.amdhsa_system_sgpr_workgroup_id_z 0
		.amdhsa_system_sgpr_workgroup_info 0
		.amdhsa_system_vgpr_workitem_id 0
		.amdhsa_next_free_vgpr 1
		.amdhsa_next_free_sgpr 1
		.amdhsa_reserve_vcc 0
		.amdhsa_float_round_mode_32 0
		.amdhsa_float_round_mode_16_64 0
		.amdhsa_float_denorm_mode_32 3
		.amdhsa_float_denorm_mode_16_64 3
		.amdhsa_fp16_overflow 0
		.amdhsa_workgroup_processor_mode 1
		.amdhsa_memory_ordered 1
		.amdhsa_forward_progress 1
		.amdhsa_inst_pref_size 0
		.amdhsa_round_robin_scheduling 0
		.amdhsa_exception_fp_ieee_invalid_op 0
		.amdhsa_exception_fp_denorm_src 0
		.amdhsa_exception_fp_ieee_div_zero 0
		.amdhsa_exception_fp_ieee_overflow 0
		.amdhsa_exception_fp_ieee_underflow 0
		.amdhsa_exception_fp_ieee_inexact 0
		.amdhsa_exception_int_div_zero 0
	.end_amdhsa_kernel
	.section	.text._ZN7rocprim17ROCPRIM_400000_NS6detail17trampoline_kernelINS0_14default_configENS1_25partition_config_selectorILNS1_17partition_subalgoE6EiNS0_10empty_typeEbEEZZNS1_14partition_implILS5_6ELb0ES3_mN6thrust23THRUST_200600_302600_NS6detail15normal_iteratorINSA_10device_ptrIiEEEEPS6_SG_NS0_5tupleIJSF_S6_EEENSH_IJSG_SG_EEES6_PlJNSB_9not_fun_tI6is_oddIiEEEEEE10hipError_tPvRmT3_T4_T5_T6_T7_T9_mT8_P12ihipStream_tbDpT10_ENKUlT_T0_E_clISt17integral_constantIbLb0EES18_EEDaS13_S14_EUlS13_E_NS1_11comp_targetILNS1_3genE0ELNS1_11target_archE4294967295ELNS1_3gpuE0ELNS1_3repE0EEENS1_30default_config_static_selectorELNS0_4arch9wavefront6targetE0EEEvT1_,"axG",@progbits,_ZN7rocprim17ROCPRIM_400000_NS6detail17trampoline_kernelINS0_14default_configENS1_25partition_config_selectorILNS1_17partition_subalgoE6EiNS0_10empty_typeEbEEZZNS1_14partition_implILS5_6ELb0ES3_mN6thrust23THRUST_200600_302600_NS6detail15normal_iteratorINSA_10device_ptrIiEEEEPS6_SG_NS0_5tupleIJSF_S6_EEENSH_IJSG_SG_EEES6_PlJNSB_9not_fun_tI6is_oddIiEEEEEE10hipError_tPvRmT3_T4_T5_T6_T7_T9_mT8_P12ihipStream_tbDpT10_ENKUlT_T0_E_clISt17integral_constantIbLb0EES18_EEDaS13_S14_EUlS13_E_NS1_11comp_targetILNS1_3genE0ELNS1_11target_archE4294967295ELNS1_3gpuE0ELNS1_3repE0EEENS1_30default_config_static_selectorELNS0_4arch9wavefront6targetE0EEEvT1_,comdat
.Lfunc_end83:
	.size	_ZN7rocprim17ROCPRIM_400000_NS6detail17trampoline_kernelINS0_14default_configENS1_25partition_config_selectorILNS1_17partition_subalgoE6EiNS0_10empty_typeEbEEZZNS1_14partition_implILS5_6ELb0ES3_mN6thrust23THRUST_200600_302600_NS6detail15normal_iteratorINSA_10device_ptrIiEEEEPS6_SG_NS0_5tupleIJSF_S6_EEENSH_IJSG_SG_EEES6_PlJNSB_9not_fun_tI6is_oddIiEEEEEE10hipError_tPvRmT3_T4_T5_T6_T7_T9_mT8_P12ihipStream_tbDpT10_ENKUlT_T0_E_clISt17integral_constantIbLb0EES18_EEDaS13_S14_EUlS13_E_NS1_11comp_targetILNS1_3genE0ELNS1_11target_archE4294967295ELNS1_3gpuE0ELNS1_3repE0EEENS1_30default_config_static_selectorELNS0_4arch9wavefront6targetE0EEEvT1_, .Lfunc_end83-_ZN7rocprim17ROCPRIM_400000_NS6detail17trampoline_kernelINS0_14default_configENS1_25partition_config_selectorILNS1_17partition_subalgoE6EiNS0_10empty_typeEbEEZZNS1_14partition_implILS5_6ELb0ES3_mN6thrust23THRUST_200600_302600_NS6detail15normal_iteratorINSA_10device_ptrIiEEEEPS6_SG_NS0_5tupleIJSF_S6_EEENSH_IJSG_SG_EEES6_PlJNSB_9not_fun_tI6is_oddIiEEEEEE10hipError_tPvRmT3_T4_T5_T6_T7_T9_mT8_P12ihipStream_tbDpT10_ENKUlT_T0_E_clISt17integral_constantIbLb0EES18_EEDaS13_S14_EUlS13_E_NS1_11comp_targetILNS1_3genE0ELNS1_11target_archE4294967295ELNS1_3gpuE0ELNS1_3repE0EEENS1_30default_config_static_selectorELNS0_4arch9wavefront6targetE0EEEvT1_
                                        ; -- End function
	.set _ZN7rocprim17ROCPRIM_400000_NS6detail17trampoline_kernelINS0_14default_configENS1_25partition_config_selectorILNS1_17partition_subalgoE6EiNS0_10empty_typeEbEEZZNS1_14partition_implILS5_6ELb0ES3_mN6thrust23THRUST_200600_302600_NS6detail15normal_iteratorINSA_10device_ptrIiEEEEPS6_SG_NS0_5tupleIJSF_S6_EEENSH_IJSG_SG_EEES6_PlJNSB_9not_fun_tI6is_oddIiEEEEEE10hipError_tPvRmT3_T4_T5_T6_T7_T9_mT8_P12ihipStream_tbDpT10_ENKUlT_T0_E_clISt17integral_constantIbLb0EES18_EEDaS13_S14_EUlS13_E_NS1_11comp_targetILNS1_3genE0ELNS1_11target_archE4294967295ELNS1_3gpuE0ELNS1_3repE0EEENS1_30default_config_static_selectorELNS0_4arch9wavefront6targetE0EEEvT1_.num_vgpr, 0
	.set _ZN7rocprim17ROCPRIM_400000_NS6detail17trampoline_kernelINS0_14default_configENS1_25partition_config_selectorILNS1_17partition_subalgoE6EiNS0_10empty_typeEbEEZZNS1_14partition_implILS5_6ELb0ES3_mN6thrust23THRUST_200600_302600_NS6detail15normal_iteratorINSA_10device_ptrIiEEEEPS6_SG_NS0_5tupleIJSF_S6_EEENSH_IJSG_SG_EEES6_PlJNSB_9not_fun_tI6is_oddIiEEEEEE10hipError_tPvRmT3_T4_T5_T6_T7_T9_mT8_P12ihipStream_tbDpT10_ENKUlT_T0_E_clISt17integral_constantIbLb0EES18_EEDaS13_S14_EUlS13_E_NS1_11comp_targetILNS1_3genE0ELNS1_11target_archE4294967295ELNS1_3gpuE0ELNS1_3repE0EEENS1_30default_config_static_selectorELNS0_4arch9wavefront6targetE0EEEvT1_.num_agpr, 0
	.set _ZN7rocprim17ROCPRIM_400000_NS6detail17trampoline_kernelINS0_14default_configENS1_25partition_config_selectorILNS1_17partition_subalgoE6EiNS0_10empty_typeEbEEZZNS1_14partition_implILS5_6ELb0ES3_mN6thrust23THRUST_200600_302600_NS6detail15normal_iteratorINSA_10device_ptrIiEEEEPS6_SG_NS0_5tupleIJSF_S6_EEENSH_IJSG_SG_EEES6_PlJNSB_9not_fun_tI6is_oddIiEEEEEE10hipError_tPvRmT3_T4_T5_T6_T7_T9_mT8_P12ihipStream_tbDpT10_ENKUlT_T0_E_clISt17integral_constantIbLb0EES18_EEDaS13_S14_EUlS13_E_NS1_11comp_targetILNS1_3genE0ELNS1_11target_archE4294967295ELNS1_3gpuE0ELNS1_3repE0EEENS1_30default_config_static_selectorELNS0_4arch9wavefront6targetE0EEEvT1_.numbered_sgpr, 0
	.set _ZN7rocprim17ROCPRIM_400000_NS6detail17trampoline_kernelINS0_14default_configENS1_25partition_config_selectorILNS1_17partition_subalgoE6EiNS0_10empty_typeEbEEZZNS1_14partition_implILS5_6ELb0ES3_mN6thrust23THRUST_200600_302600_NS6detail15normal_iteratorINSA_10device_ptrIiEEEEPS6_SG_NS0_5tupleIJSF_S6_EEENSH_IJSG_SG_EEES6_PlJNSB_9not_fun_tI6is_oddIiEEEEEE10hipError_tPvRmT3_T4_T5_T6_T7_T9_mT8_P12ihipStream_tbDpT10_ENKUlT_T0_E_clISt17integral_constantIbLb0EES18_EEDaS13_S14_EUlS13_E_NS1_11comp_targetILNS1_3genE0ELNS1_11target_archE4294967295ELNS1_3gpuE0ELNS1_3repE0EEENS1_30default_config_static_selectorELNS0_4arch9wavefront6targetE0EEEvT1_.num_named_barrier, 0
	.set _ZN7rocprim17ROCPRIM_400000_NS6detail17trampoline_kernelINS0_14default_configENS1_25partition_config_selectorILNS1_17partition_subalgoE6EiNS0_10empty_typeEbEEZZNS1_14partition_implILS5_6ELb0ES3_mN6thrust23THRUST_200600_302600_NS6detail15normal_iteratorINSA_10device_ptrIiEEEEPS6_SG_NS0_5tupleIJSF_S6_EEENSH_IJSG_SG_EEES6_PlJNSB_9not_fun_tI6is_oddIiEEEEEE10hipError_tPvRmT3_T4_T5_T6_T7_T9_mT8_P12ihipStream_tbDpT10_ENKUlT_T0_E_clISt17integral_constantIbLb0EES18_EEDaS13_S14_EUlS13_E_NS1_11comp_targetILNS1_3genE0ELNS1_11target_archE4294967295ELNS1_3gpuE0ELNS1_3repE0EEENS1_30default_config_static_selectorELNS0_4arch9wavefront6targetE0EEEvT1_.private_seg_size, 0
	.set _ZN7rocprim17ROCPRIM_400000_NS6detail17trampoline_kernelINS0_14default_configENS1_25partition_config_selectorILNS1_17partition_subalgoE6EiNS0_10empty_typeEbEEZZNS1_14partition_implILS5_6ELb0ES3_mN6thrust23THRUST_200600_302600_NS6detail15normal_iteratorINSA_10device_ptrIiEEEEPS6_SG_NS0_5tupleIJSF_S6_EEENSH_IJSG_SG_EEES6_PlJNSB_9not_fun_tI6is_oddIiEEEEEE10hipError_tPvRmT3_T4_T5_T6_T7_T9_mT8_P12ihipStream_tbDpT10_ENKUlT_T0_E_clISt17integral_constantIbLb0EES18_EEDaS13_S14_EUlS13_E_NS1_11comp_targetILNS1_3genE0ELNS1_11target_archE4294967295ELNS1_3gpuE0ELNS1_3repE0EEENS1_30default_config_static_selectorELNS0_4arch9wavefront6targetE0EEEvT1_.uses_vcc, 0
	.set _ZN7rocprim17ROCPRIM_400000_NS6detail17trampoline_kernelINS0_14default_configENS1_25partition_config_selectorILNS1_17partition_subalgoE6EiNS0_10empty_typeEbEEZZNS1_14partition_implILS5_6ELb0ES3_mN6thrust23THRUST_200600_302600_NS6detail15normal_iteratorINSA_10device_ptrIiEEEEPS6_SG_NS0_5tupleIJSF_S6_EEENSH_IJSG_SG_EEES6_PlJNSB_9not_fun_tI6is_oddIiEEEEEE10hipError_tPvRmT3_T4_T5_T6_T7_T9_mT8_P12ihipStream_tbDpT10_ENKUlT_T0_E_clISt17integral_constantIbLb0EES18_EEDaS13_S14_EUlS13_E_NS1_11comp_targetILNS1_3genE0ELNS1_11target_archE4294967295ELNS1_3gpuE0ELNS1_3repE0EEENS1_30default_config_static_selectorELNS0_4arch9wavefront6targetE0EEEvT1_.uses_flat_scratch, 0
	.set _ZN7rocprim17ROCPRIM_400000_NS6detail17trampoline_kernelINS0_14default_configENS1_25partition_config_selectorILNS1_17partition_subalgoE6EiNS0_10empty_typeEbEEZZNS1_14partition_implILS5_6ELb0ES3_mN6thrust23THRUST_200600_302600_NS6detail15normal_iteratorINSA_10device_ptrIiEEEEPS6_SG_NS0_5tupleIJSF_S6_EEENSH_IJSG_SG_EEES6_PlJNSB_9not_fun_tI6is_oddIiEEEEEE10hipError_tPvRmT3_T4_T5_T6_T7_T9_mT8_P12ihipStream_tbDpT10_ENKUlT_T0_E_clISt17integral_constantIbLb0EES18_EEDaS13_S14_EUlS13_E_NS1_11comp_targetILNS1_3genE0ELNS1_11target_archE4294967295ELNS1_3gpuE0ELNS1_3repE0EEENS1_30default_config_static_selectorELNS0_4arch9wavefront6targetE0EEEvT1_.has_dyn_sized_stack, 0
	.set _ZN7rocprim17ROCPRIM_400000_NS6detail17trampoline_kernelINS0_14default_configENS1_25partition_config_selectorILNS1_17partition_subalgoE6EiNS0_10empty_typeEbEEZZNS1_14partition_implILS5_6ELb0ES3_mN6thrust23THRUST_200600_302600_NS6detail15normal_iteratorINSA_10device_ptrIiEEEEPS6_SG_NS0_5tupleIJSF_S6_EEENSH_IJSG_SG_EEES6_PlJNSB_9not_fun_tI6is_oddIiEEEEEE10hipError_tPvRmT3_T4_T5_T6_T7_T9_mT8_P12ihipStream_tbDpT10_ENKUlT_T0_E_clISt17integral_constantIbLb0EES18_EEDaS13_S14_EUlS13_E_NS1_11comp_targetILNS1_3genE0ELNS1_11target_archE4294967295ELNS1_3gpuE0ELNS1_3repE0EEENS1_30default_config_static_selectorELNS0_4arch9wavefront6targetE0EEEvT1_.has_recursion, 0
	.set _ZN7rocprim17ROCPRIM_400000_NS6detail17trampoline_kernelINS0_14default_configENS1_25partition_config_selectorILNS1_17partition_subalgoE6EiNS0_10empty_typeEbEEZZNS1_14partition_implILS5_6ELb0ES3_mN6thrust23THRUST_200600_302600_NS6detail15normal_iteratorINSA_10device_ptrIiEEEEPS6_SG_NS0_5tupleIJSF_S6_EEENSH_IJSG_SG_EEES6_PlJNSB_9not_fun_tI6is_oddIiEEEEEE10hipError_tPvRmT3_T4_T5_T6_T7_T9_mT8_P12ihipStream_tbDpT10_ENKUlT_T0_E_clISt17integral_constantIbLb0EES18_EEDaS13_S14_EUlS13_E_NS1_11comp_targetILNS1_3genE0ELNS1_11target_archE4294967295ELNS1_3gpuE0ELNS1_3repE0EEENS1_30default_config_static_selectorELNS0_4arch9wavefront6targetE0EEEvT1_.has_indirect_call, 0
	.section	.AMDGPU.csdata,"",@progbits
; Kernel info:
; codeLenInByte = 0
; TotalNumSgprs: 0
; NumVgprs: 0
; ScratchSize: 0
; MemoryBound: 0
; FloatMode: 240
; IeeeMode: 1
; LDSByteSize: 0 bytes/workgroup (compile time only)
; SGPRBlocks: 0
; VGPRBlocks: 0
; NumSGPRsForWavesPerEU: 1
; NumVGPRsForWavesPerEU: 1
; Occupancy: 16
; WaveLimiterHint : 0
; COMPUTE_PGM_RSRC2:SCRATCH_EN: 0
; COMPUTE_PGM_RSRC2:USER_SGPR: 2
; COMPUTE_PGM_RSRC2:TRAP_HANDLER: 0
; COMPUTE_PGM_RSRC2:TGID_X_EN: 1
; COMPUTE_PGM_RSRC2:TGID_Y_EN: 0
; COMPUTE_PGM_RSRC2:TGID_Z_EN: 0
; COMPUTE_PGM_RSRC2:TIDIG_COMP_CNT: 0
	.section	.text._ZN7rocprim17ROCPRIM_400000_NS6detail17trampoline_kernelINS0_14default_configENS1_25partition_config_selectorILNS1_17partition_subalgoE6EiNS0_10empty_typeEbEEZZNS1_14partition_implILS5_6ELb0ES3_mN6thrust23THRUST_200600_302600_NS6detail15normal_iteratorINSA_10device_ptrIiEEEEPS6_SG_NS0_5tupleIJSF_S6_EEENSH_IJSG_SG_EEES6_PlJNSB_9not_fun_tI6is_oddIiEEEEEE10hipError_tPvRmT3_T4_T5_T6_T7_T9_mT8_P12ihipStream_tbDpT10_ENKUlT_T0_E_clISt17integral_constantIbLb0EES18_EEDaS13_S14_EUlS13_E_NS1_11comp_targetILNS1_3genE5ELNS1_11target_archE942ELNS1_3gpuE9ELNS1_3repE0EEENS1_30default_config_static_selectorELNS0_4arch9wavefront6targetE0EEEvT1_,"axG",@progbits,_ZN7rocprim17ROCPRIM_400000_NS6detail17trampoline_kernelINS0_14default_configENS1_25partition_config_selectorILNS1_17partition_subalgoE6EiNS0_10empty_typeEbEEZZNS1_14partition_implILS5_6ELb0ES3_mN6thrust23THRUST_200600_302600_NS6detail15normal_iteratorINSA_10device_ptrIiEEEEPS6_SG_NS0_5tupleIJSF_S6_EEENSH_IJSG_SG_EEES6_PlJNSB_9not_fun_tI6is_oddIiEEEEEE10hipError_tPvRmT3_T4_T5_T6_T7_T9_mT8_P12ihipStream_tbDpT10_ENKUlT_T0_E_clISt17integral_constantIbLb0EES18_EEDaS13_S14_EUlS13_E_NS1_11comp_targetILNS1_3genE5ELNS1_11target_archE942ELNS1_3gpuE9ELNS1_3repE0EEENS1_30default_config_static_selectorELNS0_4arch9wavefront6targetE0EEEvT1_,comdat
	.protected	_ZN7rocprim17ROCPRIM_400000_NS6detail17trampoline_kernelINS0_14default_configENS1_25partition_config_selectorILNS1_17partition_subalgoE6EiNS0_10empty_typeEbEEZZNS1_14partition_implILS5_6ELb0ES3_mN6thrust23THRUST_200600_302600_NS6detail15normal_iteratorINSA_10device_ptrIiEEEEPS6_SG_NS0_5tupleIJSF_S6_EEENSH_IJSG_SG_EEES6_PlJNSB_9not_fun_tI6is_oddIiEEEEEE10hipError_tPvRmT3_T4_T5_T6_T7_T9_mT8_P12ihipStream_tbDpT10_ENKUlT_T0_E_clISt17integral_constantIbLb0EES18_EEDaS13_S14_EUlS13_E_NS1_11comp_targetILNS1_3genE5ELNS1_11target_archE942ELNS1_3gpuE9ELNS1_3repE0EEENS1_30default_config_static_selectorELNS0_4arch9wavefront6targetE0EEEvT1_ ; -- Begin function _ZN7rocprim17ROCPRIM_400000_NS6detail17trampoline_kernelINS0_14default_configENS1_25partition_config_selectorILNS1_17partition_subalgoE6EiNS0_10empty_typeEbEEZZNS1_14partition_implILS5_6ELb0ES3_mN6thrust23THRUST_200600_302600_NS6detail15normal_iteratorINSA_10device_ptrIiEEEEPS6_SG_NS0_5tupleIJSF_S6_EEENSH_IJSG_SG_EEES6_PlJNSB_9not_fun_tI6is_oddIiEEEEEE10hipError_tPvRmT3_T4_T5_T6_T7_T9_mT8_P12ihipStream_tbDpT10_ENKUlT_T0_E_clISt17integral_constantIbLb0EES18_EEDaS13_S14_EUlS13_E_NS1_11comp_targetILNS1_3genE5ELNS1_11target_archE942ELNS1_3gpuE9ELNS1_3repE0EEENS1_30default_config_static_selectorELNS0_4arch9wavefront6targetE0EEEvT1_
	.globl	_ZN7rocprim17ROCPRIM_400000_NS6detail17trampoline_kernelINS0_14default_configENS1_25partition_config_selectorILNS1_17partition_subalgoE6EiNS0_10empty_typeEbEEZZNS1_14partition_implILS5_6ELb0ES3_mN6thrust23THRUST_200600_302600_NS6detail15normal_iteratorINSA_10device_ptrIiEEEEPS6_SG_NS0_5tupleIJSF_S6_EEENSH_IJSG_SG_EEES6_PlJNSB_9not_fun_tI6is_oddIiEEEEEE10hipError_tPvRmT3_T4_T5_T6_T7_T9_mT8_P12ihipStream_tbDpT10_ENKUlT_T0_E_clISt17integral_constantIbLb0EES18_EEDaS13_S14_EUlS13_E_NS1_11comp_targetILNS1_3genE5ELNS1_11target_archE942ELNS1_3gpuE9ELNS1_3repE0EEENS1_30default_config_static_selectorELNS0_4arch9wavefront6targetE0EEEvT1_
	.p2align	8
	.type	_ZN7rocprim17ROCPRIM_400000_NS6detail17trampoline_kernelINS0_14default_configENS1_25partition_config_selectorILNS1_17partition_subalgoE6EiNS0_10empty_typeEbEEZZNS1_14partition_implILS5_6ELb0ES3_mN6thrust23THRUST_200600_302600_NS6detail15normal_iteratorINSA_10device_ptrIiEEEEPS6_SG_NS0_5tupleIJSF_S6_EEENSH_IJSG_SG_EEES6_PlJNSB_9not_fun_tI6is_oddIiEEEEEE10hipError_tPvRmT3_T4_T5_T6_T7_T9_mT8_P12ihipStream_tbDpT10_ENKUlT_T0_E_clISt17integral_constantIbLb0EES18_EEDaS13_S14_EUlS13_E_NS1_11comp_targetILNS1_3genE5ELNS1_11target_archE942ELNS1_3gpuE9ELNS1_3repE0EEENS1_30default_config_static_selectorELNS0_4arch9wavefront6targetE0EEEvT1_,@function
_ZN7rocprim17ROCPRIM_400000_NS6detail17trampoline_kernelINS0_14default_configENS1_25partition_config_selectorILNS1_17partition_subalgoE6EiNS0_10empty_typeEbEEZZNS1_14partition_implILS5_6ELb0ES3_mN6thrust23THRUST_200600_302600_NS6detail15normal_iteratorINSA_10device_ptrIiEEEEPS6_SG_NS0_5tupleIJSF_S6_EEENSH_IJSG_SG_EEES6_PlJNSB_9not_fun_tI6is_oddIiEEEEEE10hipError_tPvRmT3_T4_T5_T6_T7_T9_mT8_P12ihipStream_tbDpT10_ENKUlT_T0_E_clISt17integral_constantIbLb0EES18_EEDaS13_S14_EUlS13_E_NS1_11comp_targetILNS1_3genE5ELNS1_11target_archE942ELNS1_3gpuE9ELNS1_3repE0EEENS1_30default_config_static_selectorELNS0_4arch9wavefront6targetE0EEEvT1_: ; @_ZN7rocprim17ROCPRIM_400000_NS6detail17trampoline_kernelINS0_14default_configENS1_25partition_config_selectorILNS1_17partition_subalgoE6EiNS0_10empty_typeEbEEZZNS1_14partition_implILS5_6ELb0ES3_mN6thrust23THRUST_200600_302600_NS6detail15normal_iteratorINSA_10device_ptrIiEEEEPS6_SG_NS0_5tupleIJSF_S6_EEENSH_IJSG_SG_EEES6_PlJNSB_9not_fun_tI6is_oddIiEEEEEE10hipError_tPvRmT3_T4_T5_T6_T7_T9_mT8_P12ihipStream_tbDpT10_ENKUlT_T0_E_clISt17integral_constantIbLb0EES18_EEDaS13_S14_EUlS13_E_NS1_11comp_targetILNS1_3genE5ELNS1_11target_archE942ELNS1_3gpuE9ELNS1_3repE0EEENS1_30default_config_static_selectorELNS0_4arch9wavefront6targetE0EEEvT1_
; %bb.0:
	.section	.rodata,"a",@progbits
	.p2align	6, 0x0
	.amdhsa_kernel _ZN7rocprim17ROCPRIM_400000_NS6detail17trampoline_kernelINS0_14default_configENS1_25partition_config_selectorILNS1_17partition_subalgoE6EiNS0_10empty_typeEbEEZZNS1_14partition_implILS5_6ELb0ES3_mN6thrust23THRUST_200600_302600_NS6detail15normal_iteratorINSA_10device_ptrIiEEEEPS6_SG_NS0_5tupleIJSF_S6_EEENSH_IJSG_SG_EEES6_PlJNSB_9not_fun_tI6is_oddIiEEEEEE10hipError_tPvRmT3_T4_T5_T6_T7_T9_mT8_P12ihipStream_tbDpT10_ENKUlT_T0_E_clISt17integral_constantIbLb0EES18_EEDaS13_S14_EUlS13_E_NS1_11comp_targetILNS1_3genE5ELNS1_11target_archE942ELNS1_3gpuE9ELNS1_3repE0EEENS1_30default_config_static_selectorELNS0_4arch9wavefront6targetE0EEEvT1_
		.amdhsa_group_segment_fixed_size 0
		.amdhsa_private_segment_fixed_size 0
		.amdhsa_kernarg_size 112
		.amdhsa_user_sgpr_count 2
		.amdhsa_user_sgpr_dispatch_ptr 0
		.amdhsa_user_sgpr_queue_ptr 0
		.amdhsa_user_sgpr_kernarg_segment_ptr 1
		.amdhsa_user_sgpr_dispatch_id 0
		.amdhsa_user_sgpr_private_segment_size 0
		.amdhsa_wavefront_size32 1
		.amdhsa_uses_dynamic_stack 0
		.amdhsa_enable_private_segment 0
		.amdhsa_system_sgpr_workgroup_id_x 1
		.amdhsa_system_sgpr_workgroup_id_y 0
		.amdhsa_system_sgpr_workgroup_id_z 0
		.amdhsa_system_sgpr_workgroup_info 0
		.amdhsa_system_vgpr_workitem_id 0
		.amdhsa_next_free_vgpr 1
		.amdhsa_next_free_sgpr 1
		.amdhsa_reserve_vcc 0
		.amdhsa_float_round_mode_32 0
		.amdhsa_float_round_mode_16_64 0
		.amdhsa_float_denorm_mode_32 3
		.amdhsa_float_denorm_mode_16_64 3
		.amdhsa_fp16_overflow 0
		.amdhsa_workgroup_processor_mode 1
		.amdhsa_memory_ordered 1
		.amdhsa_forward_progress 1
		.amdhsa_inst_pref_size 0
		.amdhsa_round_robin_scheduling 0
		.amdhsa_exception_fp_ieee_invalid_op 0
		.amdhsa_exception_fp_denorm_src 0
		.amdhsa_exception_fp_ieee_div_zero 0
		.amdhsa_exception_fp_ieee_overflow 0
		.amdhsa_exception_fp_ieee_underflow 0
		.amdhsa_exception_fp_ieee_inexact 0
		.amdhsa_exception_int_div_zero 0
	.end_amdhsa_kernel
	.section	.text._ZN7rocprim17ROCPRIM_400000_NS6detail17trampoline_kernelINS0_14default_configENS1_25partition_config_selectorILNS1_17partition_subalgoE6EiNS0_10empty_typeEbEEZZNS1_14partition_implILS5_6ELb0ES3_mN6thrust23THRUST_200600_302600_NS6detail15normal_iteratorINSA_10device_ptrIiEEEEPS6_SG_NS0_5tupleIJSF_S6_EEENSH_IJSG_SG_EEES6_PlJNSB_9not_fun_tI6is_oddIiEEEEEE10hipError_tPvRmT3_T4_T5_T6_T7_T9_mT8_P12ihipStream_tbDpT10_ENKUlT_T0_E_clISt17integral_constantIbLb0EES18_EEDaS13_S14_EUlS13_E_NS1_11comp_targetILNS1_3genE5ELNS1_11target_archE942ELNS1_3gpuE9ELNS1_3repE0EEENS1_30default_config_static_selectorELNS0_4arch9wavefront6targetE0EEEvT1_,"axG",@progbits,_ZN7rocprim17ROCPRIM_400000_NS6detail17trampoline_kernelINS0_14default_configENS1_25partition_config_selectorILNS1_17partition_subalgoE6EiNS0_10empty_typeEbEEZZNS1_14partition_implILS5_6ELb0ES3_mN6thrust23THRUST_200600_302600_NS6detail15normal_iteratorINSA_10device_ptrIiEEEEPS6_SG_NS0_5tupleIJSF_S6_EEENSH_IJSG_SG_EEES6_PlJNSB_9not_fun_tI6is_oddIiEEEEEE10hipError_tPvRmT3_T4_T5_T6_T7_T9_mT8_P12ihipStream_tbDpT10_ENKUlT_T0_E_clISt17integral_constantIbLb0EES18_EEDaS13_S14_EUlS13_E_NS1_11comp_targetILNS1_3genE5ELNS1_11target_archE942ELNS1_3gpuE9ELNS1_3repE0EEENS1_30default_config_static_selectorELNS0_4arch9wavefront6targetE0EEEvT1_,comdat
.Lfunc_end84:
	.size	_ZN7rocprim17ROCPRIM_400000_NS6detail17trampoline_kernelINS0_14default_configENS1_25partition_config_selectorILNS1_17partition_subalgoE6EiNS0_10empty_typeEbEEZZNS1_14partition_implILS5_6ELb0ES3_mN6thrust23THRUST_200600_302600_NS6detail15normal_iteratorINSA_10device_ptrIiEEEEPS6_SG_NS0_5tupleIJSF_S6_EEENSH_IJSG_SG_EEES6_PlJNSB_9not_fun_tI6is_oddIiEEEEEE10hipError_tPvRmT3_T4_T5_T6_T7_T9_mT8_P12ihipStream_tbDpT10_ENKUlT_T0_E_clISt17integral_constantIbLb0EES18_EEDaS13_S14_EUlS13_E_NS1_11comp_targetILNS1_3genE5ELNS1_11target_archE942ELNS1_3gpuE9ELNS1_3repE0EEENS1_30default_config_static_selectorELNS0_4arch9wavefront6targetE0EEEvT1_, .Lfunc_end84-_ZN7rocprim17ROCPRIM_400000_NS6detail17trampoline_kernelINS0_14default_configENS1_25partition_config_selectorILNS1_17partition_subalgoE6EiNS0_10empty_typeEbEEZZNS1_14partition_implILS5_6ELb0ES3_mN6thrust23THRUST_200600_302600_NS6detail15normal_iteratorINSA_10device_ptrIiEEEEPS6_SG_NS0_5tupleIJSF_S6_EEENSH_IJSG_SG_EEES6_PlJNSB_9not_fun_tI6is_oddIiEEEEEE10hipError_tPvRmT3_T4_T5_T6_T7_T9_mT8_P12ihipStream_tbDpT10_ENKUlT_T0_E_clISt17integral_constantIbLb0EES18_EEDaS13_S14_EUlS13_E_NS1_11comp_targetILNS1_3genE5ELNS1_11target_archE942ELNS1_3gpuE9ELNS1_3repE0EEENS1_30default_config_static_selectorELNS0_4arch9wavefront6targetE0EEEvT1_
                                        ; -- End function
	.set _ZN7rocprim17ROCPRIM_400000_NS6detail17trampoline_kernelINS0_14default_configENS1_25partition_config_selectorILNS1_17partition_subalgoE6EiNS0_10empty_typeEbEEZZNS1_14partition_implILS5_6ELb0ES3_mN6thrust23THRUST_200600_302600_NS6detail15normal_iteratorINSA_10device_ptrIiEEEEPS6_SG_NS0_5tupleIJSF_S6_EEENSH_IJSG_SG_EEES6_PlJNSB_9not_fun_tI6is_oddIiEEEEEE10hipError_tPvRmT3_T4_T5_T6_T7_T9_mT8_P12ihipStream_tbDpT10_ENKUlT_T0_E_clISt17integral_constantIbLb0EES18_EEDaS13_S14_EUlS13_E_NS1_11comp_targetILNS1_3genE5ELNS1_11target_archE942ELNS1_3gpuE9ELNS1_3repE0EEENS1_30default_config_static_selectorELNS0_4arch9wavefront6targetE0EEEvT1_.num_vgpr, 0
	.set _ZN7rocprim17ROCPRIM_400000_NS6detail17trampoline_kernelINS0_14default_configENS1_25partition_config_selectorILNS1_17partition_subalgoE6EiNS0_10empty_typeEbEEZZNS1_14partition_implILS5_6ELb0ES3_mN6thrust23THRUST_200600_302600_NS6detail15normal_iteratorINSA_10device_ptrIiEEEEPS6_SG_NS0_5tupleIJSF_S6_EEENSH_IJSG_SG_EEES6_PlJNSB_9not_fun_tI6is_oddIiEEEEEE10hipError_tPvRmT3_T4_T5_T6_T7_T9_mT8_P12ihipStream_tbDpT10_ENKUlT_T0_E_clISt17integral_constantIbLb0EES18_EEDaS13_S14_EUlS13_E_NS1_11comp_targetILNS1_3genE5ELNS1_11target_archE942ELNS1_3gpuE9ELNS1_3repE0EEENS1_30default_config_static_selectorELNS0_4arch9wavefront6targetE0EEEvT1_.num_agpr, 0
	.set _ZN7rocprim17ROCPRIM_400000_NS6detail17trampoline_kernelINS0_14default_configENS1_25partition_config_selectorILNS1_17partition_subalgoE6EiNS0_10empty_typeEbEEZZNS1_14partition_implILS5_6ELb0ES3_mN6thrust23THRUST_200600_302600_NS6detail15normal_iteratorINSA_10device_ptrIiEEEEPS6_SG_NS0_5tupleIJSF_S6_EEENSH_IJSG_SG_EEES6_PlJNSB_9not_fun_tI6is_oddIiEEEEEE10hipError_tPvRmT3_T4_T5_T6_T7_T9_mT8_P12ihipStream_tbDpT10_ENKUlT_T0_E_clISt17integral_constantIbLb0EES18_EEDaS13_S14_EUlS13_E_NS1_11comp_targetILNS1_3genE5ELNS1_11target_archE942ELNS1_3gpuE9ELNS1_3repE0EEENS1_30default_config_static_selectorELNS0_4arch9wavefront6targetE0EEEvT1_.numbered_sgpr, 0
	.set _ZN7rocprim17ROCPRIM_400000_NS6detail17trampoline_kernelINS0_14default_configENS1_25partition_config_selectorILNS1_17partition_subalgoE6EiNS0_10empty_typeEbEEZZNS1_14partition_implILS5_6ELb0ES3_mN6thrust23THRUST_200600_302600_NS6detail15normal_iteratorINSA_10device_ptrIiEEEEPS6_SG_NS0_5tupleIJSF_S6_EEENSH_IJSG_SG_EEES6_PlJNSB_9not_fun_tI6is_oddIiEEEEEE10hipError_tPvRmT3_T4_T5_T6_T7_T9_mT8_P12ihipStream_tbDpT10_ENKUlT_T0_E_clISt17integral_constantIbLb0EES18_EEDaS13_S14_EUlS13_E_NS1_11comp_targetILNS1_3genE5ELNS1_11target_archE942ELNS1_3gpuE9ELNS1_3repE0EEENS1_30default_config_static_selectorELNS0_4arch9wavefront6targetE0EEEvT1_.num_named_barrier, 0
	.set _ZN7rocprim17ROCPRIM_400000_NS6detail17trampoline_kernelINS0_14default_configENS1_25partition_config_selectorILNS1_17partition_subalgoE6EiNS0_10empty_typeEbEEZZNS1_14partition_implILS5_6ELb0ES3_mN6thrust23THRUST_200600_302600_NS6detail15normal_iteratorINSA_10device_ptrIiEEEEPS6_SG_NS0_5tupleIJSF_S6_EEENSH_IJSG_SG_EEES6_PlJNSB_9not_fun_tI6is_oddIiEEEEEE10hipError_tPvRmT3_T4_T5_T6_T7_T9_mT8_P12ihipStream_tbDpT10_ENKUlT_T0_E_clISt17integral_constantIbLb0EES18_EEDaS13_S14_EUlS13_E_NS1_11comp_targetILNS1_3genE5ELNS1_11target_archE942ELNS1_3gpuE9ELNS1_3repE0EEENS1_30default_config_static_selectorELNS0_4arch9wavefront6targetE0EEEvT1_.private_seg_size, 0
	.set _ZN7rocprim17ROCPRIM_400000_NS6detail17trampoline_kernelINS0_14default_configENS1_25partition_config_selectorILNS1_17partition_subalgoE6EiNS0_10empty_typeEbEEZZNS1_14partition_implILS5_6ELb0ES3_mN6thrust23THRUST_200600_302600_NS6detail15normal_iteratorINSA_10device_ptrIiEEEEPS6_SG_NS0_5tupleIJSF_S6_EEENSH_IJSG_SG_EEES6_PlJNSB_9not_fun_tI6is_oddIiEEEEEE10hipError_tPvRmT3_T4_T5_T6_T7_T9_mT8_P12ihipStream_tbDpT10_ENKUlT_T0_E_clISt17integral_constantIbLb0EES18_EEDaS13_S14_EUlS13_E_NS1_11comp_targetILNS1_3genE5ELNS1_11target_archE942ELNS1_3gpuE9ELNS1_3repE0EEENS1_30default_config_static_selectorELNS0_4arch9wavefront6targetE0EEEvT1_.uses_vcc, 0
	.set _ZN7rocprim17ROCPRIM_400000_NS6detail17trampoline_kernelINS0_14default_configENS1_25partition_config_selectorILNS1_17partition_subalgoE6EiNS0_10empty_typeEbEEZZNS1_14partition_implILS5_6ELb0ES3_mN6thrust23THRUST_200600_302600_NS6detail15normal_iteratorINSA_10device_ptrIiEEEEPS6_SG_NS0_5tupleIJSF_S6_EEENSH_IJSG_SG_EEES6_PlJNSB_9not_fun_tI6is_oddIiEEEEEE10hipError_tPvRmT3_T4_T5_T6_T7_T9_mT8_P12ihipStream_tbDpT10_ENKUlT_T0_E_clISt17integral_constantIbLb0EES18_EEDaS13_S14_EUlS13_E_NS1_11comp_targetILNS1_3genE5ELNS1_11target_archE942ELNS1_3gpuE9ELNS1_3repE0EEENS1_30default_config_static_selectorELNS0_4arch9wavefront6targetE0EEEvT1_.uses_flat_scratch, 0
	.set _ZN7rocprim17ROCPRIM_400000_NS6detail17trampoline_kernelINS0_14default_configENS1_25partition_config_selectorILNS1_17partition_subalgoE6EiNS0_10empty_typeEbEEZZNS1_14partition_implILS5_6ELb0ES3_mN6thrust23THRUST_200600_302600_NS6detail15normal_iteratorINSA_10device_ptrIiEEEEPS6_SG_NS0_5tupleIJSF_S6_EEENSH_IJSG_SG_EEES6_PlJNSB_9not_fun_tI6is_oddIiEEEEEE10hipError_tPvRmT3_T4_T5_T6_T7_T9_mT8_P12ihipStream_tbDpT10_ENKUlT_T0_E_clISt17integral_constantIbLb0EES18_EEDaS13_S14_EUlS13_E_NS1_11comp_targetILNS1_3genE5ELNS1_11target_archE942ELNS1_3gpuE9ELNS1_3repE0EEENS1_30default_config_static_selectorELNS0_4arch9wavefront6targetE0EEEvT1_.has_dyn_sized_stack, 0
	.set _ZN7rocprim17ROCPRIM_400000_NS6detail17trampoline_kernelINS0_14default_configENS1_25partition_config_selectorILNS1_17partition_subalgoE6EiNS0_10empty_typeEbEEZZNS1_14partition_implILS5_6ELb0ES3_mN6thrust23THRUST_200600_302600_NS6detail15normal_iteratorINSA_10device_ptrIiEEEEPS6_SG_NS0_5tupleIJSF_S6_EEENSH_IJSG_SG_EEES6_PlJNSB_9not_fun_tI6is_oddIiEEEEEE10hipError_tPvRmT3_T4_T5_T6_T7_T9_mT8_P12ihipStream_tbDpT10_ENKUlT_T0_E_clISt17integral_constantIbLb0EES18_EEDaS13_S14_EUlS13_E_NS1_11comp_targetILNS1_3genE5ELNS1_11target_archE942ELNS1_3gpuE9ELNS1_3repE0EEENS1_30default_config_static_selectorELNS0_4arch9wavefront6targetE0EEEvT1_.has_recursion, 0
	.set _ZN7rocprim17ROCPRIM_400000_NS6detail17trampoline_kernelINS0_14default_configENS1_25partition_config_selectorILNS1_17partition_subalgoE6EiNS0_10empty_typeEbEEZZNS1_14partition_implILS5_6ELb0ES3_mN6thrust23THRUST_200600_302600_NS6detail15normal_iteratorINSA_10device_ptrIiEEEEPS6_SG_NS0_5tupleIJSF_S6_EEENSH_IJSG_SG_EEES6_PlJNSB_9not_fun_tI6is_oddIiEEEEEE10hipError_tPvRmT3_T4_T5_T6_T7_T9_mT8_P12ihipStream_tbDpT10_ENKUlT_T0_E_clISt17integral_constantIbLb0EES18_EEDaS13_S14_EUlS13_E_NS1_11comp_targetILNS1_3genE5ELNS1_11target_archE942ELNS1_3gpuE9ELNS1_3repE0EEENS1_30default_config_static_selectorELNS0_4arch9wavefront6targetE0EEEvT1_.has_indirect_call, 0
	.section	.AMDGPU.csdata,"",@progbits
; Kernel info:
; codeLenInByte = 0
; TotalNumSgprs: 0
; NumVgprs: 0
; ScratchSize: 0
; MemoryBound: 0
; FloatMode: 240
; IeeeMode: 1
; LDSByteSize: 0 bytes/workgroup (compile time only)
; SGPRBlocks: 0
; VGPRBlocks: 0
; NumSGPRsForWavesPerEU: 1
; NumVGPRsForWavesPerEU: 1
; Occupancy: 16
; WaveLimiterHint : 0
; COMPUTE_PGM_RSRC2:SCRATCH_EN: 0
; COMPUTE_PGM_RSRC2:USER_SGPR: 2
; COMPUTE_PGM_RSRC2:TRAP_HANDLER: 0
; COMPUTE_PGM_RSRC2:TGID_X_EN: 1
; COMPUTE_PGM_RSRC2:TGID_Y_EN: 0
; COMPUTE_PGM_RSRC2:TGID_Z_EN: 0
; COMPUTE_PGM_RSRC2:TIDIG_COMP_CNT: 0
	.section	.text._ZN7rocprim17ROCPRIM_400000_NS6detail17trampoline_kernelINS0_14default_configENS1_25partition_config_selectorILNS1_17partition_subalgoE6EiNS0_10empty_typeEbEEZZNS1_14partition_implILS5_6ELb0ES3_mN6thrust23THRUST_200600_302600_NS6detail15normal_iteratorINSA_10device_ptrIiEEEEPS6_SG_NS0_5tupleIJSF_S6_EEENSH_IJSG_SG_EEES6_PlJNSB_9not_fun_tI6is_oddIiEEEEEE10hipError_tPvRmT3_T4_T5_T6_T7_T9_mT8_P12ihipStream_tbDpT10_ENKUlT_T0_E_clISt17integral_constantIbLb0EES18_EEDaS13_S14_EUlS13_E_NS1_11comp_targetILNS1_3genE4ELNS1_11target_archE910ELNS1_3gpuE8ELNS1_3repE0EEENS1_30default_config_static_selectorELNS0_4arch9wavefront6targetE0EEEvT1_,"axG",@progbits,_ZN7rocprim17ROCPRIM_400000_NS6detail17trampoline_kernelINS0_14default_configENS1_25partition_config_selectorILNS1_17partition_subalgoE6EiNS0_10empty_typeEbEEZZNS1_14partition_implILS5_6ELb0ES3_mN6thrust23THRUST_200600_302600_NS6detail15normal_iteratorINSA_10device_ptrIiEEEEPS6_SG_NS0_5tupleIJSF_S6_EEENSH_IJSG_SG_EEES6_PlJNSB_9not_fun_tI6is_oddIiEEEEEE10hipError_tPvRmT3_T4_T5_T6_T7_T9_mT8_P12ihipStream_tbDpT10_ENKUlT_T0_E_clISt17integral_constantIbLb0EES18_EEDaS13_S14_EUlS13_E_NS1_11comp_targetILNS1_3genE4ELNS1_11target_archE910ELNS1_3gpuE8ELNS1_3repE0EEENS1_30default_config_static_selectorELNS0_4arch9wavefront6targetE0EEEvT1_,comdat
	.protected	_ZN7rocprim17ROCPRIM_400000_NS6detail17trampoline_kernelINS0_14default_configENS1_25partition_config_selectorILNS1_17partition_subalgoE6EiNS0_10empty_typeEbEEZZNS1_14partition_implILS5_6ELb0ES3_mN6thrust23THRUST_200600_302600_NS6detail15normal_iteratorINSA_10device_ptrIiEEEEPS6_SG_NS0_5tupleIJSF_S6_EEENSH_IJSG_SG_EEES6_PlJNSB_9not_fun_tI6is_oddIiEEEEEE10hipError_tPvRmT3_T4_T5_T6_T7_T9_mT8_P12ihipStream_tbDpT10_ENKUlT_T0_E_clISt17integral_constantIbLb0EES18_EEDaS13_S14_EUlS13_E_NS1_11comp_targetILNS1_3genE4ELNS1_11target_archE910ELNS1_3gpuE8ELNS1_3repE0EEENS1_30default_config_static_selectorELNS0_4arch9wavefront6targetE0EEEvT1_ ; -- Begin function _ZN7rocprim17ROCPRIM_400000_NS6detail17trampoline_kernelINS0_14default_configENS1_25partition_config_selectorILNS1_17partition_subalgoE6EiNS0_10empty_typeEbEEZZNS1_14partition_implILS5_6ELb0ES3_mN6thrust23THRUST_200600_302600_NS6detail15normal_iteratorINSA_10device_ptrIiEEEEPS6_SG_NS0_5tupleIJSF_S6_EEENSH_IJSG_SG_EEES6_PlJNSB_9not_fun_tI6is_oddIiEEEEEE10hipError_tPvRmT3_T4_T5_T6_T7_T9_mT8_P12ihipStream_tbDpT10_ENKUlT_T0_E_clISt17integral_constantIbLb0EES18_EEDaS13_S14_EUlS13_E_NS1_11comp_targetILNS1_3genE4ELNS1_11target_archE910ELNS1_3gpuE8ELNS1_3repE0EEENS1_30default_config_static_selectorELNS0_4arch9wavefront6targetE0EEEvT1_
	.globl	_ZN7rocprim17ROCPRIM_400000_NS6detail17trampoline_kernelINS0_14default_configENS1_25partition_config_selectorILNS1_17partition_subalgoE6EiNS0_10empty_typeEbEEZZNS1_14partition_implILS5_6ELb0ES3_mN6thrust23THRUST_200600_302600_NS6detail15normal_iteratorINSA_10device_ptrIiEEEEPS6_SG_NS0_5tupleIJSF_S6_EEENSH_IJSG_SG_EEES6_PlJNSB_9not_fun_tI6is_oddIiEEEEEE10hipError_tPvRmT3_T4_T5_T6_T7_T9_mT8_P12ihipStream_tbDpT10_ENKUlT_T0_E_clISt17integral_constantIbLb0EES18_EEDaS13_S14_EUlS13_E_NS1_11comp_targetILNS1_3genE4ELNS1_11target_archE910ELNS1_3gpuE8ELNS1_3repE0EEENS1_30default_config_static_selectorELNS0_4arch9wavefront6targetE0EEEvT1_
	.p2align	8
	.type	_ZN7rocprim17ROCPRIM_400000_NS6detail17trampoline_kernelINS0_14default_configENS1_25partition_config_selectorILNS1_17partition_subalgoE6EiNS0_10empty_typeEbEEZZNS1_14partition_implILS5_6ELb0ES3_mN6thrust23THRUST_200600_302600_NS6detail15normal_iteratorINSA_10device_ptrIiEEEEPS6_SG_NS0_5tupleIJSF_S6_EEENSH_IJSG_SG_EEES6_PlJNSB_9not_fun_tI6is_oddIiEEEEEE10hipError_tPvRmT3_T4_T5_T6_T7_T9_mT8_P12ihipStream_tbDpT10_ENKUlT_T0_E_clISt17integral_constantIbLb0EES18_EEDaS13_S14_EUlS13_E_NS1_11comp_targetILNS1_3genE4ELNS1_11target_archE910ELNS1_3gpuE8ELNS1_3repE0EEENS1_30default_config_static_selectorELNS0_4arch9wavefront6targetE0EEEvT1_,@function
_ZN7rocprim17ROCPRIM_400000_NS6detail17trampoline_kernelINS0_14default_configENS1_25partition_config_selectorILNS1_17partition_subalgoE6EiNS0_10empty_typeEbEEZZNS1_14partition_implILS5_6ELb0ES3_mN6thrust23THRUST_200600_302600_NS6detail15normal_iteratorINSA_10device_ptrIiEEEEPS6_SG_NS0_5tupleIJSF_S6_EEENSH_IJSG_SG_EEES6_PlJNSB_9not_fun_tI6is_oddIiEEEEEE10hipError_tPvRmT3_T4_T5_T6_T7_T9_mT8_P12ihipStream_tbDpT10_ENKUlT_T0_E_clISt17integral_constantIbLb0EES18_EEDaS13_S14_EUlS13_E_NS1_11comp_targetILNS1_3genE4ELNS1_11target_archE910ELNS1_3gpuE8ELNS1_3repE0EEENS1_30default_config_static_selectorELNS0_4arch9wavefront6targetE0EEEvT1_: ; @_ZN7rocprim17ROCPRIM_400000_NS6detail17trampoline_kernelINS0_14default_configENS1_25partition_config_selectorILNS1_17partition_subalgoE6EiNS0_10empty_typeEbEEZZNS1_14partition_implILS5_6ELb0ES3_mN6thrust23THRUST_200600_302600_NS6detail15normal_iteratorINSA_10device_ptrIiEEEEPS6_SG_NS0_5tupleIJSF_S6_EEENSH_IJSG_SG_EEES6_PlJNSB_9not_fun_tI6is_oddIiEEEEEE10hipError_tPvRmT3_T4_T5_T6_T7_T9_mT8_P12ihipStream_tbDpT10_ENKUlT_T0_E_clISt17integral_constantIbLb0EES18_EEDaS13_S14_EUlS13_E_NS1_11comp_targetILNS1_3genE4ELNS1_11target_archE910ELNS1_3gpuE8ELNS1_3repE0EEENS1_30default_config_static_selectorELNS0_4arch9wavefront6targetE0EEEvT1_
; %bb.0:
	.section	.rodata,"a",@progbits
	.p2align	6, 0x0
	.amdhsa_kernel _ZN7rocprim17ROCPRIM_400000_NS6detail17trampoline_kernelINS0_14default_configENS1_25partition_config_selectorILNS1_17partition_subalgoE6EiNS0_10empty_typeEbEEZZNS1_14partition_implILS5_6ELb0ES3_mN6thrust23THRUST_200600_302600_NS6detail15normal_iteratorINSA_10device_ptrIiEEEEPS6_SG_NS0_5tupleIJSF_S6_EEENSH_IJSG_SG_EEES6_PlJNSB_9not_fun_tI6is_oddIiEEEEEE10hipError_tPvRmT3_T4_T5_T6_T7_T9_mT8_P12ihipStream_tbDpT10_ENKUlT_T0_E_clISt17integral_constantIbLb0EES18_EEDaS13_S14_EUlS13_E_NS1_11comp_targetILNS1_3genE4ELNS1_11target_archE910ELNS1_3gpuE8ELNS1_3repE0EEENS1_30default_config_static_selectorELNS0_4arch9wavefront6targetE0EEEvT1_
		.amdhsa_group_segment_fixed_size 0
		.amdhsa_private_segment_fixed_size 0
		.amdhsa_kernarg_size 112
		.amdhsa_user_sgpr_count 2
		.amdhsa_user_sgpr_dispatch_ptr 0
		.amdhsa_user_sgpr_queue_ptr 0
		.amdhsa_user_sgpr_kernarg_segment_ptr 1
		.amdhsa_user_sgpr_dispatch_id 0
		.amdhsa_user_sgpr_private_segment_size 0
		.amdhsa_wavefront_size32 1
		.amdhsa_uses_dynamic_stack 0
		.amdhsa_enable_private_segment 0
		.amdhsa_system_sgpr_workgroup_id_x 1
		.amdhsa_system_sgpr_workgroup_id_y 0
		.amdhsa_system_sgpr_workgroup_id_z 0
		.amdhsa_system_sgpr_workgroup_info 0
		.amdhsa_system_vgpr_workitem_id 0
		.amdhsa_next_free_vgpr 1
		.amdhsa_next_free_sgpr 1
		.amdhsa_reserve_vcc 0
		.amdhsa_float_round_mode_32 0
		.amdhsa_float_round_mode_16_64 0
		.amdhsa_float_denorm_mode_32 3
		.amdhsa_float_denorm_mode_16_64 3
		.amdhsa_fp16_overflow 0
		.amdhsa_workgroup_processor_mode 1
		.amdhsa_memory_ordered 1
		.amdhsa_forward_progress 1
		.amdhsa_inst_pref_size 0
		.amdhsa_round_robin_scheduling 0
		.amdhsa_exception_fp_ieee_invalid_op 0
		.amdhsa_exception_fp_denorm_src 0
		.amdhsa_exception_fp_ieee_div_zero 0
		.amdhsa_exception_fp_ieee_overflow 0
		.amdhsa_exception_fp_ieee_underflow 0
		.amdhsa_exception_fp_ieee_inexact 0
		.amdhsa_exception_int_div_zero 0
	.end_amdhsa_kernel
	.section	.text._ZN7rocprim17ROCPRIM_400000_NS6detail17trampoline_kernelINS0_14default_configENS1_25partition_config_selectorILNS1_17partition_subalgoE6EiNS0_10empty_typeEbEEZZNS1_14partition_implILS5_6ELb0ES3_mN6thrust23THRUST_200600_302600_NS6detail15normal_iteratorINSA_10device_ptrIiEEEEPS6_SG_NS0_5tupleIJSF_S6_EEENSH_IJSG_SG_EEES6_PlJNSB_9not_fun_tI6is_oddIiEEEEEE10hipError_tPvRmT3_T4_T5_T6_T7_T9_mT8_P12ihipStream_tbDpT10_ENKUlT_T0_E_clISt17integral_constantIbLb0EES18_EEDaS13_S14_EUlS13_E_NS1_11comp_targetILNS1_3genE4ELNS1_11target_archE910ELNS1_3gpuE8ELNS1_3repE0EEENS1_30default_config_static_selectorELNS0_4arch9wavefront6targetE0EEEvT1_,"axG",@progbits,_ZN7rocprim17ROCPRIM_400000_NS6detail17trampoline_kernelINS0_14default_configENS1_25partition_config_selectorILNS1_17partition_subalgoE6EiNS0_10empty_typeEbEEZZNS1_14partition_implILS5_6ELb0ES3_mN6thrust23THRUST_200600_302600_NS6detail15normal_iteratorINSA_10device_ptrIiEEEEPS6_SG_NS0_5tupleIJSF_S6_EEENSH_IJSG_SG_EEES6_PlJNSB_9not_fun_tI6is_oddIiEEEEEE10hipError_tPvRmT3_T4_T5_T6_T7_T9_mT8_P12ihipStream_tbDpT10_ENKUlT_T0_E_clISt17integral_constantIbLb0EES18_EEDaS13_S14_EUlS13_E_NS1_11comp_targetILNS1_3genE4ELNS1_11target_archE910ELNS1_3gpuE8ELNS1_3repE0EEENS1_30default_config_static_selectorELNS0_4arch9wavefront6targetE0EEEvT1_,comdat
.Lfunc_end85:
	.size	_ZN7rocprim17ROCPRIM_400000_NS6detail17trampoline_kernelINS0_14default_configENS1_25partition_config_selectorILNS1_17partition_subalgoE6EiNS0_10empty_typeEbEEZZNS1_14partition_implILS5_6ELb0ES3_mN6thrust23THRUST_200600_302600_NS6detail15normal_iteratorINSA_10device_ptrIiEEEEPS6_SG_NS0_5tupleIJSF_S6_EEENSH_IJSG_SG_EEES6_PlJNSB_9not_fun_tI6is_oddIiEEEEEE10hipError_tPvRmT3_T4_T5_T6_T7_T9_mT8_P12ihipStream_tbDpT10_ENKUlT_T0_E_clISt17integral_constantIbLb0EES18_EEDaS13_S14_EUlS13_E_NS1_11comp_targetILNS1_3genE4ELNS1_11target_archE910ELNS1_3gpuE8ELNS1_3repE0EEENS1_30default_config_static_selectorELNS0_4arch9wavefront6targetE0EEEvT1_, .Lfunc_end85-_ZN7rocprim17ROCPRIM_400000_NS6detail17trampoline_kernelINS0_14default_configENS1_25partition_config_selectorILNS1_17partition_subalgoE6EiNS0_10empty_typeEbEEZZNS1_14partition_implILS5_6ELb0ES3_mN6thrust23THRUST_200600_302600_NS6detail15normal_iteratorINSA_10device_ptrIiEEEEPS6_SG_NS0_5tupleIJSF_S6_EEENSH_IJSG_SG_EEES6_PlJNSB_9not_fun_tI6is_oddIiEEEEEE10hipError_tPvRmT3_T4_T5_T6_T7_T9_mT8_P12ihipStream_tbDpT10_ENKUlT_T0_E_clISt17integral_constantIbLb0EES18_EEDaS13_S14_EUlS13_E_NS1_11comp_targetILNS1_3genE4ELNS1_11target_archE910ELNS1_3gpuE8ELNS1_3repE0EEENS1_30default_config_static_selectorELNS0_4arch9wavefront6targetE0EEEvT1_
                                        ; -- End function
	.set _ZN7rocprim17ROCPRIM_400000_NS6detail17trampoline_kernelINS0_14default_configENS1_25partition_config_selectorILNS1_17partition_subalgoE6EiNS0_10empty_typeEbEEZZNS1_14partition_implILS5_6ELb0ES3_mN6thrust23THRUST_200600_302600_NS6detail15normal_iteratorINSA_10device_ptrIiEEEEPS6_SG_NS0_5tupleIJSF_S6_EEENSH_IJSG_SG_EEES6_PlJNSB_9not_fun_tI6is_oddIiEEEEEE10hipError_tPvRmT3_T4_T5_T6_T7_T9_mT8_P12ihipStream_tbDpT10_ENKUlT_T0_E_clISt17integral_constantIbLb0EES18_EEDaS13_S14_EUlS13_E_NS1_11comp_targetILNS1_3genE4ELNS1_11target_archE910ELNS1_3gpuE8ELNS1_3repE0EEENS1_30default_config_static_selectorELNS0_4arch9wavefront6targetE0EEEvT1_.num_vgpr, 0
	.set _ZN7rocprim17ROCPRIM_400000_NS6detail17trampoline_kernelINS0_14default_configENS1_25partition_config_selectorILNS1_17partition_subalgoE6EiNS0_10empty_typeEbEEZZNS1_14partition_implILS5_6ELb0ES3_mN6thrust23THRUST_200600_302600_NS6detail15normal_iteratorINSA_10device_ptrIiEEEEPS6_SG_NS0_5tupleIJSF_S6_EEENSH_IJSG_SG_EEES6_PlJNSB_9not_fun_tI6is_oddIiEEEEEE10hipError_tPvRmT3_T4_T5_T6_T7_T9_mT8_P12ihipStream_tbDpT10_ENKUlT_T0_E_clISt17integral_constantIbLb0EES18_EEDaS13_S14_EUlS13_E_NS1_11comp_targetILNS1_3genE4ELNS1_11target_archE910ELNS1_3gpuE8ELNS1_3repE0EEENS1_30default_config_static_selectorELNS0_4arch9wavefront6targetE0EEEvT1_.num_agpr, 0
	.set _ZN7rocprim17ROCPRIM_400000_NS6detail17trampoline_kernelINS0_14default_configENS1_25partition_config_selectorILNS1_17partition_subalgoE6EiNS0_10empty_typeEbEEZZNS1_14partition_implILS5_6ELb0ES3_mN6thrust23THRUST_200600_302600_NS6detail15normal_iteratorINSA_10device_ptrIiEEEEPS6_SG_NS0_5tupleIJSF_S6_EEENSH_IJSG_SG_EEES6_PlJNSB_9not_fun_tI6is_oddIiEEEEEE10hipError_tPvRmT3_T4_T5_T6_T7_T9_mT8_P12ihipStream_tbDpT10_ENKUlT_T0_E_clISt17integral_constantIbLb0EES18_EEDaS13_S14_EUlS13_E_NS1_11comp_targetILNS1_3genE4ELNS1_11target_archE910ELNS1_3gpuE8ELNS1_3repE0EEENS1_30default_config_static_selectorELNS0_4arch9wavefront6targetE0EEEvT1_.numbered_sgpr, 0
	.set _ZN7rocprim17ROCPRIM_400000_NS6detail17trampoline_kernelINS0_14default_configENS1_25partition_config_selectorILNS1_17partition_subalgoE6EiNS0_10empty_typeEbEEZZNS1_14partition_implILS5_6ELb0ES3_mN6thrust23THRUST_200600_302600_NS6detail15normal_iteratorINSA_10device_ptrIiEEEEPS6_SG_NS0_5tupleIJSF_S6_EEENSH_IJSG_SG_EEES6_PlJNSB_9not_fun_tI6is_oddIiEEEEEE10hipError_tPvRmT3_T4_T5_T6_T7_T9_mT8_P12ihipStream_tbDpT10_ENKUlT_T0_E_clISt17integral_constantIbLb0EES18_EEDaS13_S14_EUlS13_E_NS1_11comp_targetILNS1_3genE4ELNS1_11target_archE910ELNS1_3gpuE8ELNS1_3repE0EEENS1_30default_config_static_selectorELNS0_4arch9wavefront6targetE0EEEvT1_.num_named_barrier, 0
	.set _ZN7rocprim17ROCPRIM_400000_NS6detail17trampoline_kernelINS0_14default_configENS1_25partition_config_selectorILNS1_17partition_subalgoE6EiNS0_10empty_typeEbEEZZNS1_14partition_implILS5_6ELb0ES3_mN6thrust23THRUST_200600_302600_NS6detail15normal_iteratorINSA_10device_ptrIiEEEEPS6_SG_NS0_5tupleIJSF_S6_EEENSH_IJSG_SG_EEES6_PlJNSB_9not_fun_tI6is_oddIiEEEEEE10hipError_tPvRmT3_T4_T5_T6_T7_T9_mT8_P12ihipStream_tbDpT10_ENKUlT_T0_E_clISt17integral_constantIbLb0EES18_EEDaS13_S14_EUlS13_E_NS1_11comp_targetILNS1_3genE4ELNS1_11target_archE910ELNS1_3gpuE8ELNS1_3repE0EEENS1_30default_config_static_selectorELNS0_4arch9wavefront6targetE0EEEvT1_.private_seg_size, 0
	.set _ZN7rocprim17ROCPRIM_400000_NS6detail17trampoline_kernelINS0_14default_configENS1_25partition_config_selectorILNS1_17partition_subalgoE6EiNS0_10empty_typeEbEEZZNS1_14partition_implILS5_6ELb0ES3_mN6thrust23THRUST_200600_302600_NS6detail15normal_iteratorINSA_10device_ptrIiEEEEPS6_SG_NS0_5tupleIJSF_S6_EEENSH_IJSG_SG_EEES6_PlJNSB_9not_fun_tI6is_oddIiEEEEEE10hipError_tPvRmT3_T4_T5_T6_T7_T9_mT8_P12ihipStream_tbDpT10_ENKUlT_T0_E_clISt17integral_constantIbLb0EES18_EEDaS13_S14_EUlS13_E_NS1_11comp_targetILNS1_3genE4ELNS1_11target_archE910ELNS1_3gpuE8ELNS1_3repE0EEENS1_30default_config_static_selectorELNS0_4arch9wavefront6targetE0EEEvT1_.uses_vcc, 0
	.set _ZN7rocprim17ROCPRIM_400000_NS6detail17trampoline_kernelINS0_14default_configENS1_25partition_config_selectorILNS1_17partition_subalgoE6EiNS0_10empty_typeEbEEZZNS1_14partition_implILS5_6ELb0ES3_mN6thrust23THRUST_200600_302600_NS6detail15normal_iteratorINSA_10device_ptrIiEEEEPS6_SG_NS0_5tupleIJSF_S6_EEENSH_IJSG_SG_EEES6_PlJNSB_9not_fun_tI6is_oddIiEEEEEE10hipError_tPvRmT3_T4_T5_T6_T7_T9_mT8_P12ihipStream_tbDpT10_ENKUlT_T0_E_clISt17integral_constantIbLb0EES18_EEDaS13_S14_EUlS13_E_NS1_11comp_targetILNS1_3genE4ELNS1_11target_archE910ELNS1_3gpuE8ELNS1_3repE0EEENS1_30default_config_static_selectorELNS0_4arch9wavefront6targetE0EEEvT1_.uses_flat_scratch, 0
	.set _ZN7rocprim17ROCPRIM_400000_NS6detail17trampoline_kernelINS0_14default_configENS1_25partition_config_selectorILNS1_17partition_subalgoE6EiNS0_10empty_typeEbEEZZNS1_14partition_implILS5_6ELb0ES3_mN6thrust23THRUST_200600_302600_NS6detail15normal_iteratorINSA_10device_ptrIiEEEEPS6_SG_NS0_5tupleIJSF_S6_EEENSH_IJSG_SG_EEES6_PlJNSB_9not_fun_tI6is_oddIiEEEEEE10hipError_tPvRmT3_T4_T5_T6_T7_T9_mT8_P12ihipStream_tbDpT10_ENKUlT_T0_E_clISt17integral_constantIbLb0EES18_EEDaS13_S14_EUlS13_E_NS1_11comp_targetILNS1_3genE4ELNS1_11target_archE910ELNS1_3gpuE8ELNS1_3repE0EEENS1_30default_config_static_selectorELNS0_4arch9wavefront6targetE0EEEvT1_.has_dyn_sized_stack, 0
	.set _ZN7rocprim17ROCPRIM_400000_NS6detail17trampoline_kernelINS0_14default_configENS1_25partition_config_selectorILNS1_17partition_subalgoE6EiNS0_10empty_typeEbEEZZNS1_14partition_implILS5_6ELb0ES3_mN6thrust23THRUST_200600_302600_NS6detail15normal_iteratorINSA_10device_ptrIiEEEEPS6_SG_NS0_5tupleIJSF_S6_EEENSH_IJSG_SG_EEES6_PlJNSB_9not_fun_tI6is_oddIiEEEEEE10hipError_tPvRmT3_T4_T5_T6_T7_T9_mT8_P12ihipStream_tbDpT10_ENKUlT_T0_E_clISt17integral_constantIbLb0EES18_EEDaS13_S14_EUlS13_E_NS1_11comp_targetILNS1_3genE4ELNS1_11target_archE910ELNS1_3gpuE8ELNS1_3repE0EEENS1_30default_config_static_selectorELNS0_4arch9wavefront6targetE0EEEvT1_.has_recursion, 0
	.set _ZN7rocprim17ROCPRIM_400000_NS6detail17trampoline_kernelINS0_14default_configENS1_25partition_config_selectorILNS1_17partition_subalgoE6EiNS0_10empty_typeEbEEZZNS1_14partition_implILS5_6ELb0ES3_mN6thrust23THRUST_200600_302600_NS6detail15normal_iteratorINSA_10device_ptrIiEEEEPS6_SG_NS0_5tupleIJSF_S6_EEENSH_IJSG_SG_EEES6_PlJNSB_9not_fun_tI6is_oddIiEEEEEE10hipError_tPvRmT3_T4_T5_T6_T7_T9_mT8_P12ihipStream_tbDpT10_ENKUlT_T0_E_clISt17integral_constantIbLb0EES18_EEDaS13_S14_EUlS13_E_NS1_11comp_targetILNS1_3genE4ELNS1_11target_archE910ELNS1_3gpuE8ELNS1_3repE0EEENS1_30default_config_static_selectorELNS0_4arch9wavefront6targetE0EEEvT1_.has_indirect_call, 0
	.section	.AMDGPU.csdata,"",@progbits
; Kernel info:
; codeLenInByte = 0
; TotalNumSgprs: 0
; NumVgprs: 0
; ScratchSize: 0
; MemoryBound: 0
; FloatMode: 240
; IeeeMode: 1
; LDSByteSize: 0 bytes/workgroup (compile time only)
; SGPRBlocks: 0
; VGPRBlocks: 0
; NumSGPRsForWavesPerEU: 1
; NumVGPRsForWavesPerEU: 1
; Occupancy: 16
; WaveLimiterHint : 0
; COMPUTE_PGM_RSRC2:SCRATCH_EN: 0
; COMPUTE_PGM_RSRC2:USER_SGPR: 2
; COMPUTE_PGM_RSRC2:TRAP_HANDLER: 0
; COMPUTE_PGM_RSRC2:TGID_X_EN: 1
; COMPUTE_PGM_RSRC2:TGID_Y_EN: 0
; COMPUTE_PGM_RSRC2:TGID_Z_EN: 0
; COMPUTE_PGM_RSRC2:TIDIG_COMP_CNT: 0
	.section	.text._ZN7rocprim17ROCPRIM_400000_NS6detail17trampoline_kernelINS0_14default_configENS1_25partition_config_selectorILNS1_17partition_subalgoE6EiNS0_10empty_typeEbEEZZNS1_14partition_implILS5_6ELb0ES3_mN6thrust23THRUST_200600_302600_NS6detail15normal_iteratorINSA_10device_ptrIiEEEEPS6_SG_NS0_5tupleIJSF_S6_EEENSH_IJSG_SG_EEES6_PlJNSB_9not_fun_tI6is_oddIiEEEEEE10hipError_tPvRmT3_T4_T5_T6_T7_T9_mT8_P12ihipStream_tbDpT10_ENKUlT_T0_E_clISt17integral_constantIbLb0EES18_EEDaS13_S14_EUlS13_E_NS1_11comp_targetILNS1_3genE3ELNS1_11target_archE908ELNS1_3gpuE7ELNS1_3repE0EEENS1_30default_config_static_selectorELNS0_4arch9wavefront6targetE0EEEvT1_,"axG",@progbits,_ZN7rocprim17ROCPRIM_400000_NS6detail17trampoline_kernelINS0_14default_configENS1_25partition_config_selectorILNS1_17partition_subalgoE6EiNS0_10empty_typeEbEEZZNS1_14partition_implILS5_6ELb0ES3_mN6thrust23THRUST_200600_302600_NS6detail15normal_iteratorINSA_10device_ptrIiEEEEPS6_SG_NS0_5tupleIJSF_S6_EEENSH_IJSG_SG_EEES6_PlJNSB_9not_fun_tI6is_oddIiEEEEEE10hipError_tPvRmT3_T4_T5_T6_T7_T9_mT8_P12ihipStream_tbDpT10_ENKUlT_T0_E_clISt17integral_constantIbLb0EES18_EEDaS13_S14_EUlS13_E_NS1_11comp_targetILNS1_3genE3ELNS1_11target_archE908ELNS1_3gpuE7ELNS1_3repE0EEENS1_30default_config_static_selectorELNS0_4arch9wavefront6targetE0EEEvT1_,comdat
	.protected	_ZN7rocprim17ROCPRIM_400000_NS6detail17trampoline_kernelINS0_14default_configENS1_25partition_config_selectorILNS1_17partition_subalgoE6EiNS0_10empty_typeEbEEZZNS1_14partition_implILS5_6ELb0ES3_mN6thrust23THRUST_200600_302600_NS6detail15normal_iteratorINSA_10device_ptrIiEEEEPS6_SG_NS0_5tupleIJSF_S6_EEENSH_IJSG_SG_EEES6_PlJNSB_9not_fun_tI6is_oddIiEEEEEE10hipError_tPvRmT3_T4_T5_T6_T7_T9_mT8_P12ihipStream_tbDpT10_ENKUlT_T0_E_clISt17integral_constantIbLb0EES18_EEDaS13_S14_EUlS13_E_NS1_11comp_targetILNS1_3genE3ELNS1_11target_archE908ELNS1_3gpuE7ELNS1_3repE0EEENS1_30default_config_static_selectorELNS0_4arch9wavefront6targetE0EEEvT1_ ; -- Begin function _ZN7rocprim17ROCPRIM_400000_NS6detail17trampoline_kernelINS0_14default_configENS1_25partition_config_selectorILNS1_17partition_subalgoE6EiNS0_10empty_typeEbEEZZNS1_14partition_implILS5_6ELb0ES3_mN6thrust23THRUST_200600_302600_NS6detail15normal_iteratorINSA_10device_ptrIiEEEEPS6_SG_NS0_5tupleIJSF_S6_EEENSH_IJSG_SG_EEES6_PlJNSB_9not_fun_tI6is_oddIiEEEEEE10hipError_tPvRmT3_T4_T5_T6_T7_T9_mT8_P12ihipStream_tbDpT10_ENKUlT_T0_E_clISt17integral_constantIbLb0EES18_EEDaS13_S14_EUlS13_E_NS1_11comp_targetILNS1_3genE3ELNS1_11target_archE908ELNS1_3gpuE7ELNS1_3repE0EEENS1_30default_config_static_selectorELNS0_4arch9wavefront6targetE0EEEvT1_
	.globl	_ZN7rocprim17ROCPRIM_400000_NS6detail17trampoline_kernelINS0_14default_configENS1_25partition_config_selectorILNS1_17partition_subalgoE6EiNS0_10empty_typeEbEEZZNS1_14partition_implILS5_6ELb0ES3_mN6thrust23THRUST_200600_302600_NS6detail15normal_iteratorINSA_10device_ptrIiEEEEPS6_SG_NS0_5tupleIJSF_S6_EEENSH_IJSG_SG_EEES6_PlJNSB_9not_fun_tI6is_oddIiEEEEEE10hipError_tPvRmT3_T4_T5_T6_T7_T9_mT8_P12ihipStream_tbDpT10_ENKUlT_T0_E_clISt17integral_constantIbLb0EES18_EEDaS13_S14_EUlS13_E_NS1_11comp_targetILNS1_3genE3ELNS1_11target_archE908ELNS1_3gpuE7ELNS1_3repE0EEENS1_30default_config_static_selectorELNS0_4arch9wavefront6targetE0EEEvT1_
	.p2align	8
	.type	_ZN7rocprim17ROCPRIM_400000_NS6detail17trampoline_kernelINS0_14default_configENS1_25partition_config_selectorILNS1_17partition_subalgoE6EiNS0_10empty_typeEbEEZZNS1_14partition_implILS5_6ELb0ES3_mN6thrust23THRUST_200600_302600_NS6detail15normal_iteratorINSA_10device_ptrIiEEEEPS6_SG_NS0_5tupleIJSF_S6_EEENSH_IJSG_SG_EEES6_PlJNSB_9not_fun_tI6is_oddIiEEEEEE10hipError_tPvRmT3_T4_T5_T6_T7_T9_mT8_P12ihipStream_tbDpT10_ENKUlT_T0_E_clISt17integral_constantIbLb0EES18_EEDaS13_S14_EUlS13_E_NS1_11comp_targetILNS1_3genE3ELNS1_11target_archE908ELNS1_3gpuE7ELNS1_3repE0EEENS1_30default_config_static_selectorELNS0_4arch9wavefront6targetE0EEEvT1_,@function
_ZN7rocprim17ROCPRIM_400000_NS6detail17trampoline_kernelINS0_14default_configENS1_25partition_config_selectorILNS1_17partition_subalgoE6EiNS0_10empty_typeEbEEZZNS1_14partition_implILS5_6ELb0ES3_mN6thrust23THRUST_200600_302600_NS6detail15normal_iteratorINSA_10device_ptrIiEEEEPS6_SG_NS0_5tupleIJSF_S6_EEENSH_IJSG_SG_EEES6_PlJNSB_9not_fun_tI6is_oddIiEEEEEE10hipError_tPvRmT3_T4_T5_T6_T7_T9_mT8_P12ihipStream_tbDpT10_ENKUlT_T0_E_clISt17integral_constantIbLb0EES18_EEDaS13_S14_EUlS13_E_NS1_11comp_targetILNS1_3genE3ELNS1_11target_archE908ELNS1_3gpuE7ELNS1_3repE0EEENS1_30default_config_static_selectorELNS0_4arch9wavefront6targetE0EEEvT1_: ; @_ZN7rocprim17ROCPRIM_400000_NS6detail17trampoline_kernelINS0_14default_configENS1_25partition_config_selectorILNS1_17partition_subalgoE6EiNS0_10empty_typeEbEEZZNS1_14partition_implILS5_6ELb0ES3_mN6thrust23THRUST_200600_302600_NS6detail15normal_iteratorINSA_10device_ptrIiEEEEPS6_SG_NS0_5tupleIJSF_S6_EEENSH_IJSG_SG_EEES6_PlJNSB_9not_fun_tI6is_oddIiEEEEEE10hipError_tPvRmT3_T4_T5_T6_T7_T9_mT8_P12ihipStream_tbDpT10_ENKUlT_T0_E_clISt17integral_constantIbLb0EES18_EEDaS13_S14_EUlS13_E_NS1_11comp_targetILNS1_3genE3ELNS1_11target_archE908ELNS1_3gpuE7ELNS1_3repE0EEENS1_30default_config_static_selectorELNS0_4arch9wavefront6targetE0EEEvT1_
; %bb.0:
	.section	.rodata,"a",@progbits
	.p2align	6, 0x0
	.amdhsa_kernel _ZN7rocprim17ROCPRIM_400000_NS6detail17trampoline_kernelINS0_14default_configENS1_25partition_config_selectorILNS1_17partition_subalgoE6EiNS0_10empty_typeEbEEZZNS1_14partition_implILS5_6ELb0ES3_mN6thrust23THRUST_200600_302600_NS6detail15normal_iteratorINSA_10device_ptrIiEEEEPS6_SG_NS0_5tupleIJSF_S6_EEENSH_IJSG_SG_EEES6_PlJNSB_9not_fun_tI6is_oddIiEEEEEE10hipError_tPvRmT3_T4_T5_T6_T7_T9_mT8_P12ihipStream_tbDpT10_ENKUlT_T0_E_clISt17integral_constantIbLb0EES18_EEDaS13_S14_EUlS13_E_NS1_11comp_targetILNS1_3genE3ELNS1_11target_archE908ELNS1_3gpuE7ELNS1_3repE0EEENS1_30default_config_static_selectorELNS0_4arch9wavefront6targetE0EEEvT1_
		.amdhsa_group_segment_fixed_size 0
		.amdhsa_private_segment_fixed_size 0
		.amdhsa_kernarg_size 112
		.amdhsa_user_sgpr_count 2
		.amdhsa_user_sgpr_dispatch_ptr 0
		.amdhsa_user_sgpr_queue_ptr 0
		.amdhsa_user_sgpr_kernarg_segment_ptr 1
		.amdhsa_user_sgpr_dispatch_id 0
		.amdhsa_user_sgpr_private_segment_size 0
		.amdhsa_wavefront_size32 1
		.amdhsa_uses_dynamic_stack 0
		.amdhsa_enable_private_segment 0
		.amdhsa_system_sgpr_workgroup_id_x 1
		.amdhsa_system_sgpr_workgroup_id_y 0
		.amdhsa_system_sgpr_workgroup_id_z 0
		.amdhsa_system_sgpr_workgroup_info 0
		.amdhsa_system_vgpr_workitem_id 0
		.amdhsa_next_free_vgpr 1
		.amdhsa_next_free_sgpr 1
		.amdhsa_reserve_vcc 0
		.amdhsa_float_round_mode_32 0
		.amdhsa_float_round_mode_16_64 0
		.amdhsa_float_denorm_mode_32 3
		.amdhsa_float_denorm_mode_16_64 3
		.amdhsa_fp16_overflow 0
		.amdhsa_workgroup_processor_mode 1
		.amdhsa_memory_ordered 1
		.amdhsa_forward_progress 1
		.amdhsa_inst_pref_size 0
		.amdhsa_round_robin_scheduling 0
		.amdhsa_exception_fp_ieee_invalid_op 0
		.amdhsa_exception_fp_denorm_src 0
		.amdhsa_exception_fp_ieee_div_zero 0
		.amdhsa_exception_fp_ieee_overflow 0
		.amdhsa_exception_fp_ieee_underflow 0
		.amdhsa_exception_fp_ieee_inexact 0
		.amdhsa_exception_int_div_zero 0
	.end_amdhsa_kernel
	.section	.text._ZN7rocprim17ROCPRIM_400000_NS6detail17trampoline_kernelINS0_14default_configENS1_25partition_config_selectorILNS1_17partition_subalgoE6EiNS0_10empty_typeEbEEZZNS1_14partition_implILS5_6ELb0ES3_mN6thrust23THRUST_200600_302600_NS6detail15normal_iteratorINSA_10device_ptrIiEEEEPS6_SG_NS0_5tupleIJSF_S6_EEENSH_IJSG_SG_EEES6_PlJNSB_9not_fun_tI6is_oddIiEEEEEE10hipError_tPvRmT3_T4_T5_T6_T7_T9_mT8_P12ihipStream_tbDpT10_ENKUlT_T0_E_clISt17integral_constantIbLb0EES18_EEDaS13_S14_EUlS13_E_NS1_11comp_targetILNS1_3genE3ELNS1_11target_archE908ELNS1_3gpuE7ELNS1_3repE0EEENS1_30default_config_static_selectorELNS0_4arch9wavefront6targetE0EEEvT1_,"axG",@progbits,_ZN7rocprim17ROCPRIM_400000_NS6detail17trampoline_kernelINS0_14default_configENS1_25partition_config_selectorILNS1_17partition_subalgoE6EiNS0_10empty_typeEbEEZZNS1_14partition_implILS5_6ELb0ES3_mN6thrust23THRUST_200600_302600_NS6detail15normal_iteratorINSA_10device_ptrIiEEEEPS6_SG_NS0_5tupleIJSF_S6_EEENSH_IJSG_SG_EEES6_PlJNSB_9not_fun_tI6is_oddIiEEEEEE10hipError_tPvRmT3_T4_T5_T6_T7_T9_mT8_P12ihipStream_tbDpT10_ENKUlT_T0_E_clISt17integral_constantIbLb0EES18_EEDaS13_S14_EUlS13_E_NS1_11comp_targetILNS1_3genE3ELNS1_11target_archE908ELNS1_3gpuE7ELNS1_3repE0EEENS1_30default_config_static_selectorELNS0_4arch9wavefront6targetE0EEEvT1_,comdat
.Lfunc_end86:
	.size	_ZN7rocprim17ROCPRIM_400000_NS6detail17trampoline_kernelINS0_14default_configENS1_25partition_config_selectorILNS1_17partition_subalgoE6EiNS0_10empty_typeEbEEZZNS1_14partition_implILS5_6ELb0ES3_mN6thrust23THRUST_200600_302600_NS6detail15normal_iteratorINSA_10device_ptrIiEEEEPS6_SG_NS0_5tupleIJSF_S6_EEENSH_IJSG_SG_EEES6_PlJNSB_9not_fun_tI6is_oddIiEEEEEE10hipError_tPvRmT3_T4_T5_T6_T7_T9_mT8_P12ihipStream_tbDpT10_ENKUlT_T0_E_clISt17integral_constantIbLb0EES18_EEDaS13_S14_EUlS13_E_NS1_11comp_targetILNS1_3genE3ELNS1_11target_archE908ELNS1_3gpuE7ELNS1_3repE0EEENS1_30default_config_static_selectorELNS0_4arch9wavefront6targetE0EEEvT1_, .Lfunc_end86-_ZN7rocprim17ROCPRIM_400000_NS6detail17trampoline_kernelINS0_14default_configENS1_25partition_config_selectorILNS1_17partition_subalgoE6EiNS0_10empty_typeEbEEZZNS1_14partition_implILS5_6ELb0ES3_mN6thrust23THRUST_200600_302600_NS6detail15normal_iteratorINSA_10device_ptrIiEEEEPS6_SG_NS0_5tupleIJSF_S6_EEENSH_IJSG_SG_EEES6_PlJNSB_9not_fun_tI6is_oddIiEEEEEE10hipError_tPvRmT3_T4_T5_T6_T7_T9_mT8_P12ihipStream_tbDpT10_ENKUlT_T0_E_clISt17integral_constantIbLb0EES18_EEDaS13_S14_EUlS13_E_NS1_11comp_targetILNS1_3genE3ELNS1_11target_archE908ELNS1_3gpuE7ELNS1_3repE0EEENS1_30default_config_static_selectorELNS0_4arch9wavefront6targetE0EEEvT1_
                                        ; -- End function
	.set _ZN7rocprim17ROCPRIM_400000_NS6detail17trampoline_kernelINS0_14default_configENS1_25partition_config_selectorILNS1_17partition_subalgoE6EiNS0_10empty_typeEbEEZZNS1_14partition_implILS5_6ELb0ES3_mN6thrust23THRUST_200600_302600_NS6detail15normal_iteratorINSA_10device_ptrIiEEEEPS6_SG_NS0_5tupleIJSF_S6_EEENSH_IJSG_SG_EEES6_PlJNSB_9not_fun_tI6is_oddIiEEEEEE10hipError_tPvRmT3_T4_T5_T6_T7_T9_mT8_P12ihipStream_tbDpT10_ENKUlT_T0_E_clISt17integral_constantIbLb0EES18_EEDaS13_S14_EUlS13_E_NS1_11comp_targetILNS1_3genE3ELNS1_11target_archE908ELNS1_3gpuE7ELNS1_3repE0EEENS1_30default_config_static_selectorELNS0_4arch9wavefront6targetE0EEEvT1_.num_vgpr, 0
	.set _ZN7rocprim17ROCPRIM_400000_NS6detail17trampoline_kernelINS0_14default_configENS1_25partition_config_selectorILNS1_17partition_subalgoE6EiNS0_10empty_typeEbEEZZNS1_14partition_implILS5_6ELb0ES3_mN6thrust23THRUST_200600_302600_NS6detail15normal_iteratorINSA_10device_ptrIiEEEEPS6_SG_NS0_5tupleIJSF_S6_EEENSH_IJSG_SG_EEES6_PlJNSB_9not_fun_tI6is_oddIiEEEEEE10hipError_tPvRmT3_T4_T5_T6_T7_T9_mT8_P12ihipStream_tbDpT10_ENKUlT_T0_E_clISt17integral_constantIbLb0EES18_EEDaS13_S14_EUlS13_E_NS1_11comp_targetILNS1_3genE3ELNS1_11target_archE908ELNS1_3gpuE7ELNS1_3repE0EEENS1_30default_config_static_selectorELNS0_4arch9wavefront6targetE0EEEvT1_.num_agpr, 0
	.set _ZN7rocprim17ROCPRIM_400000_NS6detail17trampoline_kernelINS0_14default_configENS1_25partition_config_selectorILNS1_17partition_subalgoE6EiNS0_10empty_typeEbEEZZNS1_14partition_implILS5_6ELb0ES3_mN6thrust23THRUST_200600_302600_NS6detail15normal_iteratorINSA_10device_ptrIiEEEEPS6_SG_NS0_5tupleIJSF_S6_EEENSH_IJSG_SG_EEES6_PlJNSB_9not_fun_tI6is_oddIiEEEEEE10hipError_tPvRmT3_T4_T5_T6_T7_T9_mT8_P12ihipStream_tbDpT10_ENKUlT_T0_E_clISt17integral_constantIbLb0EES18_EEDaS13_S14_EUlS13_E_NS1_11comp_targetILNS1_3genE3ELNS1_11target_archE908ELNS1_3gpuE7ELNS1_3repE0EEENS1_30default_config_static_selectorELNS0_4arch9wavefront6targetE0EEEvT1_.numbered_sgpr, 0
	.set _ZN7rocprim17ROCPRIM_400000_NS6detail17trampoline_kernelINS0_14default_configENS1_25partition_config_selectorILNS1_17partition_subalgoE6EiNS0_10empty_typeEbEEZZNS1_14partition_implILS5_6ELb0ES3_mN6thrust23THRUST_200600_302600_NS6detail15normal_iteratorINSA_10device_ptrIiEEEEPS6_SG_NS0_5tupleIJSF_S6_EEENSH_IJSG_SG_EEES6_PlJNSB_9not_fun_tI6is_oddIiEEEEEE10hipError_tPvRmT3_T4_T5_T6_T7_T9_mT8_P12ihipStream_tbDpT10_ENKUlT_T0_E_clISt17integral_constantIbLb0EES18_EEDaS13_S14_EUlS13_E_NS1_11comp_targetILNS1_3genE3ELNS1_11target_archE908ELNS1_3gpuE7ELNS1_3repE0EEENS1_30default_config_static_selectorELNS0_4arch9wavefront6targetE0EEEvT1_.num_named_barrier, 0
	.set _ZN7rocprim17ROCPRIM_400000_NS6detail17trampoline_kernelINS0_14default_configENS1_25partition_config_selectorILNS1_17partition_subalgoE6EiNS0_10empty_typeEbEEZZNS1_14partition_implILS5_6ELb0ES3_mN6thrust23THRUST_200600_302600_NS6detail15normal_iteratorINSA_10device_ptrIiEEEEPS6_SG_NS0_5tupleIJSF_S6_EEENSH_IJSG_SG_EEES6_PlJNSB_9not_fun_tI6is_oddIiEEEEEE10hipError_tPvRmT3_T4_T5_T6_T7_T9_mT8_P12ihipStream_tbDpT10_ENKUlT_T0_E_clISt17integral_constantIbLb0EES18_EEDaS13_S14_EUlS13_E_NS1_11comp_targetILNS1_3genE3ELNS1_11target_archE908ELNS1_3gpuE7ELNS1_3repE0EEENS1_30default_config_static_selectorELNS0_4arch9wavefront6targetE0EEEvT1_.private_seg_size, 0
	.set _ZN7rocprim17ROCPRIM_400000_NS6detail17trampoline_kernelINS0_14default_configENS1_25partition_config_selectorILNS1_17partition_subalgoE6EiNS0_10empty_typeEbEEZZNS1_14partition_implILS5_6ELb0ES3_mN6thrust23THRUST_200600_302600_NS6detail15normal_iteratorINSA_10device_ptrIiEEEEPS6_SG_NS0_5tupleIJSF_S6_EEENSH_IJSG_SG_EEES6_PlJNSB_9not_fun_tI6is_oddIiEEEEEE10hipError_tPvRmT3_T4_T5_T6_T7_T9_mT8_P12ihipStream_tbDpT10_ENKUlT_T0_E_clISt17integral_constantIbLb0EES18_EEDaS13_S14_EUlS13_E_NS1_11comp_targetILNS1_3genE3ELNS1_11target_archE908ELNS1_3gpuE7ELNS1_3repE0EEENS1_30default_config_static_selectorELNS0_4arch9wavefront6targetE0EEEvT1_.uses_vcc, 0
	.set _ZN7rocprim17ROCPRIM_400000_NS6detail17trampoline_kernelINS0_14default_configENS1_25partition_config_selectorILNS1_17partition_subalgoE6EiNS0_10empty_typeEbEEZZNS1_14partition_implILS5_6ELb0ES3_mN6thrust23THRUST_200600_302600_NS6detail15normal_iteratorINSA_10device_ptrIiEEEEPS6_SG_NS0_5tupleIJSF_S6_EEENSH_IJSG_SG_EEES6_PlJNSB_9not_fun_tI6is_oddIiEEEEEE10hipError_tPvRmT3_T4_T5_T6_T7_T9_mT8_P12ihipStream_tbDpT10_ENKUlT_T0_E_clISt17integral_constantIbLb0EES18_EEDaS13_S14_EUlS13_E_NS1_11comp_targetILNS1_3genE3ELNS1_11target_archE908ELNS1_3gpuE7ELNS1_3repE0EEENS1_30default_config_static_selectorELNS0_4arch9wavefront6targetE0EEEvT1_.uses_flat_scratch, 0
	.set _ZN7rocprim17ROCPRIM_400000_NS6detail17trampoline_kernelINS0_14default_configENS1_25partition_config_selectorILNS1_17partition_subalgoE6EiNS0_10empty_typeEbEEZZNS1_14partition_implILS5_6ELb0ES3_mN6thrust23THRUST_200600_302600_NS6detail15normal_iteratorINSA_10device_ptrIiEEEEPS6_SG_NS0_5tupleIJSF_S6_EEENSH_IJSG_SG_EEES6_PlJNSB_9not_fun_tI6is_oddIiEEEEEE10hipError_tPvRmT3_T4_T5_T6_T7_T9_mT8_P12ihipStream_tbDpT10_ENKUlT_T0_E_clISt17integral_constantIbLb0EES18_EEDaS13_S14_EUlS13_E_NS1_11comp_targetILNS1_3genE3ELNS1_11target_archE908ELNS1_3gpuE7ELNS1_3repE0EEENS1_30default_config_static_selectorELNS0_4arch9wavefront6targetE0EEEvT1_.has_dyn_sized_stack, 0
	.set _ZN7rocprim17ROCPRIM_400000_NS6detail17trampoline_kernelINS0_14default_configENS1_25partition_config_selectorILNS1_17partition_subalgoE6EiNS0_10empty_typeEbEEZZNS1_14partition_implILS5_6ELb0ES3_mN6thrust23THRUST_200600_302600_NS6detail15normal_iteratorINSA_10device_ptrIiEEEEPS6_SG_NS0_5tupleIJSF_S6_EEENSH_IJSG_SG_EEES6_PlJNSB_9not_fun_tI6is_oddIiEEEEEE10hipError_tPvRmT3_T4_T5_T6_T7_T9_mT8_P12ihipStream_tbDpT10_ENKUlT_T0_E_clISt17integral_constantIbLb0EES18_EEDaS13_S14_EUlS13_E_NS1_11comp_targetILNS1_3genE3ELNS1_11target_archE908ELNS1_3gpuE7ELNS1_3repE0EEENS1_30default_config_static_selectorELNS0_4arch9wavefront6targetE0EEEvT1_.has_recursion, 0
	.set _ZN7rocprim17ROCPRIM_400000_NS6detail17trampoline_kernelINS0_14default_configENS1_25partition_config_selectorILNS1_17partition_subalgoE6EiNS0_10empty_typeEbEEZZNS1_14partition_implILS5_6ELb0ES3_mN6thrust23THRUST_200600_302600_NS6detail15normal_iteratorINSA_10device_ptrIiEEEEPS6_SG_NS0_5tupleIJSF_S6_EEENSH_IJSG_SG_EEES6_PlJNSB_9not_fun_tI6is_oddIiEEEEEE10hipError_tPvRmT3_T4_T5_T6_T7_T9_mT8_P12ihipStream_tbDpT10_ENKUlT_T0_E_clISt17integral_constantIbLb0EES18_EEDaS13_S14_EUlS13_E_NS1_11comp_targetILNS1_3genE3ELNS1_11target_archE908ELNS1_3gpuE7ELNS1_3repE0EEENS1_30default_config_static_selectorELNS0_4arch9wavefront6targetE0EEEvT1_.has_indirect_call, 0
	.section	.AMDGPU.csdata,"",@progbits
; Kernel info:
; codeLenInByte = 0
; TotalNumSgprs: 0
; NumVgprs: 0
; ScratchSize: 0
; MemoryBound: 0
; FloatMode: 240
; IeeeMode: 1
; LDSByteSize: 0 bytes/workgroup (compile time only)
; SGPRBlocks: 0
; VGPRBlocks: 0
; NumSGPRsForWavesPerEU: 1
; NumVGPRsForWavesPerEU: 1
; Occupancy: 16
; WaveLimiterHint : 0
; COMPUTE_PGM_RSRC2:SCRATCH_EN: 0
; COMPUTE_PGM_RSRC2:USER_SGPR: 2
; COMPUTE_PGM_RSRC2:TRAP_HANDLER: 0
; COMPUTE_PGM_RSRC2:TGID_X_EN: 1
; COMPUTE_PGM_RSRC2:TGID_Y_EN: 0
; COMPUTE_PGM_RSRC2:TGID_Z_EN: 0
; COMPUTE_PGM_RSRC2:TIDIG_COMP_CNT: 0
	.section	.text._ZN7rocprim17ROCPRIM_400000_NS6detail17trampoline_kernelINS0_14default_configENS1_25partition_config_selectorILNS1_17partition_subalgoE6EiNS0_10empty_typeEbEEZZNS1_14partition_implILS5_6ELb0ES3_mN6thrust23THRUST_200600_302600_NS6detail15normal_iteratorINSA_10device_ptrIiEEEEPS6_SG_NS0_5tupleIJSF_S6_EEENSH_IJSG_SG_EEES6_PlJNSB_9not_fun_tI6is_oddIiEEEEEE10hipError_tPvRmT3_T4_T5_T6_T7_T9_mT8_P12ihipStream_tbDpT10_ENKUlT_T0_E_clISt17integral_constantIbLb0EES18_EEDaS13_S14_EUlS13_E_NS1_11comp_targetILNS1_3genE2ELNS1_11target_archE906ELNS1_3gpuE6ELNS1_3repE0EEENS1_30default_config_static_selectorELNS0_4arch9wavefront6targetE0EEEvT1_,"axG",@progbits,_ZN7rocprim17ROCPRIM_400000_NS6detail17trampoline_kernelINS0_14default_configENS1_25partition_config_selectorILNS1_17partition_subalgoE6EiNS0_10empty_typeEbEEZZNS1_14partition_implILS5_6ELb0ES3_mN6thrust23THRUST_200600_302600_NS6detail15normal_iteratorINSA_10device_ptrIiEEEEPS6_SG_NS0_5tupleIJSF_S6_EEENSH_IJSG_SG_EEES6_PlJNSB_9not_fun_tI6is_oddIiEEEEEE10hipError_tPvRmT3_T4_T5_T6_T7_T9_mT8_P12ihipStream_tbDpT10_ENKUlT_T0_E_clISt17integral_constantIbLb0EES18_EEDaS13_S14_EUlS13_E_NS1_11comp_targetILNS1_3genE2ELNS1_11target_archE906ELNS1_3gpuE6ELNS1_3repE0EEENS1_30default_config_static_selectorELNS0_4arch9wavefront6targetE0EEEvT1_,comdat
	.protected	_ZN7rocprim17ROCPRIM_400000_NS6detail17trampoline_kernelINS0_14default_configENS1_25partition_config_selectorILNS1_17partition_subalgoE6EiNS0_10empty_typeEbEEZZNS1_14partition_implILS5_6ELb0ES3_mN6thrust23THRUST_200600_302600_NS6detail15normal_iteratorINSA_10device_ptrIiEEEEPS6_SG_NS0_5tupleIJSF_S6_EEENSH_IJSG_SG_EEES6_PlJNSB_9not_fun_tI6is_oddIiEEEEEE10hipError_tPvRmT3_T4_T5_T6_T7_T9_mT8_P12ihipStream_tbDpT10_ENKUlT_T0_E_clISt17integral_constantIbLb0EES18_EEDaS13_S14_EUlS13_E_NS1_11comp_targetILNS1_3genE2ELNS1_11target_archE906ELNS1_3gpuE6ELNS1_3repE0EEENS1_30default_config_static_selectorELNS0_4arch9wavefront6targetE0EEEvT1_ ; -- Begin function _ZN7rocprim17ROCPRIM_400000_NS6detail17trampoline_kernelINS0_14default_configENS1_25partition_config_selectorILNS1_17partition_subalgoE6EiNS0_10empty_typeEbEEZZNS1_14partition_implILS5_6ELb0ES3_mN6thrust23THRUST_200600_302600_NS6detail15normal_iteratorINSA_10device_ptrIiEEEEPS6_SG_NS0_5tupleIJSF_S6_EEENSH_IJSG_SG_EEES6_PlJNSB_9not_fun_tI6is_oddIiEEEEEE10hipError_tPvRmT3_T4_T5_T6_T7_T9_mT8_P12ihipStream_tbDpT10_ENKUlT_T0_E_clISt17integral_constantIbLb0EES18_EEDaS13_S14_EUlS13_E_NS1_11comp_targetILNS1_3genE2ELNS1_11target_archE906ELNS1_3gpuE6ELNS1_3repE0EEENS1_30default_config_static_selectorELNS0_4arch9wavefront6targetE0EEEvT1_
	.globl	_ZN7rocprim17ROCPRIM_400000_NS6detail17trampoline_kernelINS0_14default_configENS1_25partition_config_selectorILNS1_17partition_subalgoE6EiNS0_10empty_typeEbEEZZNS1_14partition_implILS5_6ELb0ES3_mN6thrust23THRUST_200600_302600_NS6detail15normal_iteratorINSA_10device_ptrIiEEEEPS6_SG_NS0_5tupleIJSF_S6_EEENSH_IJSG_SG_EEES6_PlJNSB_9not_fun_tI6is_oddIiEEEEEE10hipError_tPvRmT3_T4_T5_T6_T7_T9_mT8_P12ihipStream_tbDpT10_ENKUlT_T0_E_clISt17integral_constantIbLb0EES18_EEDaS13_S14_EUlS13_E_NS1_11comp_targetILNS1_3genE2ELNS1_11target_archE906ELNS1_3gpuE6ELNS1_3repE0EEENS1_30default_config_static_selectorELNS0_4arch9wavefront6targetE0EEEvT1_
	.p2align	8
	.type	_ZN7rocprim17ROCPRIM_400000_NS6detail17trampoline_kernelINS0_14default_configENS1_25partition_config_selectorILNS1_17partition_subalgoE6EiNS0_10empty_typeEbEEZZNS1_14partition_implILS5_6ELb0ES3_mN6thrust23THRUST_200600_302600_NS6detail15normal_iteratorINSA_10device_ptrIiEEEEPS6_SG_NS0_5tupleIJSF_S6_EEENSH_IJSG_SG_EEES6_PlJNSB_9not_fun_tI6is_oddIiEEEEEE10hipError_tPvRmT3_T4_T5_T6_T7_T9_mT8_P12ihipStream_tbDpT10_ENKUlT_T0_E_clISt17integral_constantIbLb0EES18_EEDaS13_S14_EUlS13_E_NS1_11comp_targetILNS1_3genE2ELNS1_11target_archE906ELNS1_3gpuE6ELNS1_3repE0EEENS1_30default_config_static_selectorELNS0_4arch9wavefront6targetE0EEEvT1_,@function
_ZN7rocprim17ROCPRIM_400000_NS6detail17trampoline_kernelINS0_14default_configENS1_25partition_config_selectorILNS1_17partition_subalgoE6EiNS0_10empty_typeEbEEZZNS1_14partition_implILS5_6ELb0ES3_mN6thrust23THRUST_200600_302600_NS6detail15normal_iteratorINSA_10device_ptrIiEEEEPS6_SG_NS0_5tupleIJSF_S6_EEENSH_IJSG_SG_EEES6_PlJNSB_9not_fun_tI6is_oddIiEEEEEE10hipError_tPvRmT3_T4_T5_T6_T7_T9_mT8_P12ihipStream_tbDpT10_ENKUlT_T0_E_clISt17integral_constantIbLb0EES18_EEDaS13_S14_EUlS13_E_NS1_11comp_targetILNS1_3genE2ELNS1_11target_archE906ELNS1_3gpuE6ELNS1_3repE0EEENS1_30default_config_static_selectorELNS0_4arch9wavefront6targetE0EEEvT1_: ; @_ZN7rocprim17ROCPRIM_400000_NS6detail17trampoline_kernelINS0_14default_configENS1_25partition_config_selectorILNS1_17partition_subalgoE6EiNS0_10empty_typeEbEEZZNS1_14partition_implILS5_6ELb0ES3_mN6thrust23THRUST_200600_302600_NS6detail15normal_iteratorINSA_10device_ptrIiEEEEPS6_SG_NS0_5tupleIJSF_S6_EEENSH_IJSG_SG_EEES6_PlJNSB_9not_fun_tI6is_oddIiEEEEEE10hipError_tPvRmT3_T4_T5_T6_T7_T9_mT8_P12ihipStream_tbDpT10_ENKUlT_T0_E_clISt17integral_constantIbLb0EES18_EEDaS13_S14_EUlS13_E_NS1_11comp_targetILNS1_3genE2ELNS1_11target_archE906ELNS1_3gpuE6ELNS1_3repE0EEENS1_30default_config_static_selectorELNS0_4arch9wavefront6targetE0EEEvT1_
; %bb.0:
	.section	.rodata,"a",@progbits
	.p2align	6, 0x0
	.amdhsa_kernel _ZN7rocprim17ROCPRIM_400000_NS6detail17trampoline_kernelINS0_14default_configENS1_25partition_config_selectorILNS1_17partition_subalgoE6EiNS0_10empty_typeEbEEZZNS1_14partition_implILS5_6ELb0ES3_mN6thrust23THRUST_200600_302600_NS6detail15normal_iteratorINSA_10device_ptrIiEEEEPS6_SG_NS0_5tupleIJSF_S6_EEENSH_IJSG_SG_EEES6_PlJNSB_9not_fun_tI6is_oddIiEEEEEE10hipError_tPvRmT3_T4_T5_T6_T7_T9_mT8_P12ihipStream_tbDpT10_ENKUlT_T0_E_clISt17integral_constantIbLb0EES18_EEDaS13_S14_EUlS13_E_NS1_11comp_targetILNS1_3genE2ELNS1_11target_archE906ELNS1_3gpuE6ELNS1_3repE0EEENS1_30default_config_static_selectorELNS0_4arch9wavefront6targetE0EEEvT1_
		.amdhsa_group_segment_fixed_size 0
		.amdhsa_private_segment_fixed_size 0
		.amdhsa_kernarg_size 112
		.amdhsa_user_sgpr_count 2
		.amdhsa_user_sgpr_dispatch_ptr 0
		.amdhsa_user_sgpr_queue_ptr 0
		.amdhsa_user_sgpr_kernarg_segment_ptr 1
		.amdhsa_user_sgpr_dispatch_id 0
		.amdhsa_user_sgpr_private_segment_size 0
		.amdhsa_wavefront_size32 1
		.amdhsa_uses_dynamic_stack 0
		.amdhsa_enable_private_segment 0
		.amdhsa_system_sgpr_workgroup_id_x 1
		.amdhsa_system_sgpr_workgroup_id_y 0
		.amdhsa_system_sgpr_workgroup_id_z 0
		.amdhsa_system_sgpr_workgroup_info 0
		.amdhsa_system_vgpr_workitem_id 0
		.amdhsa_next_free_vgpr 1
		.amdhsa_next_free_sgpr 1
		.amdhsa_reserve_vcc 0
		.amdhsa_float_round_mode_32 0
		.amdhsa_float_round_mode_16_64 0
		.amdhsa_float_denorm_mode_32 3
		.amdhsa_float_denorm_mode_16_64 3
		.amdhsa_fp16_overflow 0
		.amdhsa_workgroup_processor_mode 1
		.amdhsa_memory_ordered 1
		.amdhsa_forward_progress 1
		.amdhsa_inst_pref_size 0
		.amdhsa_round_robin_scheduling 0
		.amdhsa_exception_fp_ieee_invalid_op 0
		.amdhsa_exception_fp_denorm_src 0
		.amdhsa_exception_fp_ieee_div_zero 0
		.amdhsa_exception_fp_ieee_overflow 0
		.amdhsa_exception_fp_ieee_underflow 0
		.amdhsa_exception_fp_ieee_inexact 0
		.amdhsa_exception_int_div_zero 0
	.end_amdhsa_kernel
	.section	.text._ZN7rocprim17ROCPRIM_400000_NS6detail17trampoline_kernelINS0_14default_configENS1_25partition_config_selectorILNS1_17partition_subalgoE6EiNS0_10empty_typeEbEEZZNS1_14partition_implILS5_6ELb0ES3_mN6thrust23THRUST_200600_302600_NS6detail15normal_iteratorINSA_10device_ptrIiEEEEPS6_SG_NS0_5tupleIJSF_S6_EEENSH_IJSG_SG_EEES6_PlJNSB_9not_fun_tI6is_oddIiEEEEEE10hipError_tPvRmT3_T4_T5_T6_T7_T9_mT8_P12ihipStream_tbDpT10_ENKUlT_T0_E_clISt17integral_constantIbLb0EES18_EEDaS13_S14_EUlS13_E_NS1_11comp_targetILNS1_3genE2ELNS1_11target_archE906ELNS1_3gpuE6ELNS1_3repE0EEENS1_30default_config_static_selectorELNS0_4arch9wavefront6targetE0EEEvT1_,"axG",@progbits,_ZN7rocprim17ROCPRIM_400000_NS6detail17trampoline_kernelINS0_14default_configENS1_25partition_config_selectorILNS1_17partition_subalgoE6EiNS0_10empty_typeEbEEZZNS1_14partition_implILS5_6ELb0ES3_mN6thrust23THRUST_200600_302600_NS6detail15normal_iteratorINSA_10device_ptrIiEEEEPS6_SG_NS0_5tupleIJSF_S6_EEENSH_IJSG_SG_EEES6_PlJNSB_9not_fun_tI6is_oddIiEEEEEE10hipError_tPvRmT3_T4_T5_T6_T7_T9_mT8_P12ihipStream_tbDpT10_ENKUlT_T0_E_clISt17integral_constantIbLb0EES18_EEDaS13_S14_EUlS13_E_NS1_11comp_targetILNS1_3genE2ELNS1_11target_archE906ELNS1_3gpuE6ELNS1_3repE0EEENS1_30default_config_static_selectorELNS0_4arch9wavefront6targetE0EEEvT1_,comdat
.Lfunc_end87:
	.size	_ZN7rocprim17ROCPRIM_400000_NS6detail17trampoline_kernelINS0_14default_configENS1_25partition_config_selectorILNS1_17partition_subalgoE6EiNS0_10empty_typeEbEEZZNS1_14partition_implILS5_6ELb0ES3_mN6thrust23THRUST_200600_302600_NS6detail15normal_iteratorINSA_10device_ptrIiEEEEPS6_SG_NS0_5tupleIJSF_S6_EEENSH_IJSG_SG_EEES6_PlJNSB_9not_fun_tI6is_oddIiEEEEEE10hipError_tPvRmT3_T4_T5_T6_T7_T9_mT8_P12ihipStream_tbDpT10_ENKUlT_T0_E_clISt17integral_constantIbLb0EES18_EEDaS13_S14_EUlS13_E_NS1_11comp_targetILNS1_3genE2ELNS1_11target_archE906ELNS1_3gpuE6ELNS1_3repE0EEENS1_30default_config_static_selectorELNS0_4arch9wavefront6targetE0EEEvT1_, .Lfunc_end87-_ZN7rocprim17ROCPRIM_400000_NS6detail17trampoline_kernelINS0_14default_configENS1_25partition_config_selectorILNS1_17partition_subalgoE6EiNS0_10empty_typeEbEEZZNS1_14partition_implILS5_6ELb0ES3_mN6thrust23THRUST_200600_302600_NS6detail15normal_iteratorINSA_10device_ptrIiEEEEPS6_SG_NS0_5tupleIJSF_S6_EEENSH_IJSG_SG_EEES6_PlJNSB_9not_fun_tI6is_oddIiEEEEEE10hipError_tPvRmT3_T4_T5_T6_T7_T9_mT8_P12ihipStream_tbDpT10_ENKUlT_T0_E_clISt17integral_constantIbLb0EES18_EEDaS13_S14_EUlS13_E_NS1_11comp_targetILNS1_3genE2ELNS1_11target_archE906ELNS1_3gpuE6ELNS1_3repE0EEENS1_30default_config_static_selectorELNS0_4arch9wavefront6targetE0EEEvT1_
                                        ; -- End function
	.set _ZN7rocprim17ROCPRIM_400000_NS6detail17trampoline_kernelINS0_14default_configENS1_25partition_config_selectorILNS1_17partition_subalgoE6EiNS0_10empty_typeEbEEZZNS1_14partition_implILS5_6ELb0ES3_mN6thrust23THRUST_200600_302600_NS6detail15normal_iteratorINSA_10device_ptrIiEEEEPS6_SG_NS0_5tupleIJSF_S6_EEENSH_IJSG_SG_EEES6_PlJNSB_9not_fun_tI6is_oddIiEEEEEE10hipError_tPvRmT3_T4_T5_T6_T7_T9_mT8_P12ihipStream_tbDpT10_ENKUlT_T0_E_clISt17integral_constantIbLb0EES18_EEDaS13_S14_EUlS13_E_NS1_11comp_targetILNS1_3genE2ELNS1_11target_archE906ELNS1_3gpuE6ELNS1_3repE0EEENS1_30default_config_static_selectorELNS0_4arch9wavefront6targetE0EEEvT1_.num_vgpr, 0
	.set _ZN7rocprim17ROCPRIM_400000_NS6detail17trampoline_kernelINS0_14default_configENS1_25partition_config_selectorILNS1_17partition_subalgoE6EiNS0_10empty_typeEbEEZZNS1_14partition_implILS5_6ELb0ES3_mN6thrust23THRUST_200600_302600_NS6detail15normal_iteratorINSA_10device_ptrIiEEEEPS6_SG_NS0_5tupleIJSF_S6_EEENSH_IJSG_SG_EEES6_PlJNSB_9not_fun_tI6is_oddIiEEEEEE10hipError_tPvRmT3_T4_T5_T6_T7_T9_mT8_P12ihipStream_tbDpT10_ENKUlT_T0_E_clISt17integral_constantIbLb0EES18_EEDaS13_S14_EUlS13_E_NS1_11comp_targetILNS1_3genE2ELNS1_11target_archE906ELNS1_3gpuE6ELNS1_3repE0EEENS1_30default_config_static_selectorELNS0_4arch9wavefront6targetE0EEEvT1_.num_agpr, 0
	.set _ZN7rocprim17ROCPRIM_400000_NS6detail17trampoline_kernelINS0_14default_configENS1_25partition_config_selectorILNS1_17partition_subalgoE6EiNS0_10empty_typeEbEEZZNS1_14partition_implILS5_6ELb0ES3_mN6thrust23THRUST_200600_302600_NS6detail15normal_iteratorINSA_10device_ptrIiEEEEPS6_SG_NS0_5tupleIJSF_S6_EEENSH_IJSG_SG_EEES6_PlJNSB_9not_fun_tI6is_oddIiEEEEEE10hipError_tPvRmT3_T4_T5_T6_T7_T9_mT8_P12ihipStream_tbDpT10_ENKUlT_T0_E_clISt17integral_constantIbLb0EES18_EEDaS13_S14_EUlS13_E_NS1_11comp_targetILNS1_3genE2ELNS1_11target_archE906ELNS1_3gpuE6ELNS1_3repE0EEENS1_30default_config_static_selectorELNS0_4arch9wavefront6targetE0EEEvT1_.numbered_sgpr, 0
	.set _ZN7rocprim17ROCPRIM_400000_NS6detail17trampoline_kernelINS0_14default_configENS1_25partition_config_selectorILNS1_17partition_subalgoE6EiNS0_10empty_typeEbEEZZNS1_14partition_implILS5_6ELb0ES3_mN6thrust23THRUST_200600_302600_NS6detail15normal_iteratorINSA_10device_ptrIiEEEEPS6_SG_NS0_5tupleIJSF_S6_EEENSH_IJSG_SG_EEES6_PlJNSB_9not_fun_tI6is_oddIiEEEEEE10hipError_tPvRmT3_T4_T5_T6_T7_T9_mT8_P12ihipStream_tbDpT10_ENKUlT_T0_E_clISt17integral_constantIbLb0EES18_EEDaS13_S14_EUlS13_E_NS1_11comp_targetILNS1_3genE2ELNS1_11target_archE906ELNS1_3gpuE6ELNS1_3repE0EEENS1_30default_config_static_selectorELNS0_4arch9wavefront6targetE0EEEvT1_.num_named_barrier, 0
	.set _ZN7rocprim17ROCPRIM_400000_NS6detail17trampoline_kernelINS0_14default_configENS1_25partition_config_selectorILNS1_17partition_subalgoE6EiNS0_10empty_typeEbEEZZNS1_14partition_implILS5_6ELb0ES3_mN6thrust23THRUST_200600_302600_NS6detail15normal_iteratorINSA_10device_ptrIiEEEEPS6_SG_NS0_5tupleIJSF_S6_EEENSH_IJSG_SG_EEES6_PlJNSB_9not_fun_tI6is_oddIiEEEEEE10hipError_tPvRmT3_T4_T5_T6_T7_T9_mT8_P12ihipStream_tbDpT10_ENKUlT_T0_E_clISt17integral_constantIbLb0EES18_EEDaS13_S14_EUlS13_E_NS1_11comp_targetILNS1_3genE2ELNS1_11target_archE906ELNS1_3gpuE6ELNS1_3repE0EEENS1_30default_config_static_selectorELNS0_4arch9wavefront6targetE0EEEvT1_.private_seg_size, 0
	.set _ZN7rocprim17ROCPRIM_400000_NS6detail17trampoline_kernelINS0_14default_configENS1_25partition_config_selectorILNS1_17partition_subalgoE6EiNS0_10empty_typeEbEEZZNS1_14partition_implILS5_6ELb0ES3_mN6thrust23THRUST_200600_302600_NS6detail15normal_iteratorINSA_10device_ptrIiEEEEPS6_SG_NS0_5tupleIJSF_S6_EEENSH_IJSG_SG_EEES6_PlJNSB_9not_fun_tI6is_oddIiEEEEEE10hipError_tPvRmT3_T4_T5_T6_T7_T9_mT8_P12ihipStream_tbDpT10_ENKUlT_T0_E_clISt17integral_constantIbLb0EES18_EEDaS13_S14_EUlS13_E_NS1_11comp_targetILNS1_3genE2ELNS1_11target_archE906ELNS1_3gpuE6ELNS1_3repE0EEENS1_30default_config_static_selectorELNS0_4arch9wavefront6targetE0EEEvT1_.uses_vcc, 0
	.set _ZN7rocprim17ROCPRIM_400000_NS6detail17trampoline_kernelINS0_14default_configENS1_25partition_config_selectorILNS1_17partition_subalgoE6EiNS0_10empty_typeEbEEZZNS1_14partition_implILS5_6ELb0ES3_mN6thrust23THRUST_200600_302600_NS6detail15normal_iteratorINSA_10device_ptrIiEEEEPS6_SG_NS0_5tupleIJSF_S6_EEENSH_IJSG_SG_EEES6_PlJNSB_9not_fun_tI6is_oddIiEEEEEE10hipError_tPvRmT3_T4_T5_T6_T7_T9_mT8_P12ihipStream_tbDpT10_ENKUlT_T0_E_clISt17integral_constantIbLb0EES18_EEDaS13_S14_EUlS13_E_NS1_11comp_targetILNS1_3genE2ELNS1_11target_archE906ELNS1_3gpuE6ELNS1_3repE0EEENS1_30default_config_static_selectorELNS0_4arch9wavefront6targetE0EEEvT1_.uses_flat_scratch, 0
	.set _ZN7rocprim17ROCPRIM_400000_NS6detail17trampoline_kernelINS0_14default_configENS1_25partition_config_selectorILNS1_17partition_subalgoE6EiNS0_10empty_typeEbEEZZNS1_14partition_implILS5_6ELb0ES3_mN6thrust23THRUST_200600_302600_NS6detail15normal_iteratorINSA_10device_ptrIiEEEEPS6_SG_NS0_5tupleIJSF_S6_EEENSH_IJSG_SG_EEES6_PlJNSB_9not_fun_tI6is_oddIiEEEEEE10hipError_tPvRmT3_T4_T5_T6_T7_T9_mT8_P12ihipStream_tbDpT10_ENKUlT_T0_E_clISt17integral_constantIbLb0EES18_EEDaS13_S14_EUlS13_E_NS1_11comp_targetILNS1_3genE2ELNS1_11target_archE906ELNS1_3gpuE6ELNS1_3repE0EEENS1_30default_config_static_selectorELNS0_4arch9wavefront6targetE0EEEvT1_.has_dyn_sized_stack, 0
	.set _ZN7rocprim17ROCPRIM_400000_NS6detail17trampoline_kernelINS0_14default_configENS1_25partition_config_selectorILNS1_17partition_subalgoE6EiNS0_10empty_typeEbEEZZNS1_14partition_implILS5_6ELb0ES3_mN6thrust23THRUST_200600_302600_NS6detail15normal_iteratorINSA_10device_ptrIiEEEEPS6_SG_NS0_5tupleIJSF_S6_EEENSH_IJSG_SG_EEES6_PlJNSB_9not_fun_tI6is_oddIiEEEEEE10hipError_tPvRmT3_T4_T5_T6_T7_T9_mT8_P12ihipStream_tbDpT10_ENKUlT_T0_E_clISt17integral_constantIbLb0EES18_EEDaS13_S14_EUlS13_E_NS1_11comp_targetILNS1_3genE2ELNS1_11target_archE906ELNS1_3gpuE6ELNS1_3repE0EEENS1_30default_config_static_selectorELNS0_4arch9wavefront6targetE0EEEvT1_.has_recursion, 0
	.set _ZN7rocprim17ROCPRIM_400000_NS6detail17trampoline_kernelINS0_14default_configENS1_25partition_config_selectorILNS1_17partition_subalgoE6EiNS0_10empty_typeEbEEZZNS1_14partition_implILS5_6ELb0ES3_mN6thrust23THRUST_200600_302600_NS6detail15normal_iteratorINSA_10device_ptrIiEEEEPS6_SG_NS0_5tupleIJSF_S6_EEENSH_IJSG_SG_EEES6_PlJNSB_9not_fun_tI6is_oddIiEEEEEE10hipError_tPvRmT3_T4_T5_T6_T7_T9_mT8_P12ihipStream_tbDpT10_ENKUlT_T0_E_clISt17integral_constantIbLb0EES18_EEDaS13_S14_EUlS13_E_NS1_11comp_targetILNS1_3genE2ELNS1_11target_archE906ELNS1_3gpuE6ELNS1_3repE0EEENS1_30default_config_static_selectorELNS0_4arch9wavefront6targetE0EEEvT1_.has_indirect_call, 0
	.section	.AMDGPU.csdata,"",@progbits
; Kernel info:
; codeLenInByte = 0
; TotalNumSgprs: 0
; NumVgprs: 0
; ScratchSize: 0
; MemoryBound: 0
; FloatMode: 240
; IeeeMode: 1
; LDSByteSize: 0 bytes/workgroup (compile time only)
; SGPRBlocks: 0
; VGPRBlocks: 0
; NumSGPRsForWavesPerEU: 1
; NumVGPRsForWavesPerEU: 1
; Occupancy: 16
; WaveLimiterHint : 0
; COMPUTE_PGM_RSRC2:SCRATCH_EN: 0
; COMPUTE_PGM_RSRC2:USER_SGPR: 2
; COMPUTE_PGM_RSRC2:TRAP_HANDLER: 0
; COMPUTE_PGM_RSRC2:TGID_X_EN: 1
; COMPUTE_PGM_RSRC2:TGID_Y_EN: 0
; COMPUTE_PGM_RSRC2:TGID_Z_EN: 0
; COMPUTE_PGM_RSRC2:TIDIG_COMP_CNT: 0
	.section	.text._ZN7rocprim17ROCPRIM_400000_NS6detail17trampoline_kernelINS0_14default_configENS1_25partition_config_selectorILNS1_17partition_subalgoE6EiNS0_10empty_typeEbEEZZNS1_14partition_implILS5_6ELb0ES3_mN6thrust23THRUST_200600_302600_NS6detail15normal_iteratorINSA_10device_ptrIiEEEEPS6_SG_NS0_5tupleIJSF_S6_EEENSH_IJSG_SG_EEES6_PlJNSB_9not_fun_tI6is_oddIiEEEEEE10hipError_tPvRmT3_T4_T5_T6_T7_T9_mT8_P12ihipStream_tbDpT10_ENKUlT_T0_E_clISt17integral_constantIbLb0EES18_EEDaS13_S14_EUlS13_E_NS1_11comp_targetILNS1_3genE10ELNS1_11target_archE1200ELNS1_3gpuE4ELNS1_3repE0EEENS1_30default_config_static_selectorELNS0_4arch9wavefront6targetE0EEEvT1_,"axG",@progbits,_ZN7rocprim17ROCPRIM_400000_NS6detail17trampoline_kernelINS0_14default_configENS1_25partition_config_selectorILNS1_17partition_subalgoE6EiNS0_10empty_typeEbEEZZNS1_14partition_implILS5_6ELb0ES3_mN6thrust23THRUST_200600_302600_NS6detail15normal_iteratorINSA_10device_ptrIiEEEEPS6_SG_NS0_5tupleIJSF_S6_EEENSH_IJSG_SG_EEES6_PlJNSB_9not_fun_tI6is_oddIiEEEEEE10hipError_tPvRmT3_T4_T5_T6_T7_T9_mT8_P12ihipStream_tbDpT10_ENKUlT_T0_E_clISt17integral_constantIbLb0EES18_EEDaS13_S14_EUlS13_E_NS1_11comp_targetILNS1_3genE10ELNS1_11target_archE1200ELNS1_3gpuE4ELNS1_3repE0EEENS1_30default_config_static_selectorELNS0_4arch9wavefront6targetE0EEEvT1_,comdat
	.protected	_ZN7rocprim17ROCPRIM_400000_NS6detail17trampoline_kernelINS0_14default_configENS1_25partition_config_selectorILNS1_17partition_subalgoE6EiNS0_10empty_typeEbEEZZNS1_14partition_implILS5_6ELb0ES3_mN6thrust23THRUST_200600_302600_NS6detail15normal_iteratorINSA_10device_ptrIiEEEEPS6_SG_NS0_5tupleIJSF_S6_EEENSH_IJSG_SG_EEES6_PlJNSB_9not_fun_tI6is_oddIiEEEEEE10hipError_tPvRmT3_T4_T5_T6_T7_T9_mT8_P12ihipStream_tbDpT10_ENKUlT_T0_E_clISt17integral_constantIbLb0EES18_EEDaS13_S14_EUlS13_E_NS1_11comp_targetILNS1_3genE10ELNS1_11target_archE1200ELNS1_3gpuE4ELNS1_3repE0EEENS1_30default_config_static_selectorELNS0_4arch9wavefront6targetE0EEEvT1_ ; -- Begin function _ZN7rocprim17ROCPRIM_400000_NS6detail17trampoline_kernelINS0_14default_configENS1_25partition_config_selectorILNS1_17partition_subalgoE6EiNS0_10empty_typeEbEEZZNS1_14partition_implILS5_6ELb0ES3_mN6thrust23THRUST_200600_302600_NS6detail15normal_iteratorINSA_10device_ptrIiEEEEPS6_SG_NS0_5tupleIJSF_S6_EEENSH_IJSG_SG_EEES6_PlJNSB_9not_fun_tI6is_oddIiEEEEEE10hipError_tPvRmT3_T4_T5_T6_T7_T9_mT8_P12ihipStream_tbDpT10_ENKUlT_T0_E_clISt17integral_constantIbLb0EES18_EEDaS13_S14_EUlS13_E_NS1_11comp_targetILNS1_3genE10ELNS1_11target_archE1200ELNS1_3gpuE4ELNS1_3repE0EEENS1_30default_config_static_selectorELNS0_4arch9wavefront6targetE0EEEvT1_
	.globl	_ZN7rocprim17ROCPRIM_400000_NS6detail17trampoline_kernelINS0_14default_configENS1_25partition_config_selectorILNS1_17partition_subalgoE6EiNS0_10empty_typeEbEEZZNS1_14partition_implILS5_6ELb0ES3_mN6thrust23THRUST_200600_302600_NS6detail15normal_iteratorINSA_10device_ptrIiEEEEPS6_SG_NS0_5tupleIJSF_S6_EEENSH_IJSG_SG_EEES6_PlJNSB_9not_fun_tI6is_oddIiEEEEEE10hipError_tPvRmT3_T4_T5_T6_T7_T9_mT8_P12ihipStream_tbDpT10_ENKUlT_T0_E_clISt17integral_constantIbLb0EES18_EEDaS13_S14_EUlS13_E_NS1_11comp_targetILNS1_3genE10ELNS1_11target_archE1200ELNS1_3gpuE4ELNS1_3repE0EEENS1_30default_config_static_selectorELNS0_4arch9wavefront6targetE0EEEvT1_
	.p2align	8
	.type	_ZN7rocprim17ROCPRIM_400000_NS6detail17trampoline_kernelINS0_14default_configENS1_25partition_config_selectorILNS1_17partition_subalgoE6EiNS0_10empty_typeEbEEZZNS1_14partition_implILS5_6ELb0ES3_mN6thrust23THRUST_200600_302600_NS6detail15normal_iteratorINSA_10device_ptrIiEEEEPS6_SG_NS0_5tupleIJSF_S6_EEENSH_IJSG_SG_EEES6_PlJNSB_9not_fun_tI6is_oddIiEEEEEE10hipError_tPvRmT3_T4_T5_T6_T7_T9_mT8_P12ihipStream_tbDpT10_ENKUlT_T0_E_clISt17integral_constantIbLb0EES18_EEDaS13_S14_EUlS13_E_NS1_11comp_targetILNS1_3genE10ELNS1_11target_archE1200ELNS1_3gpuE4ELNS1_3repE0EEENS1_30default_config_static_selectorELNS0_4arch9wavefront6targetE0EEEvT1_,@function
_ZN7rocprim17ROCPRIM_400000_NS6detail17trampoline_kernelINS0_14default_configENS1_25partition_config_selectorILNS1_17partition_subalgoE6EiNS0_10empty_typeEbEEZZNS1_14partition_implILS5_6ELb0ES3_mN6thrust23THRUST_200600_302600_NS6detail15normal_iteratorINSA_10device_ptrIiEEEEPS6_SG_NS0_5tupleIJSF_S6_EEENSH_IJSG_SG_EEES6_PlJNSB_9not_fun_tI6is_oddIiEEEEEE10hipError_tPvRmT3_T4_T5_T6_T7_T9_mT8_P12ihipStream_tbDpT10_ENKUlT_T0_E_clISt17integral_constantIbLb0EES18_EEDaS13_S14_EUlS13_E_NS1_11comp_targetILNS1_3genE10ELNS1_11target_archE1200ELNS1_3gpuE4ELNS1_3repE0EEENS1_30default_config_static_selectorELNS0_4arch9wavefront6targetE0EEEvT1_: ; @_ZN7rocprim17ROCPRIM_400000_NS6detail17trampoline_kernelINS0_14default_configENS1_25partition_config_selectorILNS1_17partition_subalgoE6EiNS0_10empty_typeEbEEZZNS1_14partition_implILS5_6ELb0ES3_mN6thrust23THRUST_200600_302600_NS6detail15normal_iteratorINSA_10device_ptrIiEEEEPS6_SG_NS0_5tupleIJSF_S6_EEENSH_IJSG_SG_EEES6_PlJNSB_9not_fun_tI6is_oddIiEEEEEE10hipError_tPvRmT3_T4_T5_T6_T7_T9_mT8_P12ihipStream_tbDpT10_ENKUlT_T0_E_clISt17integral_constantIbLb0EES18_EEDaS13_S14_EUlS13_E_NS1_11comp_targetILNS1_3genE10ELNS1_11target_archE1200ELNS1_3gpuE4ELNS1_3repE0EEENS1_30default_config_static_selectorELNS0_4arch9wavefront6targetE0EEEvT1_
; %bb.0:
	s_clause 0x3
	s_load_b128 s[12:15], s[0:1], 0x8
	s_load_b128 s[8:11], s[0:1], 0x40
	s_load_b32 s16, s[0:1], 0x68
	s_load_b64 s[2:3], s[0:1], 0x50
	s_mov_b32 s17, 0
	v_lshlrev_b32_e32 v8, 2, v0
	s_wait_kmcnt 0x0
	s_lshl_b64 s[4:5], s[14:15], 2
	s_load_b64 s[6:7], s[10:11], 0x0
	s_add_co_i32 s18, s16, -1
	s_mulk_i32 s16, 0xa80
	s_add_nc_u64 s[10:11], s[12:13], s[4:5]
	s_add_nc_u64 s[4:5], s[14:15], s[16:17]
	s_add_co_i32 s12, s16, s14
	v_cmp_le_u64_e64 s3, s[2:3], s[4:5]
	s_sub_co_i32 s4, s2, s12
	s_cmp_eq_u32 ttmp9, s18
	s_mul_i32 s16, ttmp9, 0xa80
	s_cselect_b32 s12, -1, 0
	s_mov_b32 s5, -1
	s_and_b32 s2, s12, s3
	s_wait_alu 0xfffe
	s_xor_b32 s13, s2, -1
	s_lshl_b64 s[2:3], s[16:17], 2
	s_and_b32 vcc_lo, exec_lo, s13
	s_wait_alu 0xfffe
	s_add_nc_u64 s[2:3], s[10:11], s[2:3]
	s_cbranch_vccz .LBB88_2
; %bb.1:
	s_wait_alu 0xfffe
	v_add_co_u32 v1, s5, s2, v8
	s_wait_alu 0xf1ff
	v_add_co_ci_u32_e64 v2, null, s3, 0, s5
	s_mov_b32 s5, 0
	s_clause 0x6
	flat_load_b32 v3, v[1:2]
	flat_load_b32 v4, v[1:2] offset:1536
	flat_load_b32 v5, v[1:2] offset:3072
	;; [unrolled: 1-line block ×6, first 2 shown]
	s_wait_loadcnt_dscnt 0x505
	ds_store_2addr_stride64_b32 v8, v3, v4 offset1:6
	s_wait_loadcnt_dscnt 0x304
	ds_store_2addr_stride64_b32 v8, v5, v6 offset0:12 offset1:18
	s_wait_loadcnt_dscnt 0x103
	ds_store_2addr_stride64_b32 v8, v7, v9 offset0:24 offset1:30
	s_wait_loadcnt_dscnt 0x3
	ds_store_b32 v8, v1 offset:9216
	s_wait_dscnt 0x0
	s_barrier_signal -1
	s_barrier_wait -1
.LBB88_2:
	s_wait_alu 0xfffe
	s_and_not1_b32 vcc_lo, exec_lo, s5
	s_addk_co_i32 s4, 0xa80
	s_cbranch_vccnz .LBB88_18
; %bb.3:
	v_mov_b32_e32 v1, 0
	s_mov_b32 s5, exec_lo
	s_delay_alu instid0(VALU_DEP_1)
	v_dual_mov_b32 v2, v1 :: v_dual_mov_b32 v3, v1
	v_dual_mov_b32 v4, v1 :: v_dual_mov_b32 v5, v1
	;; [unrolled: 1-line block ×3, first 2 shown]
	s_wait_alu 0xfffe
	v_cmpx_gt_u32_e64 s4, v0
	s_cbranch_execz .LBB88_5
; %bb.4:
	v_add_co_u32 v2, s10, s2, v8
	s_delay_alu instid0(VALU_DEP_1)
	v_add_co_ci_u32_e64 v3, null, s3, 0, s10
	v_dual_mov_b32 v10, v1 :: v_dual_mov_b32 v11, v1
	v_dual_mov_b32 v12, v1 :: v_dual_mov_b32 v13, v1
	flat_load_b32 v9, v[2:3]
	v_dual_mov_b32 v14, v1 :: v_dual_mov_b32 v15, v1
	s_wait_loadcnt_dscnt 0x0
	v_dual_mov_b32 v1, v9 :: v_dual_mov_b32 v2, v10
	v_dual_mov_b32 v3, v11 :: v_dual_mov_b32 v4, v12
	s_delay_alu instid0(VALU_DEP_3)
	v_dual_mov_b32 v5, v13 :: v_dual_mov_b32 v6, v14
	v_mov_b32_e32 v7, v15
.LBB88_5:
	s_or_b32 exec_lo, exec_lo, s5
	v_add_nc_u32_e32 v9, 0x180, v0
	s_mov_b32 s5, exec_lo
	s_delay_alu instid0(VALU_DEP_1)
	v_cmpx_gt_u32_e64 s4, v9
	s_cbranch_execz .LBB88_7
; %bb.6:
	v_add_co_u32 v9, s10, s2, v8
	s_wait_alu 0xf1ff
	v_add_co_ci_u32_e64 v10, null, s3, 0, s10
	flat_load_b32 v2, v[9:10] offset:1536
.LBB88_7:
	s_wait_alu 0xfffe
	s_or_b32 exec_lo, exec_lo, s5
	v_add_nc_u32_e32 v9, 0x300, v0
	s_mov_b32 s5, exec_lo
	s_delay_alu instid0(VALU_DEP_1)
	v_cmpx_gt_u32_e64 s4, v9
	s_cbranch_execz .LBB88_9
; %bb.8:
	v_add_co_u32 v9, s10, s2, v8
	s_wait_alu 0xf1ff
	v_add_co_ci_u32_e64 v10, null, s3, 0, s10
	flat_load_b32 v3, v[9:10] offset:3072
.LBB88_9:
	s_wait_alu 0xfffe
	;; [unrolled: 13-line block ×3, first 2 shown]
	s_or_b32 exec_lo, exec_lo, s5
	v_or_b32_e32 v9, 0x600, v0
	s_mov_b32 s5, exec_lo
	s_delay_alu instid0(VALU_DEP_1)
	v_cmpx_gt_u32_e64 s4, v9
	s_cbranch_execz .LBB88_13
; %bb.12:
	v_add_co_u32 v9, s10, s2, v8
	s_wait_alu 0xf1ff
	v_add_co_ci_u32_e64 v10, null, s3, 0, s10
	flat_load_b32 v5, v[9:10] offset:6144
.LBB88_13:
	s_wait_alu 0xfffe
	s_or_b32 exec_lo, exec_lo, s5
	v_add_nc_u32_e32 v9, 0x780, v0
	s_mov_b32 s5, exec_lo
	s_delay_alu instid0(VALU_DEP_1)
	v_cmpx_gt_u32_e64 s4, v9
	s_cbranch_execz .LBB88_15
; %bb.14:
	v_add_co_u32 v9, s10, s2, v8
	s_wait_alu 0xf1ff
	v_add_co_ci_u32_e64 v10, null, s3, 0, s10
	flat_load_b32 v6, v[9:10] offset:7680
.LBB88_15:
	s_wait_alu 0xfffe
	s_or_b32 exec_lo, exec_lo, s5
	v_add_nc_u32_e32 v9, 0x900, v0
	s_mov_b32 s5, exec_lo
	s_delay_alu instid0(VALU_DEP_1)
	v_cmpx_gt_u32_e64 s4, v9
	s_cbranch_execz .LBB88_17
; %bb.16:
	v_add_co_u32 v9, s2, s2, v8
	s_wait_alu 0xf1ff
	v_add_co_ci_u32_e64 v10, null, s3, 0, s2
	flat_load_b32 v7, v[9:10] offset:9216
.LBB88_17:
	s_wait_alu 0xfffe
	s_or_b32 exec_lo, exec_lo, s5
	s_wait_loadcnt_dscnt 0x0
	ds_store_2addr_stride64_b32 v8, v1, v2 offset1:6
	ds_store_2addr_stride64_b32 v8, v3, v4 offset0:12 offset1:18
	ds_store_2addr_stride64_b32 v8, v5, v6 offset0:24 offset1:30
	ds_store_b32 v8, v7 offset:9216
	s_wait_dscnt 0x0
	s_barrier_signal -1
	s_barrier_wait -1
.LBB88_18:
	v_mul_u32_u24_e32 v1, 7, v0
	global_inv scope:SCOPE_SE
	s_and_not1_b32 vcc_lo, exec_lo, s13
	v_lshlrev_b32_e32 v35, 2, v1
	ds_load_2addr_b32 v[11:12], v35 offset0:2 offset1:3
	ds_load_2addr_b32 v[13:14], v35 offset1:1
	ds_load_2addr_b32 v[9:10], v35 offset0:4 offset1:5
	ds_load_b32 v29, v35 offset:24
	s_wait_loadcnt_dscnt 0x0
	s_barrier_signal -1
	s_barrier_wait -1
	global_inv scope:SCOPE_SE
	v_xor_b32_e32 v5, -1, v11
	v_xor_b32_e32 v6, -1, v13
	;; [unrolled: 1-line block ×7, first 2 shown]
	s_cbranch_vccnz .LBB88_20
; %bb.19:
	v_and_b32_e32 v15, 1, v7
	v_and_b32_e32 v16, 1, v8
	;; [unrolled: 1-line block ×5, first 2 shown]
	v_lshlrev_b16 v15, 8, v15
	v_lshlrev_b16 v16, 8, v16
	v_and_b32_e32 v32, 1, v2
	s_delay_alu instid0(VALU_DEP_3) | instskip(NEXT) | instid1(VALU_DEP_3)
	v_lshrrev_b32_e32 v15, 8, v15
	v_lshrrev_b32_e32 v16, 8, v16
	s_delay_alu instid0(VALU_DEP_2) | instskip(NEXT) | instid1(VALU_DEP_2)
	v_lshlrev_b16 v15, 8, v15
	v_lshlrev_b16 v16, 8, v16
	s_delay_alu instid0(VALU_DEP_2) | instskip(NEXT) | instid1(VALU_DEP_2)
	v_or_b32_e32 v15, v17, v15
	v_or_b32_e32 v16, v18, v16
	v_and_b32_e32 v17, 1, v3
	v_lshlrev_b16 v18, 8, v30
	s_delay_alu instid0(VALU_DEP_4) | instskip(NEXT) | instid1(VALU_DEP_4)
	v_and_b32_e32 v15, 0xffff, v15
	v_lshlrev_b32_e32 v16, 16, v16
	s_delay_alu instid0(VALU_DEP_3) | instskip(NEXT) | instid1(VALU_DEP_2)
	v_or_b32_e32 v31, v17, v18
	v_or_b32_e32 v34, v15, v16
	s_cbranch_execz .LBB88_21
	s_branch .LBB88_22
.LBB88_20:
                                        ; implicit-def: $vgpr30
                                        ; implicit-def: $vgpr31
                                        ; implicit-def: $vgpr32
                                        ; implicit-def: $vgpr34
.LBB88_21:
	v_add_nc_u32_e32 v15, 3, v1
	v_add_nc_u32_e32 v16, 1, v1
	;; [unrolled: 1-line block ×3, first 2 shown]
	s_wait_alu 0xfffe
	s_delay_alu instid0(VALU_DEP_3) | instskip(SKIP_2) | instid1(VALU_DEP_2)
	v_cmp_gt_u32_e32 vcc_lo, s4, v15
	v_cndmask_b32_e64 v15, 0, 1, vcc_lo
	v_cmp_gt_u32_e32 vcc_lo, s4, v16
	v_and_b32_e32 v8, v15, v8
	s_wait_alu 0xfffd
	v_cndmask_b32_e64 v16, 0, 1, vcc_lo
	v_add_nc_u32_e32 v15, 2, v1
	v_cmp_gt_u32_e32 vcc_lo, s4, v1
	v_lshlrev_b16 v8, 8, v8
	s_delay_alu instid0(VALU_DEP_4)
	v_and_b32_e32 v7, v16, v7
	s_wait_alu 0xfffd
	v_cndmask_b32_e64 v16, 0, 1, vcc_lo
	v_cmp_gt_u32_e32 vcc_lo, s4, v15
	v_lshrrev_b32_e32 v8, 8, v8
	v_lshlrev_b16 v7, 8, v7
	s_delay_alu instid0(VALU_DEP_4)
	v_and_b32_e32 v6, v16, v6
	s_wait_alu 0xfffd
	v_cndmask_b32_e64 v15, 0, 1, vcc_lo
	v_and_b32_e32 v8, 1, v8
	v_lshrrev_b32_e32 v7, 8, v7
	v_cmp_gt_u32_e32 vcc_lo, s4, v17
	v_and_b32_e32 v6, 1, v6
	v_and_b32_e32 v5, v15, v5
	v_add_nc_u32_e32 v15, 5, v1
	v_lshlrev_b16 v7, 8, v7
	v_lshlrev_b16 v8, 8, v8
	v_add_nc_u32_e32 v1, 6, v1
	v_and_b32_e32 v5, 1, v5
	s_wait_alu 0xfffd
	v_cndmask_b32_e64 v16, 0, 1, vcc_lo
	v_cmp_gt_u32_e32 vcc_lo, s4, v15
	v_or_b32_e32 v6, v6, v7
	v_or_b32_e32 v5, v5, v8
	s_delay_alu instid0(VALU_DEP_4)
	v_and_b32_e32 v32, v16, v2
	s_wait_alu 0xfffd
	v_cndmask_b32_e64 v7, 0, 1, vcc_lo
	v_cmp_gt_u32_e32 vcc_lo, s4, v1
	v_and_b32_e32 v6, 0xffff, v6
	v_lshlrev_b32_e32 v5, 16, v5
	s_delay_alu instid0(VALU_DEP_4) | instskip(SKIP_2) | instid1(VALU_DEP_3)
	v_and_b32_e32 v31, v7, v3
	s_wait_alu 0xfffd
	v_cndmask_b32_e64 v1, 0, 1, vcc_lo
	v_or_b32_e32 v34, v6, v5
	s_delay_alu instid0(VALU_DEP_2)
	v_and_b32_e32 v30, v1, v4
.LBB88_22:
	s_delay_alu instid0(VALU_DEP_1)
	v_and_b32_e32 v40, 0xff, v34
	v_bfe_u32 v38, v34, 8, 8
	v_bfe_u32 v37, v34, 16, 8
	v_lshrrev_b32_e32 v33, 24, v34
	v_dual_mov_b32 v2, 0 :: v_dual_and_b32 v39, 0xff, v32
	s_load_b64 s[10:11], s[0:1], 0x60
	s_delay_alu instid0(VALU_DEP_3)
	v_add3_u32 v1, v38, v40, v37
	v_and_b32_e32 v36, 0xff, v31
	v_mbcnt_lo_u32_b32 v41, -1, 0
	v_and_b32_e32 v4, 0xff, v30
	s_cmp_lg_u32 ttmp9, 0
	v_add_co_u32 v1, s2, v1, v33
	s_wait_alu 0xf1ff
	v_add_co_ci_u32_e64 v3, null, 0, 0, s2
	v_and_b32_e32 v42, 15, v41
	s_delay_alu instid0(VALU_DEP_3) | instskip(SKIP_1) | instid1(VALU_DEP_3)
	v_add_co_u32 v1, vcc_lo, v1, v39
	s_wait_alu 0xfffd
	v_add_co_ci_u32_e64 v3, null, 0, v3, vcc_lo
	s_delay_alu instid0(VALU_DEP_3) | instskip(NEXT) | instid1(VALU_DEP_3)
	v_cmp_ne_u32_e64 s2, 0, v42
	v_add_co_u32 v1, vcc_lo, v1, v36
	s_wait_alu 0xfffd
	s_delay_alu instid0(VALU_DEP_3)
	v_add_co_ci_u32_e64 v3, null, 0, v3, vcc_lo
	s_mov_b32 s3, -1
	v_add_co_u32 v15, vcc_lo, v1, v4
	s_wait_alu 0xfffd
	v_add_co_ci_u32_e64 v16, null, 0, v3, vcc_lo
	s_cbranch_scc0 .LBB88_81
; %bb.23:
	v_mov_b32_e32 v3, v15
	v_mov_b32_dpp v1, v15 row_shr:1 row_mask:0xf bank_mask:0xf
	v_mov_b32_dpp v6, v2 row_shr:1 row_mask:0xf bank_mask:0xf
	v_dual_mov_b32 v5, v15 :: v_dual_mov_b32 v4, v16
	s_and_saveexec_b32 s3, s2
; %bb.24:
	s_delay_alu instid0(VALU_DEP_3) | instskip(SKIP_2) | instid1(VALU_DEP_2)
	v_add_co_u32 v5, vcc_lo, v15, v1
	s_wait_alu 0xfffd
	v_add_co_ci_u32_e64 v2, null, 0, v16, vcc_lo
	v_add_co_u32 v1, vcc_lo, 0, v5
	s_wait_alu 0xfffd
	s_delay_alu instid0(VALU_DEP_2) | instskip(NEXT) | instid1(VALU_DEP_1)
	v_add_co_ci_u32_e64 v2, null, v6, v2, vcc_lo
	v_dual_mov_b32 v4, v2 :: v_dual_mov_b32 v3, v1
; %bb.25:
	s_wait_alu 0xfffe
	s_or_b32 exec_lo, exec_lo, s3
	v_mov_b32_dpp v1, v5 row_shr:2 row_mask:0xf bank_mask:0xf
	v_mov_b32_dpp v6, v2 row_shr:2 row_mask:0xf bank_mask:0xf
	v_cmp_lt_u32_e32 vcc_lo, 1, v42
	s_and_saveexec_b32 s4, vcc_lo
; %bb.26:
	s_delay_alu instid0(VALU_DEP_3) | instskip(SKIP_2) | instid1(VALU_DEP_2)
	v_add_co_u32 v5, s3, v3, v1
	s_wait_alu 0xf1ff
	v_add_co_ci_u32_e64 v2, null, 0, v4, s3
	v_add_co_u32 v1, s3, 0, v5
	s_wait_alu 0xf1ff
	s_delay_alu instid0(VALU_DEP_2) | instskip(NEXT) | instid1(VALU_DEP_1)
	v_add_co_ci_u32_e64 v2, null, v6, v2, s3
	v_dual_mov_b32 v4, v2 :: v_dual_mov_b32 v3, v1
; %bb.27:
	s_wait_alu 0xfffe
	s_or_b32 exec_lo, exec_lo, s4
	v_mov_b32_dpp v1, v5 row_shr:4 row_mask:0xf bank_mask:0xf
	v_mov_b32_dpp v6, v2 row_shr:4 row_mask:0xf bank_mask:0xf
	v_cmp_lt_u32_e64 s3, 3, v42
	s_and_saveexec_b32 s5, s3
; %bb.28:
	v_add_co_u32 v5, s4, v3, v1
	s_wait_alu 0xf1ff
	v_add_co_ci_u32_e64 v2, null, 0, v4, s4
	s_delay_alu instid0(VALU_DEP_2) | instskip(SKIP_1) | instid1(VALU_DEP_2)
	v_add_co_u32 v1, s4, 0, v5
	s_wait_alu 0xf1ff
	v_add_co_ci_u32_e64 v2, null, v6, v2, s4
	s_delay_alu instid0(VALU_DEP_1)
	v_dual_mov_b32 v4, v2 :: v_dual_mov_b32 v3, v1
; %bb.29:
	s_wait_alu 0xfffe
	s_or_b32 exec_lo, exec_lo, s5
	v_mov_b32_dpp v6, v5 row_shr:8 row_mask:0xf bank_mask:0xf
	v_mov_b32_dpp v1, v2 row_shr:8 row_mask:0xf bank_mask:0xf
	v_cmp_lt_u32_e64 s4, 7, v42
	s_and_saveexec_b32 s14, s4
; %bb.30:
	v_add_co_u32 v5, s5, v3, v6
	s_wait_alu 0xf1ff
	v_add_co_ci_u32_e64 v2, null, 0, v4, s5
	s_delay_alu instid0(VALU_DEP_2) | instskip(SKIP_1) | instid1(VALU_DEP_2)
	v_add_co_u32 v3, s5, 0, v5
	s_wait_alu 0xf1ff
	v_add_co_ci_u32_e64 v4, null, v1, v2, s5
	s_delay_alu instid0(VALU_DEP_1)
	v_mov_b32_e32 v2, v4
; %bb.31:
	s_or_b32 exec_lo, exec_lo, s14
	ds_swizzle_b32 v1, v5 offset:swizzle(BROADCAST,32,15)
	ds_swizzle_b32 v6, v2 offset:swizzle(BROADCAST,32,15)
	v_and_b32_e32 v7, 16, v41
	s_mov_b32 s14, exec_lo
	s_delay_alu instid0(VALU_DEP_1)
	v_cmpx_ne_u32_e32 0, v7
	s_cbranch_execz .LBB88_33
; %bb.32:
	s_wait_dscnt 0x1
	v_add_co_u32 v5, s5, v3, v1
	s_wait_alu 0xf1ff
	v_add_co_ci_u32_e64 v2, null, 0, v4, s5
	s_delay_alu instid0(VALU_DEP_2) | instskip(SKIP_2) | instid1(VALU_DEP_2)
	v_add_co_u32 v1, s5, 0, v5
	s_wait_dscnt 0x0
	s_wait_alu 0xf1ff
	v_add_co_ci_u32_e64 v2, null, v6, v2, s5
	s_delay_alu instid0(VALU_DEP_1)
	v_dual_mov_b32 v4, v2 :: v_dual_mov_b32 v3, v1
.LBB88_33:
	s_or_b32 exec_lo, exec_lo, s14
	s_wait_dscnt 0x1
	v_and_b32_e32 v1, 0x1e0, v0
	s_mov_b32 s14, exec_lo
	s_delay_alu instid0(VALU_DEP_1) | instskip(SKIP_1) | instid1(VALU_DEP_1)
	v_min_u32_e32 v1, 0x160, v1
	s_wait_dscnt 0x0
	v_or_b32_e32 v6, 31, v1
	v_lshrrev_b32_e32 v1, 5, v0
	s_delay_alu instid0(VALU_DEP_2)
	v_cmpx_eq_u32_e64 v0, v6
; %bb.34:
	s_delay_alu instid0(VALU_DEP_2)
	v_lshlrev_b32_e32 v6, 3, v1
	ds_store_b64 v6, v[3:4]
; %bb.35:
	s_or_b32 exec_lo, exec_lo, s14
	s_delay_alu instid0(SALU_CYCLE_1)
	s_mov_b32 s14, exec_lo
	s_wait_loadcnt_dscnt 0x0
	s_barrier_signal -1
	s_barrier_wait -1
	global_inv scope:SCOPE_SE
	v_cmpx_gt_u32_e32 12, v0
	s_cbranch_execz .LBB88_45
; %bb.36:
	v_lshlrev_b32_e32 v6, 3, v0
	ds_load_b64 v[3:4], v6
	s_wait_dscnt 0x0
	v_mov_b32_dpp v17, v3 row_shr:1 row_mask:0xf bank_mask:0xf
	v_mov_b32_dpp v8, v4 row_shr:1 row_mask:0xf bank_mask:0xf
	v_mov_b32_e32 v7, v3
	s_and_saveexec_b32 s15, s2
; %bb.37:
	s_delay_alu instid0(VALU_DEP_3) | instskip(SKIP_2) | instid1(VALU_DEP_2)
	v_add_co_u32 v7, s5, v3, v17
	s_wait_alu 0xf1ff
	v_add_co_ci_u32_e64 v4, null, 0, v4, s5
	v_add_co_u32 v3, s5, 0, v7
	s_wait_alu 0xf1ff
	s_delay_alu instid0(VALU_DEP_2)
	v_add_co_ci_u32_e64 v4, null, v8, v4, s5
; %bb.38:
	s_or_b32 exec_lo, exec_lo, s15
	v_mov_b32_dpp v17, v7 row_shr:2 row_mask:0xf bank_mask:0xf
	s_delay_alu instid0(VALU_DEP_2)
	v_mov_b32_dpp v8, v4 row_shr:2 row_mask:0xf bank_mask:0xf
	s_and_saveexec_b32 s5, vcc_lo
; %bb.39:
	s_delay_alu instid0(VALU_DEP_2) | instskip(SKIP_2) | instid1(VALU_DEP_2)
	v_add_co_u32 v7, vcc_lo, v3, v17
	s_wait_alu 0xfffd
	v_add_co_ci_u32_e64 v4, null, 0, v4, vcc_lo
	v_add_co_u32 v3, vcc_lo, 0, v7
	s_wait_alu 0xfffd
	s_delay_alu instid0(VALU_DEP_2)
	v_add_co_ci_u32_e64 v4, null, v8, v4, vcc_lo
; %bb.40:
	s_wait_alu 0xfffe
	s_or_b32 exec_lo, exec_lo, s5
	v_mov_b32_dpp v17, v7 row_shr:4 row_mask:0xf bank_mask:0xf
	s_delay_alu instid0(VALU_DEP_2)
	v_mov_b32_dpp v8, v4 row_shr:4 row_mask:0xf bank_mask:0xf
	s_and_saveexec_b32 s5, s3
; %bb.41:
	s_delay_alu instid0(VALU_DEP_2) | instskip(SKIP_2) | instid1(VALU_DEP_2)
	v_add_co_u32 v7, vcc_lo, v3, v17
	s_wait_alu 0xfffd
	v_add_co_ci_u32_e64 v4, null, 0, v4, vcc_lo
	v_add_co_u32 v3, vcc_lo, 0, v7
	s_wait_alu 0xfffd
	s_delay_alu instid0(VALU_DEP_2)
	v_add_co_ci_u32_e64 v4, null, v8, v4, vcc_lo
; %bb.42:
	s_wait_alu 0xfffe
	s_or_b32 exec_lo, exec_lo, s5
	v_mov_b32_dpp v8, v7 row_shr:8 row_mask:0xf bank_mask:0xf
	s_delay_alu instid0(VALU_DEP_2)
	v_mov_b32_dpp v7, v4 row_shr:8 row_mask:0xf bank_mask:0xf
	s_and_saveexec_b32 s3, s4
; %bb.43:
	s_delay_alu instid0(VALU_DEP_2) | instskip(SKIP_2) | instid1(VALU_DEP_2)
	v_add_co_u32 v3, vcc_lo, v3, v8
	s_wait_alu 0xfffd
	v_add_co_ci_u32_e64 v4, null, 0, v4, vcc_lo
	v_add_co_u32 v3, vcc_lo, v3, 0
	s_wait_alu 0xfffd
	s_delay_alu instid0(VALU_DEP_2)
	v_add_co_ci_u32_e64 v4, null, v4, v7, vcc_lo
; %bb.44:
	s_wait_alu 0xfffe
	s_or_b32 exec_lo, exec_lo, s3
	ds_store_b64 v6, v[3:4]
.LBB88_45:
	s_or_b32 exec_lo, exec_lo, s14
	s_delay_alu instid0(SALU_CYCLE_1)
	s_mov_b32 s4, exec_lo
	v_cmp_gt_u32_e32 vcc_lo, 32, v0
	s_wait_loadcnt_dscnt 0x0
	s_barrier_signal -1
	s_barrier_wait -1
	global_inv scope:SCOPE_SE
                                        ; implicit-def: $vgpr17_vgpr18
	v_cmpx_lt_u32_e32 31, v0
	s_cbranch_execz .LBB88_47
; %bb.46:
	v_lshl_add_u32 v1, v1, 3, -8
	ds_load_b64 v[17:18], v1
	s_wait_dscnt 0x0
	v_add_co_u32 v5, s3, v5, v17
	s_wait_alu 0xf1ff
	v_add_co_ci_u32_e64 v2, null, v2, v18, s3
.LBB88_47:
	s_wait_alu 0xfffe
	s_or_b32 exec_lo, exec_lo, s4
	v_sub_co_u32 v1, s3, v41, 1
	s_delay_alu instid0(VALU_DEP_1) | instskip(SKIP_1) | instid1(VALU_DEP_1)
	v_cmp_gt_i32_e64 s4, 0, v1
	s_wait_alu 0xf1ff
	v_cndmask_b32_e64 v1, v1, v41, s4
	s_delay_alu instid0(VALU_DEP_1)
	v_lshlrev_b32_e32 v1, 2, v1
	ds_bpermute_b32 v23, v1, v5
	ds_bpermute_b32 v24, v1, v2
	s_and_saveexec_b32 s4, vcc_lo
	s_cbranch_execz .LBB88_86
; %bb.48:
	v_mov_b32_e32 v4, 0
	ds_load_b64 v[1:2], v4 offset:88
	s_and_saveexec_b32 s5, s3
	s_cbranch_execz .LBB88_50
; %bb.49:
	s_add_co_i32 s14, ttmp9, 32
	s_mov_b32 s15, 0
	s_delay_alu instid0(SALU_CYCLE_1)
	s_lshl_b64 s[14:15], s[14:15], 4
	s_wait_kmcnt 0x0
	s_add_nc_u64 s[14:15], s[10:11], s[14:15]
	v_mov_b32_e32 v3, 1
	v_dual_mov_b32 v5, s14 :: v_dual_mov_b32 v6, s15
	s_wait_dscnt 0x0
	;;#ASMSTART
	global_store_b128 v[5:6], v[1:4] off scope:SCOPE_DEV	
s_wait_storecnt 0x0
	;;#ASMEND
.LBB88_50:
	s_wait_alu 0xfffe
	s_or_b32 exec_lo, exec_lo, s5
	v_xad_u32 v19, v41, -1, ttmp9
	s_mov_b32 s14, 0
	s_mov_b32 s5, exec_lo
	s_delay_alu instid0(VALU_DEP_1) | instskip(NEXT) | instid1(VALU_DEP_1)
	v_add_nc_u32_e32 v3, 32, v19
	v_lshlrev_b64_e32 v[3:4], 4, v[3:4]
	s_wait_kmcnt 0x0
	s_delay_alu instid0(VALU_DEP_1) | instskip(SKIP_1) | instid1(VALU_DEP_2)
	v_add_co_u32 v3, vcc_lo, s10, v3
	s_wait_alu 0xfffd
	v_add_co_ci_u32_e64 v4, null, s11, v4, vcc_lo
	;;#ASMSTART
	global_load_b128 v[5:8], v[3:4] off scope:SCOPE_DEV	
s_wait_loadcnt 0x0
	;;#ASMEND
	v_and_b32_e32 v8, 0xff, v7
	s_delay_alu instid0(VALU_DEP_1)
	v_cmpx_eq_u16_e32 0, v8
	s_cbranch_execz .LBB88_53
.LBB88_51:                              ; =>This Inner Loop Header: Depth=1
	;;#ASMSTART
	global_load_b128 v[5:8], v[3:4] off scope:SCOPE_DEV	
s_wait_loadcnt 0x0
	;;#ASMEND
	v_and_b32_e32 v8, 0xff, v7
	s_delay_alu instid0(VALU_DEP_1)
	v_cmp_ne_u16_e32 vcc_lo, 0, v8
	s_wait_alu 0xfffe
	s_or_b32 s14, vcc_lo, s14
	s_wait_alu 0xfffe
	s_and_not1_b32 exec_lo, exec_lo, s14
	s_cbranch_execnz .LBB88_51
; %bb.52:
	s_or_b32 exec_lo, exec_lo, s14
.LBB88_53:
	s_wait_alu 0xfffe
	s_or_b32 exec_lo, exec_lo, s5
	v_cmp_ne_u32_e32 vcc_lo, 31, v41
	v_and_b32_e32 v4, 0xff, v7
	v_lshlrev_b32_e64 v26, v41, -1
	s_mov_b32 s5, exec_lo
	s_wait_alu 0xfffd
	v_add_co_ci_u32_e64 v3, null, 0, v41, vcc_lo
	v_cmp_eq_u16_e32 vcc_lo, 2, v4
	s_delay_alu instid0(VALU_DEP_2)
	v_dual_mov_b32 v4, v5 :: v_dual_lshlrev_b32 v25, 2, v3
	s_wait_alu 0xfffd
	v_and_or_b32 v3, vcc_lo, v26, 0x80000000
	ds_bpermute_b32 v20, v25, v5
	ds_bpermute_b32 v8, v25, v6
	v_ctz_i32_b32_e32 v3, v3
	s_delay_alu instid0(VALU_DEP_1)
	v_cmpx_lt_u32_e64 v41, v3
	s_cbranch_execz .LBB88_55
; %bb.54:
	s_wait_dscnt 0x1
	v_add_co_u32 v4, vcc_lo, v5, v20
	s_wait_alu 0xfffd
	v_add_co_ci_u32_e64 v6, null, 0, v6, vcc_lo
	s_delay_alu instid0(VALU_DEP_2) | instskip(SKIP_2) | instid1(VALU_DEP_2)
	v_add_co_u32 v5, vcc_lo, 0, v4
	s_wait_dscnt 0x0
	s_wait_alu 0xfffd
	v_add_co_ci_u32_e64 v6, null, v8, v6, vcc_lo
.LBB88_55:
	s_wait_alu 0xfffe
	s_or_b32 exec_lo, exec_lo, s5
	v_cmp_gt_u32_e32 vcc_lo, 30, v41
	v_add_nc_u32_e32 v28, 2, v41
	s_mov_b32 s5, exec_lo
	s_wait_dscnt 0x0
	s_wait_alu 0xfffd
	v_cndmask_b32_e64 v8, 0, 2, vcc_lo
	s_delay_alu instid0(VALU_DEP_1)
	v_add_lshl_u32 v27, v8, v41, 2
	ds_bpermute_b32 v20, v27, v4
	ds_bpermute_b32 v8, v27, v6
	v_cmpx_le_u32_e64 v28, v3
	s_cbranch_execz .LBB88_57
; %bb.56:
	s_wait_dscnt 0x1
	v_add_co_u32 v4, vcc_lo, v5, v20
	s_wait_alu 0xfffd
	v_add_co_ci_u32_e64 v6, null, 0, v6, vcc_lo
	s_delay_alu instid0(VALU_DEP_2) | instskip(SKIP_2) | instid1(VALU_DEP_2)
	v_add_co_u32 v5, vcc_lo, 0, v4
	s_wait_dscnt 0x0
	s_wait_alu 0xfffd
	v_add_co_ci_u32_e64 v6, null, v8, v6, vcc_lo
.LBB88_57:
	s_wait_alu 0xfffe
	s_or_b32 exec_lo, exec_lo, s5
	v_cmp_gt_u32_e32 vcc_lo, 28, v41
	v_add_nc_u32_e32 v44, 4, v41
	s_mov_b32 s5, exec_lo
	s_wait_dscnt 0x0
	s_wait_alu 0xfffd
	v_cndmask_b32_e64 v8, 0, 4, vcc_lo
	s_delay_alu instid0(VALU_DEP_1)
	v_add_lshl_u32 v43, v8, v41, 2
	ds_bpermute_b32 v20, v43, v4
	ds_bpermute_b32 v8, v43, v6
	v_cmpx_le_u32_e64 v44, v3
	;; [unrolled: 25-line block ×3, first 2 shown]
	s_cbranch_execz .LBB88_61
; %bb.60:
	s_wait_dscnt 0x1
	v_add_co_u32 v4, vcc_lo, v5, v20
	s_wait_alu 0xfffd
	v_add_co_ci_u32_e64 v6, null, 0, v6, vcc_lo
	s_delay_alu instid0(VALU_DEP_2) | instskip(SKIP_2) | instid1(VALU_DEP_2)
	v_add_co_u32 v5, vcc_lo, 0, v4
	s_wait_dscnt 0x0
	s_wait_alu 0xfffd
	v_add_co_ci_u32_e64 v6, null, v8, v6, vcc_lo
.LBB88_61:
	s_wait_alu 0xfffe
	s_or_b32 exec_lo, exec_lo, s5
	v_lshl_or_b32 v47, v41, 2, 64
	v_add_nc_u32_e32 v48, 16, v41
	s_mov_b32 s5, exec_lo
	s_wait_dscnt 0x0
	ds_bpermute_b32 v8, v47, v4
	ds_bpermute_b32 v4, v47, v6
	v_cmpx_le_u32_e64 v48, v3
	s_cbranch_execz .LBB88_63
; %bb.62:
	s_wait_dscnt 0x1
	v_add_co_u32 v3, vcc_lo, v5, v8
	s_wait_alu 0xfffd
	v_add_co_ci_u32_e64 v6, null, 0, v6, vcc_lo
	s_delay_alu instid0(VALU_DEP_2) | instskip(SKIP_2) | instid1(VALU_DEP_2)
	v_add_co_u32 v5, vcc_lo, v3, 0
	s_wait_dscnt 0x0
	s_wait_alu 0xfffd
	v_add_co_ci_u32_e64 v6, null, v6, v4, vcc_lo
.LBB88_63:
	s_wait_alu 0xfffe
	s_or_b32 exec_lo, exec_lo, s5
	v_mov_b32_e32 v20, 0
	s_branch .LBB88_66
.LBB88_64:                              ;   in Loop: Header=BB88_66 Depth=1
	s_wait_alu 0xfffe
	s_or_b32 exec_lo, exec_lo, s5
	v_add_co_u32 v5, vcc_lo, v5, v3
	v_subrev_nc_u32_e32 v19, 32, v19
	s_wait_alu 0xfffd
	v_add_co_ci_u32_e64 v6, null, v6, v4, vcc_lo
	s_mov_b32 s5, 0
.LBB88_65:                              ;   in Loop: Header=BB88_66 Depth=1
	s_wait_alu 0xfffe
	s_and_b32 vcc_lo, exec_lo, s5
	s_wait_alu 0xfffe
	s_cbranch_vccnz .LBB88_82
.LBB88_66:                              ; =>This Loop Header: Depth=1
                                        ;     Child Loop BB88_69 Depth 2
	v_and_b32_e32 v3, 0xff, v7
	s_mov_b32 s5, -1
	s_delay_alu instid0(VALU_DEP_1)
	v_cmp_ne_u16_e32 vcc_lo, 2, v3
	s_wait_dscnt 0x0
	v_dual_mov_b32 v3, v5 :: v_dual_mov_b32 v4, v6
                                        ; implicit-def: $vgpr5_vgpr6
	s_cmp_lg_u32 vcc_lo, exec_lo
	s_cbranch_scc1 .LBB88_65
; %bb.67:                               ;   in Loop: Header=BB88_66 Depth=1
	v_lshlrev_b64_e32 v[5:6], 4, v[19:20]
	s_mov_b32 s5, exec_lo
	s_delay_alu instid0(VALU_DEP_1) | instskip(SKIP_1) | instid1(VALU_DEP_2)
	v_add_co_u32 v21, vcc_lo, s10, v5
	s_wait_alu 0xfffd
	v_add_co_ci_u32_e64 v22, null, s11, v6, vcc_lo
	;;#ASMSTART
	global_load_b128 v[5:8], v[21:22] off scope:SCOPE_DEV	
s_wait_loadcnt 0x0
	;;#ASMEND
	v_and_b32_e32 v8, 0xff, v7
	s_delay_alu instid0(VALU_DEP_1)
	v_cmpx_eq_u16_e32 0, v8
	s_cbranch_execz .LBB88_71
; %bb.68:                               ;   in Loop: Header=BB88_66 Depth=1
	s_mov_b32 s14, 0
.LBB88_69:                              ;   Parent Loop BB88_66 Depth=1
                                        ; =>  This Inner Loop Header: Depth=2
	;;#ASMSTART
	global_load_b128 v[5:8], v[21:22] off scope:SCOPE_DEV	
s_wait_loadcnt 0x0
	;;#ASMEND
	v_and_b32_e32 v8, 0xff, v7
	s_delay_alu instid0(VALU_DEP_1)
	v_cmp_ne_u16_e32 vcc_lo, 0, v8
	s_wait_alu 0xfffe
	s_or_b32 s14, vcc_lo, s14
	s_wait_alu 0xfffe
	s_and_not1_b32 exec_lo, exec_lo, s14
	s_cbranch_execnz .LBB88_69
; %bb.70:                               ;   in Loop: Header=BB88_66 Depth=1
	s_or_b32 exec_lo, exec_lo, s14
.LBB88_71:                              ;   in Loop: Header=BB88_66 Depth=1
	s_wait_alu 0xfffe
	s_or_b32 exec_lo, exec_lo, s5
	v_dual_mov_b32 v21, v5 :: v_dual_and_b32 v8, 0xff, v7
	ds_bpermute_b32 v49, v25, v5
	ds_bpermute_b32 v22, v25, v6
	s_mov_b32 s5, exec_lo
	v_cmp_eq_u16_e32 vcc_lo, 2, v8
	s_wait_alu 0xfffd
	v_and_or_b32 v8, vcc_lo, v26, 0x80000000
	s_delay_alu instid0(VALU_DEP_1) | instskip(NEXT) | instid1(VALU_DEP_1)
	v_ctz_i32_b32_e32 v8, v8
	v_cmpx_lt_u32_e64 v41, v8
	s_cbranch_execz .LBB88_73
; %bb.72:                               ;   in Loop: Header=BB88_66 Depth=1
	s_wait_dscnt 0x1
	v_add_co_u32 v21, vcc_lo, v5, v49
	s_wait_alu 0xfffd
	v_add_co_ci_u32_e64 v6, null, 0, v6, vcc_lo
	s_delay_alu instid0(VALU_DEP_2) | instskip(SKIP_2) | instid1(VALU_DEP_2)
	v_add_co_u32 v5, vcc_lo, 0, v21
	s_wait_dscnt 0x0
	s_wait_alu 0xfffd
	v_add_co_ci_u32_e64 v6, null, v22, v6, vcc_lo
.LBB88_73:                              ;   in Loop: Header=BB88_66 Depth=1
	s_wait_alu 0xfffe
	s_or_b32 exec_lo, exec_lo, s5
	s_wait_dscnt 0x1
	ds_bpermute_b32 v49, v27, v21
	s_wait_dscnt 0x1
	ds_bpermute_b32 v22, v27, v6
	s_mov_b32 s5, exec_lo
	v_cmpx_le_u32_e64 v28, v8
	s_cbranch_execz .LBB88_75
; %bb.74:                               ;   in Loop: Header=BB88_66 Depth=1
	s_wait_dscnt 0x1
	v_add_co_u32 v21, vcc_lo, v5, v49
	s_wait_alu 0xfffd
	v_add_co_ci_u32_e64 v6, null, 0, v6, vcc_lo
	s_delay_alu instid0(VALU_DEP_2) | instskip(SKIP_2) | instid1(VALU_DEP_2)
	v_add_co_u32 v5, vcc_lo, 0, v21
	s_wait_dscnt 0x0
	s_wait_alu 0xfffd
	v_add_co_ci_u32_e64 v6, null, v22, v6, vcc_lo
.LBB88_75:                              ;   in Loop: Header=BB88_66 Depth=1
	s_wait_alu 0xfffe
	s_or_b32 exec_lo, exec_lo, s5
	s_wait_dscnt 0x1
	ds_bpermute_b32 v49, v43, v21
	s_wait_dscnt 0x1
	ds_bpermute_b32 v22, v43, v6
	s_mov_b32 s5, exec_lo
	v_cmpx_le_u32_e64 v44, v8
	;; [unrolled: 20-line block ×3, first 2 shown]
	s_cbranch_execz .LBB88_79
; %bb.78:                               ;   in Loop: Header=BB88_66 Depth=1
	s_wait_dscnt 0x1
	v_add_co_u32 v21, vcc_lo, v5, v49
	s_wait_alu 0xfffd
	v_add_co_ci_u32_e64 v6, null, 0, v6, vcc_lo
	s_delay_alu instid0(VALU_DEP_2) | instskip(SKIP_2) | instid1(VALU_DEP_2)
	v_add_co_u32 v5, vcc_lo, 0, v21
	s_wait_dscnt 0x0
	s_wait_alu 0xfffd
	v_add_co_ci_u32_e64 v6, null, v22, v6, vcc_lo
.LBB88_79:                              ;   in Loop: Header=BB88_66 Depth=1
	s_wait_alu 0xfffe
	s_or_b32 exec_lo, exec_lo, s5
	s_wait_dscnt 0x0
	ds_bpermute_b32 v22, v47, v21
	ds_bpermute_b32 v21, v47, v6
	s_mov_b32 s5, exec_lo
	v_cmpx_le_u32_e64 v48, v8
	s_cbranch_execz .LBB88_64
; %bb.80:                               ;   in Loop: Header=BB88_66 Depth=1
	s_wait_dscnt 0x1
	v_add_co_u32 v5, vcc_lo, v5, v22
	s_wait_alu 0xfffd
	v_add_co_ci_u32_e64 v6, null, 0, v6, vcc_lo
	s_delay_alu instid0(VALU_DEP_2) | instskip(SKIP_2) | instid1(VALU_DEP_2)
	v_add_co_u32 v5, vcc_lo, v5, 0
	s_wait_dscnt 0x0
	s_wait_alu 0xfffd
	v_add_co_ci_u32_e64 v6, null, v6, v21, vcc_lo
	s_branch .LBB88_64
.LBB88_81:
                                        ; implicit-def: $vgpr17_vgpr18
                                        ; implicit-def: $vgpr6_vgpr7
                                        ; implicit-def: $vgpr19_vgpr20
                                        ; implicit-def: $vgpr21_vgpr22
                                        ; implicit-def: $vgpr23_vgpr24
                                        ; implicit-def: $vgpr25_vgpr26
                                        ; implicit-def: $vgpr27_vgpr28
                                        ; implicit-def: $vgpr4_vgpr5
	s_load_b64 s[4:5], s[0:1], 0x28
	s_and_b32 vcc_lo, exec_lo, s3
	s_wait_alu 0xfffe
	s_cbranch_vccnz .LBB88_87
	s_branch .LBB88_114
.LBB88_82:
	s_and_saveexec_b32 s5, s3
	s_cbranch_execz .LBB88_84
; %bb.83:
	s_add_co_i32 s14, ttmp9, 32
	s_mov_b32 s15, 0
	v_add_co_u32 v5, vcc_lo, v3, v1
	s_wait_alu 0xfffe
	s_lshl_b64 s[14:15], s[14:15], 4
	v_dual_mov_b32 v7, 2 :: v_dual_mov_b32 v8, 0
	s_wait_alu 0xfffe
	s_add_nc_u64 s[14:15], s[10:11], s[14:15]
	s_wait_alu 0xfffd
	v_add_co_ci_u32_e64 v6, null, v4, v2, vcc_lo
	s_wait_alu 0xfffe
	v_dual_mov_b32 v20, s15 :: v_dual_mov_b32 v19, s14
	;;#ASMSTART
	global_store_b128 v[19:20], v[5:8] off scope:SCOPE_DEV	
s_wait_storecnt 0x0
	;;#ASMEND
	ds_store_b128 v8, v[1:4] offset:10752
.LBB88_84:
	s_wait_alu 0xfffe
	s_or_b32 exec_lo, exec_lo, s5
	v_cmp_eq_u32_e32 vcc_lo, 0, v0
	s_and_b32 exec_lo, exec_lo, vcc_lo
; %bb.85:
	v_mov_b32_e32 v1, 0
	ds_store_b64 v1, v[3:4] offset:88
.LBB88_86:
	s_wait_alu 0xfffe
	s_or_b32 exec_lo, exec_lo, s4
	s_wait_dscnt 0x1
	v_cndmask_b32_e64 v4, v23, v17, s3
	v_cmp_ne_u32_e32 vcc_lo, 0, v0
	v_mov_b32_e32 v3, 0
	s_wait_loadcnt_dscnt 0x0
	s_barrier_signal -1
	s_barrier_wait -1
	global_inv scope:SCOPE_SE
	s_wait_alu 0xfffd
	v_cndmask_b32_e32 v4, 0, v4, vcc_lo
	ds_load_b64 v[1:2], v3 offset:88
	v_cndmask_b32_e64 v5, v24, v18, s3
	s_wait_loadcnt_dscnt 0x0
	s_barrier_signal -1
	s_barrier_wait -1
	global_inv scope:SCOPE_SE
	v_cndmask_b32_e32 v5, 0, v5, vcc_lo
	v_add_co_u32 v27, vcc_lo, v1, v4
	s_wait_alu 0xfffd
	s_delay_alu instid0(VALU_DEP_2) | instskip(SKIP_4) | instid1(VALU_DEP_2)
	v_add_co_ci_u32_e64 v28, null, v2, v5, vcc_lo
	ds_load_b128 v[2:5], v3 offset:10752
	v_add_co_u32 v25, vcc_lo, v27, v40
	s_wait_alu 0xfffd
	v_add_co_ci_u32_e64 v26, null, 0, v28, vcc_lo
	v_add_co_u32 v23, vcc_lo, v25, v38
	s_wait_alu 0xfffd
	s_delay_alu instid0(VALU_DEP_2) | instskip(NEXT) | instid1(VALU_DEP_2)
	v_add_co_ci_u32_e64 v24, null, 0, v26, vcc_lo
	v_add_co_u32 v21, vcc_lo, v23, v37
	s_wait_alu 0xfffd
	s_delay_alu instid0(VALU_DEP_2) | instskip(NEXT) | instid1(VALU_DEP_2)
	;; [unrolled: 4-line block ×4, first 2 shown]
	v_add_co_ci_u32_e64 v7, null, 0, v20, vcc_lo
	v_add_co_u32 v17, vcc_lo, v6, v36
	s_wait_alu 0xfffd
	s_delay_alu instid0(VALU_DEP_2)
	v_add_co_ci_u32_e64 v18, null, 0, v7, vcc_lo
	s_load_b64 s[4:5], s[0:1], 0x28
	s_branch .LBB88_114
.LBB88_87:
	s_wait_dscnt 0x0
	v_dual_mov_b32 v2, 0 :: v_dual_mov_b32 v3, v15
	v_mov_b32_dpp v4, v15 row_shr:1 row_mask:0xf bank_mask:0xf
	s_delay_alu instid0(VALU_DEP_2)
	v_mov_b32_dpp v1, v2 row_shr:1 row_mask:0xf bank_mask:0xf
	s_and_saveexec_b32 s0, s2
; %bb.88:
	s_delay_alu instid0(VALU_DEP_2) | instskip(SKIP_2) | instid1(VALU_DEP_2)
	v_add_co_u32 v3, vcc_lo, v15, v4
	s_wait_alu 0xfffd
	v_add_co_ci_u32_e64 v2, null, 0, v16, vcc_lo
	v_add_co_u32 v15, vcc_lo, 0, v3
	s_wait_alu 0xfffd
	s_delay_alu instid0(VALU_DEP_2) | instskip(NEXT) | instid1(VALU_DEP_1)
	v_add_co_ci_u32_e64 v16, null, v1, v2, vcc_lo
	v_mov_b32_e32 v2, v16
; %bb.89:
	s_or_b32 exec_lo, exec_lo, s0
	v_mov_b32_dpp v1, v3 row_shr:2 row_mask:0xf bank_mask:0xf
	s_delay_alu instid0(VALU_DEP_2)
	v_mov_b32_dpp v4, v2 row_shr:2 row_mask:0xf bank_mask:0xf
	v_cmp_lt_u32_e32 vcc_lo, 1, v42
	s_and_saveexec_b32 s1, vcc_lo
; %bb.90:
	s_delay_alu instid0(VALU_DEP_3) | instskip(NEXT) | instid1(VALU_DEP_1)
	v_add_co_u32 v3, s0, v15, v1
	v_add_co_ci_u32_e64 v2, null, 0, v16, s0
	s_delay_alu instid0(VALU_DEP_2) | instskip(SKIP_1) | instid1(VALU_DEP_2)
	v_add_co_u32 v1, s0, 0, v3
	s_wait_alu 0xf1ff
	v_add_co_ci_u32_e64 v2, null, v4, v2, s0
	s_delay_alu instid0(VALU_DEP_1)
	v_dual_mov_b32 v16, v2 :: v_dual_mov_b32 v15, v1
; %bb.91:
	s_or_b32 exec_lo, exec_lo, s1
	v_mov_b32_dpp v1, v3 row_shr:4 row_mask:0xf bank_mask:0xf
	v_mov_b32_dpp v4, v2 row_shr:4 row_mask:0xf bank_mask:0xf
	v_cmp_lt_u32_e64 s0, 3, v42
	s_and_saveexec_b32 s3, s0
; %bb.92:
	v_add_co_u32 v3, s1, v15, v1
	s_wait_alu 0xf1ff
	v_add_co_ci_u32_e64 v2, null, 0, v16, s1
	s_delay_alu instid0(VALU_DEP_2) | instskip(SKIP_1) | instid1(VALU_DEP_2)
	v_add_co_u32 v1, s1, 0, v3
	s_wait_alu 0xf1ff
	v_add_co_ci_u32_e64 v2, null, v4, v2, s1
	s_delay_alu instid0(VALU_DEP_1)
	v_dual_mov_b32 v16, v2 :: v_dual_mov_b32 v15, v1
; %bb.93:
	s_wait_alu 0xfffe
	s_or_b32 exec_lo, exec_lo, s3
	v_mov_b32_dpp v4, v3 row_shr:8 row_mask:0xf bank_mask:0xf
	v_mov_b32_dpp v1, v2 row_shr:8 row_mask:0xf bank_mask:0xf
	v_cmp_lt_u32_e64 s1, 7, v42
	s_and_saveexec_b32 s14, s1
; %bb.94:
	v_add_co_u32 v3, s3, v15, v4
	s_wait_alu 0xf1ff
	v_add_co_ci_u32_e64 v2, null, 0, v16, s3
	s_delay_alu instid0(VALU_DEP_2) | instskip(SKIP_1) | instid1(VALU_DEP_2)
	v_add_co_u32 v15, s3, 0, v3
	s_wait_alu 0xf1ff
	v_add_co_ci_u32_e64 v16, null, v1, v2, s3
	s_delay_alu instid0(VALU_DEP_1)
	v_mov_b32_e32 v2, v16
; %bb.95:
	s_or_b32 exec_lo, exec_lo, s14
	ds_swizzle_b32 v3, v3 offset:swizzle(BROADCAST,32,15)
	ds_swizzle_b32 v1, v2 offset:swizzle(BROADCAST,32,15)
	v_and_b32_e32 v2, 16, v41
	s_mov_b32 s14, exec_lo
	s_delay_alu instid0(VALU_DEP_1)
	v_cmpx_ne_u32_e32 0, v2
	s_cbranch_execz .LBB88_97
; %bb.96:
	s_wait_dscnt 0x1
	v_add_co_u32 v2, s3, v15, v3
	s_wait_alu 0xf1ff
	v_add_co_ci_u32_e64 v3, null, 0, v16, s3
	s_delay_alu instid0(VALU_DEP_2) | instskip(SKIP_2) | instid1(VALU_DEP_2)
	v_add_co_u32 v15, s3, v2, 0
	s_wait_dscnt 0x0
	s_wait_alu 0xf1ff
	v_add_co_ci_u32_e64 v16, null, v3, v1, s3
.LBB88_97:
	s_or_b32 exec_lo, exec_lo, s14
	s_wait_dscnt 0x0
	v_and_b32_e32 v1, 0x1e0, v0
	v_lshrrev_b32_e32 v3, 5, v0
	s_mov_b32 s14, exec_lo
	s_delay_alu instid0(VALU_DEP_2) | instskip(NEXT) | instid1(VALU_DEP_1)
	v_min_u32_e32 v1, 0x160, v1
	v_or_b32_e32 v1, 31, v1
	s_delay_alu instid0(VALU_DEP_1)
	v_cmpx_eq_u32_e64 v0, v1
; %bb.98:
	v_lshlrev_b32_e32 v1, 3, v3
	ds_store_b64 v1, v[15:16]
; %bb.99:
	s_or_b32 exec_lo, exec_lo, s14
	s_delay_alu instid0(SALU_CYCLE_1)
	s_mov_b32 s14, exec_lo
	s_wait_loadcnt_dscnt 0x0
	s_barrier_signal -1
	s_barrier_wait -1
	global_inv scope:SCOPE_SE
	v_cmpx_gt_u32_e32 12, v0
	s_cbranch_execz .LBB88_109
; %bb.100:
	v_mad_i32_i24 v1, 0xffffffec, v0, v35
	ds_load_b64 v[1:2], v1
	s_wait_dscnt 0x0
	v_mov_b32_dpp v6, v1 row_shr:1 row_mask:0xf bank_mask:0xf
	v_mov_b32_dpp v5, v2 row_shr:1 row_mask:0xf bank_mask:0xf
	v_mov_b32_e32 v4, v1
	s_and_saveexec_b32 s3, s2
; %bb.101:
	s_delay_alu instid0(VALU_DEP_3) | instskip(SKIP_2) | instid1(VALU_DEP_2)
	v_add_co_u32 v4, s2, v1, v6
	s_wait_alu 0xf1ff
	v_add_co_ci_u32_e64 v2, null, 0, v2, s2
	v_add_co_u32 v1, s2, 0, v4
	s_wait_alu 0xf1ff
	s_delay_alu instid0(VALU_DEP_2)
	v_add_co_ci_u32_e64 v2, null, v5, v2, s2
; %bb.102:
	s_wait_alu 0xfffe
	s_or_b32 exec_lo, exec_lo, s3
	v_mov_b32_dpp v6, v4 row_shr:2 row_mask:0xf bank_mask:0xf
	s_delay_alu instid0(VALU_DEP_2)
	v_mov_b32_dpp v5, v2 row_shr:2 row_mask:0xf bank_mask:0xf
	s_and_saveexec_b32 s2, vcc_lo
; %bb.103:
	s_delay_alu instid0(VALU_DEP_2) | instskip(SKIP_2) | instid1(VALU_DEP_2)
	v_add_co_u32 v4, vcc_lo, v1, v6
	s_wait_alu 0xfffd
	v_add_co_ci_u32_e64 v2, null, 0, v2, vcc_lo
	v_add_co_u32 v1, vcc_lo, 0, v4
	s_wait_alu 0xfffd
	s_delay_alu instid0(VALU_DEP_2)
	v_add_co_ci_u32_e64 v2, null, v5, v2, vcc_lo
; %bb.104:
	s_wait_alu 0xfffe
	s_or_b32 exec_lo, exec_lo, s2
	v_mov_b32_dpp v6, v4 row_shr:4 row_mask:0xf bank_mask:0xf
	s_delay_alu instid0(VALU_DEP_2)
	v_mov_b32_dpp v5, v2 row_shr:4 row_mask:0xf bank_mask:0xf
	s_and_saveexec_b32 s2, s0
; %bb.105:
	s_delay_alu instid0(VALU_DEP_2) | instskip(SKIP_2) | instid1(VALU_DEP_2)
	v_add_co_u32 v4, vcc_lo, v1, v6
	s_wait_alu 0xfffd
	v_add_co_ci_u32_e64 v2, null, 0, v2, vcc_lo
	v_add_co_u32 v1, vcc_lo, 0, v4
	s_wait_alu 0xfffd
	s_delay_alu instid0(VALU_DEP_2)
	v_add_co_ci_u32_e64 v2, null, v5, v2, vcc_lo
; %bb.106:
	s_wait_alu 0xfffe
	s_or_b32 exec_lo, exec_lo, s2
	v_mul_i32_i24_e32 v5, 0xffffffec, v0
	v_mov_b32_dpp v6, v4 row_shr:8 row_mask:0xf bank_mask:0xf
	v_mov_b32_dpp v4, v2 row_shr:8 row_mask:0xf bank_mask:0xf
	s_and_saveexec_b32 s0, s1
; %bb.107:
	s_delay_alu instid0(VALU_DEP_2) | instskip(SKIP_2) | instid1(VALU_DEP_2)
	v_add_co_u32 v1, vcc_lo, v1, v6
	s_wait_alu 0xfffd
	v_add_co_ci_u32_e64 v2, null, 0, v2, vcc_lo
	v_add_co_u32 v1, vcc_lo, v1, 0
	s_wait_alu 0xfffd
	s_delay_alu instid0(VALU_DEP_2)
	v_add_co_ci_u32_e64 v2, null, v2, v4, vcc_lo
; %bb.108:
	s_wait_alu 0xfffe
	s_or_b32 exec_lo, exec_lo, s0
	v_add_nc_u32_e32 v4, v35, v5
	ds_store_b64 v4, v[1:2]
.LBB88_109:
	s_or_b32 exec_lo, exec_lo, s14
	v_mov_b32_e32 v6, 0
	v_mov_b32_e32 v7, 0
	s_mov_b32 s0, exec_lo
	s_wait_loadcnt_dscnt 0x0
	s_barrier_signal -1
	s_barrier_wait -1
	global_inv scope:SCOPE_SE
	v_cmpx_lt_u32_e32 31, v0
; %bb.110:
	v_lshl_add_u32 v1, v3, 3, -8
	ds_load_b64 v[6:7], v1
; %bb.111:
	s_wait_alu 0xfffe
	s_or_b32 exec_lo, exec_lo, s0
	v_sub_co_u32 v1, vcc_lo, v41, 1
	v_mov_b32_e32 v5, 0
	s_delay_alu instid0(VALU_DEP_2) | instskip(SKIP_1) | instid1(VALU_DEP_1)
	v_cmp_gt_i32_e64 s0, 0, v1
	s_wait_alu 0xf1ff
	v_cndmask_b32_e64 v1, v1, v41, s0
	s_delay_alu instid0(VALU_DEP_1)
	v_lshlrev_b32_e32 v2, 2, v1
	s_wait_dscnt 0x0
	v_add_co_u32 v1, s0, v6, v15
	s_wait_alu 0xf1ff
	v_add_co_ci_u32_e64 v3, null, v7, v16, s0
	v_cmp_eq_u32_e64 s0, 0, v0
	ds_bpermute_b32 v1, v2, v1
	ds_bpermute_b32 v8, v2, v3
	ds_load_b64 v[2:3], v5 offset:88
	s_and_saveexec_b32 s1, s0
	s_cbranch_execz .LBB88_113
; %bb.112:
	s_wait_kmcnt 0x0
	s_add_nc_u64 s[2:3], s[10:11], 0x200
	v_mov_b32_e32 v4, 2
	s_wait_alu 0xfffe
	v_dual_mov_b32 v16, s3 :: v_dual_mov_b32 v15, s2
	s_wait_dscnt 0x0
	;;#ASMSTART
	global_store_b128 v[15:16], v[2:5] off scope:SCOPE_DEV	
s_wait_storecnt 0x0
	;;#ASMEND
.LBB88_113:
	s_wait_alu 0xfffe
	s_or_b32 exec_lo, exec_lo, s1
	s_wait_dscnt 0x1
	s_wait_alu 0xfffd
	v_dual_cndmask_b32 v1, v1, v6 :: v_dual_cndmask_b32 v4, v8, v7
	s_wait_loadcnt_dscnt 0x0
	s_barrier_signal -1
	s_barrier_wait -1
	s_delay_alu instid0(VALU_DEP_1)
	v_cndmask_b32_e64 v27, v1, 0, s0
	v_cndmask_b32_e64 v28, v4, 0, s0
	v_mov_b32_e32 v4, 0
	v_mov_b32_e32 v5, 0
	global_inv scope:SCOPE_SE
	v_add_co_u32 v25, vcc_lo, v27, v40
	s_wait_alu 0xfffd
	v_add_co_ci_u32_e64 v26, null, 0, v28, vcc_lo
	s_delay_alu instid0(VALU_DEP_2) | instskip(SKIP_1) | instid1(VALU_DEP_2)
	v_add_co_u32 v23, vcc_lo, v25, v38
	s_wait_alu 0xfffd
	v_add_co_ci_u32_e64 v24, null, 0, v26, vcc_lo
	s_delay_alu instid0(VALU_DEP_2) | instskip(SKIP_1) | instid1(VALU_DEP_2)
	;; [unrolled: 4-line block ×5, first 2 shown]
	v_add_co_u32 v17, vcc_lo, v6, v36
	s_wait_alu 0xfffd
	v_add_co_ci_u32_e64 v18, null, 0, v7, vcc_lo
.LBB88_114:
	v_lshrrev_b32_e32 v8, 8, v34
	v_lshrrev_b32_e32 v1, 16, v34
	v_and_b32_e32 v34, 1, v34
	s_wait_dscnt 0x0
	v_cmp_gt_u64_e32 vcc_lo, 0x181, v[2:3]
	s_mov_b32 s1, -1
	s_delay_alu instid0(VALU_DEP_2)
	v_cmp_eq_u32_e64 s0, 1, v34
	s_cbranch_vccnz .LBB88_118
; %bb.115:
	s_wait_alu 0xfffe
	s_and_b32 vcc_lo, exec_lo, s1
	s_wait_alu 0xfffe
	s_cbranch_vccnz .LBB88_133
.LBB88_116:
	v_cmp_eq_u32_e32 vcc_lo, 0, v0
	s_and_b32 s0, vcc_lo, s12
	s_wait_alu 0xfffe
	s_and_saveexec_b32 s1, s0
	s_cbranch_execnz .LBB88_150
.LBB88_117:
	s_endpgm
.LBB88_118:
	v_add_co_u32 v15, vcc_lo, v4, v2
	s_wait_alu 0xfffd
	v_add_co_ci_u32_e64 v16, null, v5, v3, vcc_lo
	s_wait_kmcnt 0x0
	s_lshl_b64 s[2:3], s[6:7], 2
	s_wait_alu 0xfffe
	s_add_nc_u64 s[2:3], s[4:5], s[2:3]
	v_cmp_lt_u64_e32 vcc_lo, v[27:28], v[15:16]
	s_or_b32 s1, s13, vcc_lo
	s_wait_alu 0xfffe
	s_and_b32 s1, s1, s0
	s_wait_alu 0xfffe
	s_and_saveexec_b32 s0, s1
	s_cbranch_execz .LBB88_120
; %bb.119:
	v_lshlrev_b64_e32 v[35:36], 2, v[27:28]
	s_delay_alu instid0(VALU_DEP_1) | instskip(SKIP_1) | instid1(VALU_DEP_2)
	v_add_co_u32 v35, vcc_lo, s2, v35
	s_wait_alu 0xfffd
	v_add_co_ci_u32_e64 v36, null, s3, v36, vcc_lo
	global_store_b32 v[35:36], v13, off
.LBB88_120:
	s_wait_alu 0xfffe
	s_or_b32 exec_lo, exec_lo, s0
	v_and_b32_e32 v28, 1, v8
	v_cmp_lt_u64_e32 vcc_lo, v[25:26], v[15:16]
	s_delay_alu instid0(VALU_DEP_2)
	v_cmp_eq_u32_e64 s0, 1, v28
	s_or_b32 s1, s13, vcc_lo
	s_wait_alu 0xfffe
	s_and_b32 s1, s1, s0
	s_wait_alu 0xfffe
	s_and_saveexec_b32 s0, s1
	s_cbranch_execz .LBB88_122
; %bb.121:
	v_lshlrev_b64_e32 v[35:36], 2, v[25:26]
	s_delay_alu instid0(VALU_DEP_1) | instskip(SKIP_1) | instid1(VALU_DEP_2)
	v_add_co_u32 v35, vcc_lo, s2, v35
	s_wait_alu 0xfffd
	v_add_co_ci_u32_e64 v36, null, s3, v36, vcc_lo
	global_store_b32 v[35:36], v14, off
.LBB88_122:
	s_wait_alu 0xfffe
	s_or_b32 exec_lo, exec_lo, s0
	v_and_b32_e32 v26, 1, v1
	v_cmp_lt_u64_e32 vcc_lo, v[23:24], v[15:16]
	s_delay_alu instid0(VALU_DEP_2)
	v_cmp_eq_u32_e64 s0, 1, v26
	;; [unrolled: 20-line block ×6, first 2 shown]
	s_or_b32 s1, s13, vcc_lo
	s_wait_alu 0xfffe
	s_and_b32 s1, s1, s0
	s_wait_alu 0xfffe
	s_and_saveexec_b32 s0, s1
	s_cbranch_execz .LBB88_132
; %bb.131:
	v_lshlrev_b64_e32 v[15:16], 2, v[17:18]
	s_delay_alu instid0(VALU_DEP_1) | instskip(SKIP_1) | instid1(VALU_DEP_2)
	v_add_co_u32 v15, vcc_lo, s2, v15
	s_wait_alu 0xfffd
	v_add_co_ci_u32_e64 v16, null, s3, v16, vcc_lo
	global_store_b32 v[15:16], v29, off
.LBB88_132:
	s_wait_alu 0xfffe
	s_or_b32 exec_lo, exec_lo, s0
	s_branch .LBB88_116
.LBB88_133:
	s_mov_b32 s0, exec_lo
	v_cmpx_eq_u32_e32 1, v34
; %bb.134:
	v_sub_nc_u32_e32 v7, v27, v4
	s_delay_alu instid0(VALU_DEP_1)
	v_lshlrev_b32_e32 v7, 2, v7
	ds_store_b32 v7, v13
; %bb.135:
	s_wait_alu 0xfffe
	s_or_b32 exec_lo, exec_lo, s0
	v_and_b32_e32 v7, 1, v8
	s_mov_b32 s0, exec_lo
	s_delay_alu instid0(VALU_DEP_1)
	v_cmpx_eq_u32_e32 1, v7
; %bb.136:
	v_sub_nc_u32_e32 v7, v25, v4
	s_delay_alu instid0(VALU_DEP_1)
	v_lshlrev_b32_e32 v7, 2, v7
	ds_store_b32 v7, v14
; %bb.137:
	s_wait_alu 0xfffe
	s_or_b32 exec_lo, exec_lo, s0
	v_and_b32_e32 v1, 1, v1
	s_mov_b32 s0, exec_lo
	s_delay_alu instid0(VALU_DEP_1)
	;; [unrolled: 12-line block ×6, first 2 shown]
	v_cmpx_eq_u32_e32 1, v1
; %bb.146:
	v_sub_nc_u32_e32 v1, v17, v4
	s_delay_alu instid0(VALU_DEP_1)
	v_lshlrev_b32_e32 v1, 2, v1
	ds_store_b32 v1, v29
; %bb.147:
	s_wait_alu 0xfffe
	s_or_b32 exec_lo, exec_lo, s0
	v_lshlrev_b64_e32 v[8:9], 2, v[4:5]
	v_mov_b32_e32 v7, 0
	s_wait_kmcnt 0x0
	s_lshl_b64 s[0:1], s[6:7], 2
	s_wait_storecnt 0x0
	s_wait_loadcnt_dscnt 0x0
	s_barrier_signal -1
	s_barrier_wait -1
	v_add_co_u32 v6, vcc_lo, s4, v8
	s_wait_alu 0xfffd
	v_add_co_ci_u32_e64 v8, null, s5, v9, vcc_lo
	global_inv scope:SCOPE_SE
	s_wait_alu 0xfffe
	v_add_co_u32 v10, vcc_lo, v6, s0
	v_dual_mov_b32 v1, v7 :: v_dual_add_nc_u32 v6, 0x180, v0
	s_wait_alu 0xfffd
	v_add_co_ci_u32_e64 v11, null, s1, v8, vcc_lo
	s_mov_b32 s1, 0
	v_dual_mov_b32 v9, v1 :: v_dual_mov_b32 v8, v0
.LBB88_148:                             ; =>This Inner Loop Header: Depth=1
	s_delay_alu instid0(VALU_DEP_1) | instskip(NEXT) | instid1(VALU_DEP_2)
	v_lshlrev_b32_e32 v1, 2, v8
	v_lshlrev_b64_e32 v[12:13], 2, v[8:9]
	v_dual_mov_b32 v9, v7 :: v_dual_mov_b32 v8, v6
	v_cmp_le_u64_e32 vcc_lo, v[2:3], v[6:7]
	ds_load_b32 v1, v1
	v_add_nc_u32_e32 v6, 0x180, v6
	v_add_co_u32 v12, s0, v10, v12
	s_wait_alu 0xf1ff
	v_add_co_ci_u32_e64 v13, null, v11, v13, s0
	s_wait_alu 0xfffe
	s_or_b32 s1, vcc_lo, s1
	s_wait_dscnt 0x0
	global_store_b32 v[12:13], v1, off
	s_wait_alu 0xfffe
	s_and_not1_b32 exec_lo, exec_lo, s1
	s_cbranch_execnz .LBB88_148
; %bb.149:
	s_or_b32 exec_lo, exec_lo, s1
	v_cmp_eq_u32_e32 vcc_lo, 0, v0
	s_and_b32 s0, vcc_lo, s12
	s_wait_alu 0xfffe
	s_and_saveexec_b32 s1, s0
	s_cbranch_execz .LBB88_117
.LBB88_150:
	v_add_co_u32 v0, vcc_lo, v4, v2
	s_wait_alu 0xfffd
	v_add_co_ci_u32_e64 v1, null, v5, v3, vcc_lo
	v_mov_b32_e32 v2, 0
	s_wait_kmcnt 0x0
	v_add_co_u32 v0, vcc_lo, v0, s6
	s_wait_alu 0xfffd
	v_add_co_ci_u32_e64 v1, null, s7, v1, vcc_lo
	global_store_b64 v2, v[0:1], s[8:9]
	s_endpgm
	.section	.rodata,"a",@progbits
	.p2align	6, 0x0
	.amdhsa_kernel _ZN7rocprim17ROCPRIM_400000_NS6detail17trampoline_kernelINS0_14default_configENS1_25partition_config_selectorILNS1_17partition_subalgoE6EiNS0_10empty_typeEbEEZZNS1_14partition_implILS5_6ELb0ES3_mN6thrust23THRUST_200600_302600_NS6detail15normal_iteratorINSA_10device_ptrIiEEEEPS6_SG_NS0_5tupleIJSF_S6_EEENSH_IJSG_SG_EEES6_PlJNSB_9not_fun_tI6is_oddIiEEEEEE10hipError_tPvRmT3_T4_T5_T6_T7_T9_mT8_P12ihipStream_tbDpT10_ENKUlT_T0_E_clISt17integral_constantIbLb0EES18_EEDaS13_S14_EUlS13_E_NS1_11comp_targetILNS1_3genE10ELNS1_11target_archE1200ELNS1_3gpuE4ELNS1_3repE0EEENS1_30default_config_static_selectorELNS0_4arch9wavefront6targetE0EEEvT1_
		.amdhsa_group_segment_fixed_size 10768
		.amdhsa_private_segment_fixed_size 0
		.amdhsa_kernarg_size 112
		.amdhsa_user_sgpr_count 2
		.amdhsa_user_sgpr_dispatch_ptr 0
		.amdhsa_user_sgpr_queue_ptr 0
		.amdhsa_user_sgpr_kernarg_segment_ptr 1
		.amdhsa_user_sgpr_dispatch_id 0
		.amdhsa_user_sgpr_private_segment_size 0
		.amdhsa_wavefront_size32 1
		.amdhsa_uses_dynamic_stack 0
		.amdhsa_enable_private_segment 0
		.amdhsa_system_sgpr_workgroup_id_x 1
		.amdhsa_system_sgpr_workgroup_id_y 0
		.amdhsa_system_sgpr_workgroup_id_z 0
		.amdhsa_system_sgpr_workgroup_info 0
		.amdhsa_system_vgpr_workitem_id 0
		.amdhsa_next_free_vgpr 50
		.amdhsa_next_free_sgpr 19
		.amdhsa_reserve_vcc 1
		.amdhsa_float_round_mode_32 0
		.amdhsa_float_round_mode_16_64 0
		.amdhsa_float_denorm_mode_32 3
		.amdhsa_float_denorm_mode_16_64 3
		.amdhsa_fp16_overflow 0
		.amdhsa_workgroup_processor_mode 1
		.amdhsa_memory_ordered 1
		.amdhsa_forward_progress 1
		.amdhsa_inst_pref_size 58
		.amdhsa_round_robin_scheduling 0
		.amdhsa_exception_fp_ieee_invalid_op 0
		.amdhsa_exception_fp_denorm_src 0
		.amdhsa_exception_fp_ieee_div_zero 0
		.amdhsa_exception_fp_ieee_overflow 0
		.amdhsa_exception_fp_ieee_underflow 0
		.amdhsa_exception_fp_ieee_inexact 0
		.amdhsa_exception_int_div_zero 0
	.end_amdhsa_kernel
	.section	.text._ZN7rocprim17ROCPRIM_400000_NS6detail17trampoline_kernelINS0_14default_configENS1_25partition_config_selectorILNS1_17partition_subalgoE6EiNS0_10empty_typeEbEEZZNS1_14partition_implILS5_6ELb0ES3_mN6thrust23THRUST_200600_302600_NS6detail15normal_iteratorINSA_10device_ptrIiEEEEPS6_SG_NS0_5tupleIJSF_S6_EEENSH_IJSG_SG_EEES6_PlJNSB_9not_fun_tI6is_oddIiEEEEEE10hipError_tPvRmT3_T4_T5_T6_T7_T9_mT8_P12ihipStream_tbDpT10_ENKUlT_T0_E_clISt17integral_constantIbLb0EES18_EEDaS13_S14_EUlS13_E_NS1_11comp_targetILNS1_3genE10ELNS1_11target_archE1200ELNS1_3gpuE4ELNS1_3repE0EEENS1_30default_config_static_selectorELNS0_4arch9wavefront6targetE0EEEvT1_,"axG",@progbits,_ZN7rocprim17ROCPRIM_400000_NS6detail17trampoline_kernelINS0_14default_configENS1_25partition_config_selectorILNS1_17partition_subalgoE6EiNS0_10empty_typeEbEEZZNS1_14partition_implILS5_6ELb0ES3_mN6thrust23THRUST_200600_302600_NS6detail15normal_iteratorINSA_10device_ptrIiEEEEPS6_SG_NS0_5tupleIJSF_S6_EEENSH_IJSG_SG_EEES6_PlJNSB_9not_fun_tI6is_oddIiEEEEEE10hipError_tPvRmT3_T4_T5_T6_T7_T9_mT8_P12ihipStream_tbDpT10_ENKUlT_T0_E_clISt17integral_constantIbLb0EES18_EEDaS13_S14_EUlS13_E_NS1_11comp_targetILNS1_3genE10ELNS1_11target_archE1200ELNS1_3gpuE4ELNS1_3repE0EEENS1_30default_config_static_selectorELNS0_4arch9wavefront6targetE0EEEvT1_,comdat
.Lfunc_end88:
	.size	_ZN7rocprim17ROCPRIM_400000_NS6detail17trampoline_kernelINS0_14default_configENS1_25partition_config_selectorILNS1_17partition_subalgoE6EiNS0_10empty_typeEbEEZZNS1_14partition_implILS5_6ELb0ES3_mN6thrust23THRUST_200600_302600_NS6detail15normal_iteratorINSA_10device_ptrIiEEEEPS6_SG_NS0_5tupleIJSF_S6_EEENSH_IJSG_SG_EEES6_PlJNSB_9not_fun_tI6is_oddIiEEEEEE10hipError_tPvRmT3_T4_T5_T6_T7_T9_mT8_P12ihipStream_tbDpT10_ENKUlT_T0_E_clISt17integral_constantIbLb0EES18_EEDaS13_S14_EUlS13_E_NS1_11comp_targetILNS1_3genE10ELNS1_11target_archE1200ELNS1_3gpuE4ELNS1_3repE0EEENS1_30default_config_static_selectorELNS0_4arch9wavefront6targetE0EEEvT1_, .Lfunc_end88-_ZN7rocprim17ROCPRIM_400000_NS6detail17trampoline_kernelINS0_14default_configENS1_25partition_config_selectorILNS1_17partition_subalgoE6EiNS0_10empty_typeEbEEZZNS1_14partition_implILS5_6ELb0ES3_mN6thrust23THRUST_200600_302600_NS6detail15normal_iteratorINSA_10device_ptrIiEEEEPS6_SG_NS0_5tupleIJSF_S6_EEENSH_IJSG_SG_EEES6_PlJNSB_9not_fun_tI6is_oddIiEEEEEE10hipError_tPvRmT3_T4_T5_T6_T7_T9_mT8_P12ihipStream_tbDpT10_ENKUlT_T0_E_clISt17integral_constantIbLb0EES18_EEDaS13_S14_EUlS13_E_NS1_11comp_targetILNS1_3genE10ELNS1_11target_archE1200ELNS1_3gpuE4ELNS1_3repE0EEENS1_30default_config_static_selectorELNS0_4arch9wavefront6targetE0EEEvT1_
                                        ; -- End function
	.set _ZN7rocprim17ROCPRIM_400000_NS6detail17trampoline_kernelINS0_14default_configENS1_25partition_config_selectorILNS1_17partition_subalgoE6EiNS0_10empty_typeEbEEZZNS1_14partition_implILS5_6ELb0ES3_mN6thrust23THRUST_200600_302600_NS6detail15normal_iteratorINSA_10device_ptrIiEEEEPS6_SG_NS0_5tupleIJSF_S6_EEENSH_IJSG_SG_EEES6_PlJNSB_9not_fun_tI6is_oddIiEEEEEE10hipError_tPvRmT3_T4_T5_T6_T7_T9_mT8_P12ihipStream_tbDpT10_ENKUlT_T0_E_clISt17integral_constantIbLb0EES18_EEDaS13_S14_EUlS13_E_NS1_11comp_targetILNS1_3genE10ELNS1_11target_archE1200ELNS1_3gpuE4ELNS1_3repE0EEENS1_30default_config_static_selectorELNS0_4arch9wavefront6targetE0EEEvT1_.num_vgpr, 50
	.set _ZN7rocprim17ROCPRIM_400000_NS6detail17trampoline_kernelINS0_14default_configENS1_25partition_config_selectorILNS1_17partition_subalgoE6EiNS0_10empty_typeEbEEZZNS1_14partition_implILS5_6ELb0ES3_mN6thrust23THRUST_200600_302600_NS6detail15normal_iteratorINSA_10device_ptrIiEEEEPS6_SG_NS0_5tupleIJSF_S6_EEENSH_IJSG_SG_EEES6_PlJNSB_9not_fun_tI6is_oddIiEEEEEE10hipError_tPvRmT3_T4_T5_T6_T7_T9_mT8_P12ihipStream_tbDpT10_ENKUlT_T0_E_clISt17integral_constantIbLb0EES18_EEDaS13_S14_EUlS13_E_NS1_11comp_targetILNS1_3genE10ELNS1_11target_archE1200ELNS1_3gpuE4ELNS1_3repE0EEENS1_30default_config_static_selectorELNS0_4arch9wavefront6targetE0EEEvT1_.num_agpr, 0
	.set _ZN7rocprim17ROCPRIM_400000_NS6detail17trampoline_kernelINS0_14default_configENS1_25partition_config_selectorILNS1_17partition_subalgoE6EiNS0_10empty_typeEbEEZZNS1_14partition_implILS5_6ELb0ES3_mN6thrust23THRUST_200600_302600_NS6detail15normal_iteratorINSA_10device_ptrIiEEEEPS6_SG_NS0_5tupleIJSF_S6_EEENSH_IJSG_SG_EEES6_PlJNSB_9not_fun_tI6is_oddIiEEEEEE10hipError_tPvRmT3_T4_T5_T6_T7_T9_mT8_P12ihipStream_tbDpT10_ENKUlT_T0_E_clISt17integral_constantIbLb0EES18_EEDaS13_S14_EUlS13_E_NS1_11comp_targetILNS1_3genE10ELNS1_11target_archE1200ELNS1_3gpuE4ELNS1_3repE0EEENS1_30default_config_static_selectorELNS0_4arch9wavefront6targetE0EEEvT1_.numbered_sgpr, 19
	.set _ZN7rocprim17ROCPRIM_400000_NS6detail17trampoline_kernelINS0_14default_configENS1_25partition_config_selectorILNS1_17partition_subalgoE6EiNS0_10empty_typeEbEEZZNS1_14partition_implILS5_6ELb0ES3_mN6thrust23THRUST_200600_302600_NS6detail15normal_iteratorINSA_10device_ptrIiEEEEPS6_SG_NS0_5tupleIJSF_S6_EEENSH_IJSG_SG_EEES6_PlJNSB_9not_fun_tI6is_oddIiEEEEEE10hipError_tPvRmT3_T4_T5_T6_T7_T9_mT8_P12ihipStream_tbDpT10_ENKUlT_T0_E_clISt17integral_constantIbLb0EES18_EEDaS13_S14_EUlS13_E_NS1_11comp_targetILNS1_3genE10ELNS1_11target_archE1200ELNS1_3gpuE4ELNS1_3repE0EEENS1_30default_config_static_selectorELNS0_4arch9wavefront6targetE0EEEvT1_.num_named_barrier, 0
	.set _ZN7rocprim17ROCPRIM_400000_NS6detail17trampoline_kernelINS0_14default_configENS1_25partition_config_selectorILNS1_17partition_subalgoE6EiNS0_10empty_typeEbEEZZNS1_14partition_implILS5_6ELb0ES3_mN6thrust23THRUST_200600_302600_NS6detail15normal_iteratorINSA_10device_ptrIiEEEEPS6_SG_NS0_5tupleIJSF_S6_EEENSH_IJSG_SG_EEES6_PlJNSB_9not_fun_tI6is_oddIiEEEEEE10hipError_tPvRmT3_T4_T5_T6_T7_T9_mT8_P12ihipStream_tbDpT10_ENKUlT_T0_E_clISt17integral_constantIbLb0EES18_EEDaS13_S14_EUlS13_E_NS1_11comp_targetILNS1_3genE10ELNS1_11target_archE1200ELNS1_3gpuE4ELNS1_3repE0EEENS1_30default_config_static_selectorELNS0_4arch9wavefront6targetE0EEEvT1_.private_seg_size, 0
	.set _ZN7rocprim17ROCPRIM_400000_NS6detail17trampoline_kernelINS0_14default_configENS1_25partition_config_selectorILNS1_17partition_subalgoE6EiNS0_10empty_typeEbEEZZNS1_14partition_implILS5_6ELb0ES3_mN6thrust23THRUST_200600_302600_NS6detail15normal_iteratorINSA_10device_ptrIiEEEEPS6_SG_NS0_5tupleIJSF_S6_EEENSH_IJSG_SG_EEES6_PlJNSB_9not_fun_tI6is_oddIiEEEEEE10hipError_tPvRmT3_T4_T5_T6_T7_T9_mT8_P12ihipStream_tbDpT10_ENKUlT_T0_E_clISt17integral_constantIbLb0EES18_EEDaS13_S14_EUlS13_E_NS1_11comp_targetILNS1_3genE10ELNS1_11target_archE1200ELNS1_3gpuE4ELNS1_3repE0EEENS1_30default_config_static_selectorELNS0_4arch9wavefront6targetE0EEEvT1_.uses_vcc, 1
	.set _ZN7rocprim17ROCPRIM_400000_NS6detail17trampoline_kernelINS0_14default_configENS1_25partition_config_selectorILNS1_17partition_subalgoE6EiNS0_10empty_typeEbEEZZNS1_14partition_implILS5_6ELb0ES3_mN6thrust23THRUST_200600_302600_NS6detail15normal_iteratorINSA_10device_ptrIiEEEEPS6_SG_NS0_5tupleIJSF_S6_EEENSH_IJSG_SG_EEES6_PlJNSB_9not_fun_tI6is_oddIiEEEEEE10hipError_tPvRmT3_T4_T5_T6_T7_T9_mT8_P12ihipStream_tbDpT10_ENKUlT_T0_E_clISt17integral_constantIbLb0EES18_EEDaS13_S14_EUlS13_E_NS1_11comp_targetILNS1_3genE10ELNS1_11target_archE1200ELNS1_3gpuE4ELNS1_3repE0EEENS1_30default_config_static_selectorELNS0_4arch9wavefront6targetE0EEEvT1_.uses_flat_scratch, 1
	.set _ZN7rocprim17ROCPRIM_400000_NS6detail17trampoline_kernelINS0_14default_configENS1_25partition_config_selectorILNS1_17partition_subalgoE6EiNS0_10empty_typeEbEEZZNS1_14partition_implILS5_6ELb0ES3_mN6thrust23THRUST_200600_302600_NS6detail15normal_iteratorINSA_10device_ptrIiEEEEPS6_SG_NS0_5tupleIJSF_S6_EEENSH_IJSG_SG_EEES6_PlJNSB_9not_fun_tI6is_oddIiEEEEEE10hipError_tPvRmT3_T4_T5_T6_T7_T9_mT8_P12ihipStream_tbDpT10_ENKUlT_T0_E_clISt17integral_constantIbLb0EES18_EEDaS13_S14_EUlS13_E_NS1_11comp_targetILNS1_3genE10ELNS1_11target_archE1200ELNS1_3gpuE4ELNS1_3repE0EEENS1_30default_config_static_selectorELNS0_4arch9wavefront6targetE0EEEvT1_.has_dyn_sized_stack, 0
	.set _ZN7rocprim17ROCPRIM_400000_NS6detail17trampoline_kernelINS0_14default_configENS1_25partition_config_selectorILNS1_17partition_subalgoE6EiNS0_10empty_typeEbEEZZNS1_14partition_implILS5_6ELb0ES3_mN6thrust23THRUST_200600_302600_NS6detail15normal_iteratorINSA_10device_ptrIiEEEEPS6_SG_NS0_5tupleIJSF_S6_EEENSH_IJSG_SG_EEES6_PlJNSB_9not_fun_tI6is_oddIiEEEEEE10hipError_tPvRmT3_T4_T5_T6_T7_T9_mT8_P12ihipStream_tbDpT10_ENKUlT_T0_E_clISt17integral_constantIbLb0EES18_EEDaS13_S14_EUlS13_E_NS1_11comp_targetILNS1_3genE10ELNS1_11target_archE1200ELNS1_3gpuE4ELNS1_3repE0EEENS1_30default_config_static_selectorELNS0_4arch9wavefront6targetE0EEEvT1_.has_recursion, 0
	.set _ZN7rocprim17ROCPRIM_400000_NS6detail17trampoline_kernelINS0_14default_configENS1_25partition_config_selectorILNS1_17partition_subalgoE6EiNS0_10empty_typeEbEEZZNS1_14partition_implILS5_6ELb0ES3_mN6thrust23THRUST_200600_302600_NS6detail15normal_iteratorINSA_10device_ptrIiEEEEPS6_SG_NS0_5tupleIJSF_S6_EEENSH_IJSG_SG_EEES6_PlJNSB_9not_fun_tI6is_oddIiEEEEEE10hipError_tPvRmT3_T4_T5_T6_T7_T9_mT8_P12ihipStream_tbDpT10_ENKUlT_T0_E_clISt17integral_constantIbLb0EES18_EEDaS13_S14_EUlS13_E_NS1_11comp_targetILNS1_3genE10ELNS1_11target_archE1200ELNS1_3gpuE4ELNS1_3repE0EEENS1_30default_config_static_selectorELNS0_4arch9wavefront6targetE0EEEvT1_.has_indirect_call, 0
	.section	.AMDGPU.csdata,"",@progbits
; Kernel info:
; codeLenInByte = 7408
; TotalNumSgprs: 21
; NumVgprs: 50
; ScratchSize: 0
; MemoryBound: 0
; FloatMode: 240
; IeeeMode: 1
; LDSByteSize: 10768 bytes/workgroup (compile time only)
; SGPRBlocks: 0
; VGPRBlocks: 6
; NumSGPRsForWavesPerEU: 21
; NumVGPRsForWavesPerEU: 50
; Occupancy: 15
; WaveLimiterHint : 1
; COMPUTE_PGM_RSRC2:SCRATCH_EN: 0
; COMPUTE_PGM_RSRC2:USER_SGPR: 2
; COMPUTE_PGM_RSRC2:TRAP_HANDLER: 0
; COMPUTE_PGM_RSRC2:TGID_X_EN: 1
; COMPUTE_PGM_RSRC2:TGID_Y_EN: 0
; COMPUTE_PGM_RSRC2:TGID_Z_EN: 0
; COMPUTE_PGM_RSRC2:TIDIG_COMP_CNT: 0
	.section	.text._ZN7rocprim17ROCPRIM_400000_NS6detail17trampoline_kernelINS0_14default_configENS1_25partition_config_selectorILNS1_17partition_subalgoE6EiNS0_10empty_typeEbEEZZNS1_14partition_implILS5_6ELb0ES3_mN6thrust23THRUST_200600_302600_NS6detail15normal_iteratorINSA_10device_ptrIiEEEEPS6_SG_NS0_5tupleIJSF_S6_EEENSH_IJSG_SG_EEES6_PlJNSB_9not_fun_tI6is_oddIiEEEEEE10hipError_tPvRmT3_T4_T5_T6_T7_T9_mT8_P12ihipStream_tbDpT10_ENKUlT_T0_E_clISt17integral_constantIbLb0EES18_EEDaS13_S14_EUlS13_E_NS1_11comp_targetILNS1_3genE9ELNS1_11target_archE1100ELNS1_3gpuE3ELNS1_3repE0EEENS1_30default_config_static_selectorELNS0_4arch9wavefront6targetE0EEEvT1_,"axG",@progbits,_ZN7rocprim17ROCPRIM_400000_NS6detail17trampoline_kernelINS0_14default_configENS1_25partition_config_selectorILNS1_17partition_subalgoE6EiNS0_10empty_typeEbEEZZNS1_14partition_implILS5_6ELb0ES3_mN6thrust23THRUST_200600_302600_NS6detail15normal_iteratorINSA_10device_ptrIiEEEEPS6_SG_NS0_5tupleIJSF_S6_EEENSH_IJSG_SG_EEES6_PlJNSB_9not_fun_tI6is_oddIiEEEEEE10hipError_tPvRmT3_T4_T5_T6_T7_T9_mT8_P12ihipStream_tbDpT10_ENKUlT_T0_E_clISt17integral_constantIbLb0EES18_EEDaS13_S14_EUlS13_E_NS1_11comp_targetILNS1_3genE9ELNS1_11target_archE1100ELNS1_3gpuE3ELNS1_3repE0EEENS1_30default_config_static_selectorELNS0_4arch9wavefront6targetE0EEEvT1_,comdat
	.protected	_ZN7rocprim17ROCPRIM_400000_NS6detail17trampoline_kernelINS0_14default_configENS1_25partition_config_selectorILNS1_17partition_subalgoE6EiNS0_10empty_typeEbEEZZNS1_14partition_implILS5_6ELb0ES3_mN6thrust23THRUST_200600_302600_NS6detail15normal_iteratorINSA_10device_ptrIiEEEEPS6_SG_NS0_5tupleIJSF_S6_EEENSH_IJSG_SG_EEES6_PlJNSB_9not_fun_tI6is_oddIiEEEEEE10hipError_tPvRmT3_T4_T5_T6_T7_T9_mT8_P12ihipStream_tbDpT10_ENKUlT_T0_E_clISt17integral_constantIbLb0EES18_EEDaS13_S14_EUlS13_E_NS1_11comp_targetILNS1_3genE9ELNS1_11target_archE1100ELNS1_3gpuE3ELNS1_3repE0EEENS1_30default_config_static_selectorELNS0_4arch9wavefront6targetE0EEEvT1_ ; -- Begin function _ZN7rocprim17ROCPRIM_400000_NS6detail17trampoline_kernelINS0_14default_configENS1_25partition_config_selectorILNS1_17partition_subalgoE6EiNS0_10empty_typeEbEEZZNS1_14partition_implILS5_6ELb0ES3_mN6thrust23THRUST_200600_302600_NS6detail15normal_iteratorINSA_10device_ptrIiEEEEPS6_SG_NS0_5tupleIJSF_S6_EEENSH_IJSG_SG_EEES6_PlJNSB_9not_fun_tI6is_oddIiEEEEEE10hipError_tPvRmT3_T4_T5_T6_T7_T9_mT8_P12ihipStream_tbDpT10_ENKUlT_T0_E_clISt17integral_constantIbLb0EES18_EEDaS13_S14_EUlS13_E_NS1_11comp_targetILNS1_3genE9ELNS1_11target_archE1100ELNS1_3gpuE3ELNS1_3repE0EEENS1_30default_config_static_selectorELNS0_4arch9wavefront6targetE0EEEvT1_
	.globl	_ZN7rocprim17ROCPRIM_400000_NS6detail17trampoline_kernelINS0_14default_configENS1_25partition_config_selectorILNS1_17partition_subalgoE6EiNS0_10empty_typeEbEEZZNS1_14partition_implILS5_6ELb0ES3_mN6thrust23THRUST_200600_302600_NS6detail15normal_iteratorINSA_10device_ptrIiEEEEPS6_SG_NS0_5tupleIJSF_S6_EEENSH_IJSG_SG_EEES6_PlJNSB_9not_fun_tI6is_oddIiEEEEEE10hipError_tPvRmT3_T4_T5_T6_T7_T9_mT8_P12ihipStream_tbDpT10_ENKUlT_T0_E_clISt17integral_constantIbLb0EES18_EEDaS13_S14_EUlS13_E_NS1_11comp_targetILNS1_3genE9ELNS1_11target_archE1100ELNS1_3gpuE3ELNS1_3repE0EEENS1_30default_config_static_selectorELNS0_4arch9wavefront6targetE0EEEvT1_
	.p2align	8
	.type	_ZN7rocprim17ROCPRIM_400000_NS6detail17trampoline_kernelINS0_14default_configENS1_25partition_config_selectorILNS1_17partition_subalgoE6EiNS0_10empty_typeEbEEZZNS1_14partition_implILS5_6ELb0ES3_mN6thrust23THRUST_200600_302600_NS6detail15normal_iteratorINSA_10device_ptrIiEEEEPS6_SG_NS0_5tupleIJSF_S6_EEENSH_IJSG_SG_EEES6_PlJNSB_9not_fun_tI6is_oddIiEEEEEE10hipError_tPvRmT3_T4_T5_T6_T7_T9_mT8_P12ihipStream_tbDpT10_ENKUlT_T0_E_clISt17integral_constantIbLb0EES18_EEDaS13_S14_EUlS13_E_NS1_11comp_targetILNS1_3genE9ELNS1_11target_archE1100ELNS1_3gpuE3ELNS1_3repE0EEENS1_30default_config_static_selectorELNS0_4arch9wavefront6targetE0EEEvT1_,@function
_ZN7rocprim17ROCPRIM_400000_NS6detail17trampoline_kernelINS0_14default_configENS1_25partition_config_selectorILNS1_17partition_subalgoE6EiNS0_10empty_typeEbEEZZNS1_14partition_implILS5_6ELb0ES3_mN6thrust23THRUST_200600_302600_NS6detail15normal_iteratorINSA_10device_ptrIiEEEEPS6_SG_NS0_5tupleIJSF_S6_EEENSH_IJSG_SG_EEES6_PlJNSB_9not_fun_tI6is_oddIiEEEEEE10hipError_tPvRmT3_T4_T5_T6_T7_T9_mT8_P12ihipStream_tbDpT10_ENKUlT_T0_E_clISt17integral_constantIbLb0EES18_EEDaS13_S14_EUlS13_E_NS1_11comp_targetILNS1_3genE9ELNS1_11target_archE1100ELNS1_3gpuE3ELNS1_3repE0EEENS1_30default_config_static_selectorELNS0_4arch9wavefront6targetE0EEEvT1_: ; @_ZN7rocprim17ROCPRIM_400000_NS6detail17trampoline_kernelINS0_14default_configENS1_25partition_config_selectorILNS1_17partition_subalgoE6EiNS0_10empty_typeEbEEZZNS1_14partition_implILS5_6ELb0ES3_mN6thrust23THRUST_200600_302600_NS6detail15normal_iteratorINSA_10device_ptrIiEEEEPS6_SG_NS0_5tupleIJSF_S6_EEENSH_IJSG_SG_EEES6_PlJNSB_9not_fun_tI6is_oddIiEEEEEE10hipError_tPvRmT3_T4_T5_T6_T7_T9_mT8_P12ihipStream_tbDpT10_ENKUlT_T0_E_clISt17integral_constantIbLb0EES18_EEDaS13_S14_EUlS13_E_NS1_11comp_targetILNS1_3genE9ELNS1_11target_archE1100ELNS1_3gpuE3ELNS1_3repE0EEENS1_30default_config_static_selectorELNS0_4arch9wavefront6targetE0EEEvT1_
; %bb.0:
	.section	.rodata,"a",@progbits
	.p2align	6, 0x0
	.amdhsa_kernel _ZN7rocprim17ROCPRIM_400000_NS6detail17trampoline_kernelINS0_14default_configENS1_25partition_config_selectorILNS1_17partition_subalgoE6EiNS0_10empty_typeEbEEZZNS1_14partition_implILS5_6ELb0ES3_mN6thrust23THRUST_200600_302600_NS6detail15normal_iteratorINSA_10device_ptrIiEEEEPS6_SG_NS0_5tupleIJSF_S6_EEENSH_IJSG_SG_EEES6_PlJNSB_9not_fun_tI6is_oddIiEEEEEE10hipError_tPvRmT3_T4_T5_T6_T7_T9_mT8_P12ihipStream_tbDpT10_ENKUlT_T0_E_clISt17integral_constantIbLb0EES18_EEDaS13_S14_EUlS13_E_NS1_11comp_targetILNS1_3genE9ELNS1_11target_archE1100ELNS1_3gpuE3ELNS1_3repE0EEENS1_30default_config_static_selectorELNS0_4arch9wavefront6targetE0EEEvT1_
		.amdhsa_group_segment_fixed_size 0
		.amdhsa_private_segment_fixed_size 0
		.amdhsa_kernarg_size 112
		.amdhsa_user_sgpr_count 2
		.amdhsa_user_sgpr_dispatch_ptr 0
		.amdhsa_user_sgpr_queue_ptr 0
		.amdhsa_user_sgpr_kernarg_segment_ptr 1
		.amdhsa_user_sgpr_dispatch_id 0
		.amdhsa_user_sgpr_private_segment_size 0
		.amdhsa_wavefront_size32 1
		.amdhsa_uses_dynamic_stack 0
		.amdhsa_enable_private_segment 0
		.amdhsa_system_sgpr_workgroup_id_x 1
		.amdhsa_system_sgpr_workgroup_id_y 0
		.amdhsa_system_sgpr_workgroup_id_z 0
		.amdhsa_system_sgpr_workgroup_info 0
		.amdhsa_system_vgpr_workitem_id 0
		.amdhsa_next_free_vgpr 1
		.amdhsa_next_free_sgpr 1
		.amdhsa_reserve_vcc 0
		.amdhsa_float_round_mode_32 0
		.amdhsa_float_round_mode_16_64 0
		.amdhsa_float_denorm_mode_32 3
		.amdhsa_float_denorm_mode_16_64 3
		.amdhsa_fp16_overflow 0
		.amdhsa_workgroup_processor_mode 1
		.amdhsa_memory_ordered 1
		.amdhsa_forward_progress 1
		.amdhsa_inst_pref_size 0
		.amdhsa_round_robin_scheduling 0
		.amdhsa_exception_fp_ieee_invalid_op 0
		.amdhsa_exception_fp_denorm_src 0
		.amdhsa_exception_fp_ieee_div_zero 0
		.amdhsa_exception_fp_ieee_overflow 0
		.amdhsa_exception_fp_ieee_underflow 0
		.amdhsa_exception_fp_ieee_inexact 0
		.amdhsa_exception_int_div_zero 0
	.end_amdhsa_kernel
	.section	.text._ZN7rocprim17ROCPRIM_400000_NS6detail17trampoline_kernelINS0_14default_configENS1_25partition_config_selectorILNS1_17partition_subalgoE6EiNS0_10empty_typeEbEEZZNS1_14partition_implILS5_6ELb0ES3_mN6thrust23THRUST_200600_302600_NS6detail15normal_iteratorINSA_10device_ptrIiEEEEPS6_SG_NS0_5tupleIJSF_S6_EEENSH_IJSG_SG_EEES6_PlJNSB_9not_fun_tI6is_oddIiEEEEEE10hipError_tPvRmT3_T4_T5_T6_T7_T9_mT8_P12ihipStream_tbDpT10_ENKUlT_T0_E_clISt17integral_constantIbLb0EES18_EEDaS13_S14_EUlS13_E_NS1_11comp_targetILNS1_3genE9ELNS1_11target_archE1100ELNS1_3gpuE3ELNS1_3repE0EEENS1_30default_config_static_selectorELNS0_4arch9wavefront6targetE0EEEvT1_,"axG",@progbits,_ZN7rocprim17ROCPRIM_400000_NS6detail17trampoline_kernelINS0_14default_configENS1_25partition_config_selectorILNS1_17partition_subalgoE6EiNS0_10empty_typeEbEEZZNS1_14partition_implILS5_6ELb0ES3_mN6thrust23THRUST_200600_302600_NS6detail15normal_iteratorINSA_10device_ptrIiEEEEPS6_SG_NS0_5tupleIJSF_S6_EEENSH_IJSG_SG_EEES6_PlJNSB_9not_fun_tI6is_oddIiEEEEEE10hipError_tPvRmT3_T4_T5_T6_T7_T9_mT8_P12ihipStream_tbDpT10_ENKUlT_T0_E_clISt17integral_constantIbLb0EES18_EEDaS13_S14_EUlS13_E_NS1_11comp_targetILNS1_3genE9ELNS1_11target_archE1100ELNS1_3gpuE3ELNS1_3repE0EEENS1_30default_config_static_selectorELNS0_4arch9wavefront6targetE0EEEvT1_,comdat
.Lfunc_end89:
	.size	_ZN7rocprim17ROCPRIM_400000_NS6detail17trampoline_kernelINS0_14default_configENS1_25partition_config_selectorILNS1_17partition_subalgoE6EiNS0_10empty_typeEbEEZZNS1_14partition_implILS5_6ELb0ES3_mN6thrust23THRUST_200600_302600_NS6detail15normal_iteratorINSA_10device_ptrIiEEEEPS6_SG_NS0_5tupleIJSF_S6_EEENSH_IJSG_SG_EEES6_PlJNSB_9not_fun_tI6is_oddIiEEEEEE10hipError_tPvRmT3_T4_T5_T6_T7_T9_mT8_P12ihipStream_tbDpT10_ENKUlT_T0_E_clISt17integral_constantIbLb0EES18_EEDaS13_S14_EUlS13_E_NS1_11comp_targetILNS1_3genE9ELNS1_11target_archE1100ELNS1_3gpuE3ELNS1_3repE0EEENS1_30default_config_static_selectorELNS0_4arch9wavefront6targetE0EEEvT1_, .Lfunc_end89-_ZN7rocprim17ROCPRIM_400000_NS6detail17trampoline_kernelINS0_14default_configENS1_25partition_config_selectorILNS1_17partition_subalgoE6EiNS0_10empty_typeEbEEZZNS1_14partition_implILS5_6ELb0ES3_mN6thrust23THRUST_200600_302600_NS6detail15normal_iteratorINSA_10device_ptrIiEEEEPS6_SG_NS0_5tupleIJSF_S6_EEENSH_IJSG_SG_EEES6_PlJNSB_9not_fun_tI6is_oddIiEEEEEE10hipError_tPvRmT3_T4_T5_T6_T7_T9_mT8_P12ihipStream_tbDpT10_ENKUlT_T0_E_clISt17integral_constantIbLb0EES18_EEDaS13_S14_EUlS13_E_NS1_11comp_targetILNS1_3genE9ELNS1_11target_archE1100ELNS1_3gpuE3ELNS1_3repE0EEENS1_30default_config_static_selectorELNS0_4arch9wavefront6targetE0EEEvT1_
                                        ; -- End function
	.set _ZN7rocprim17ROCPRIM_400000_NS6detail17trampoline_kernelINS0_14default_configENS1_25partition_config_selectorILNS1_17partition_subalgoE6EiNS0_10empty_typeEbEEZZNS1_14partition_implILS5_6ELb0ES3_mN6thrust23THRUST_200600_302600_NS6detail15normal_iteratorINSA_10device_ptrIiEEEEPS6_SG_NS0_5tupleIJSF_S6_EEENSH_IJSG_SG_EEES6_PlJNSB_9not_fun_tI6is_oddIiEEEEEE10hipError_tPvRmT3_T4_T5_T6_T7_T9_mT8_P12ihipStream_tbDpT10_ENKUlT_T0_E_clISt17integral_constantIbLb0EES18_EEDaS13_S14_EUlS13_E_NS1_11comp_targetILNS1_3genE9ELNS1_11target_archE1100ELNS1_3gpuE3ELNS1_3repE0EEENS1_30default_config_static_selectorELNS0_4arch9wavefront6targetE0EEEvT1_.num_vgpr, 0
	.set _ZN7rocprim17ROCPRIM_400000_NS6detail17trampoline_kernelINS0_14default_configENS1_25partition_config_selectorILNS1_17partition_subalgoE6EiNS0_10empty_typeEbEEZZNS1_14partition_implILS5_6ELb0ES3_mN6thrust23THRUST_200600_302600_NS6detail15normal_iteratorINSA_10device_ptrIiEEEEPS6_SG_NS0_5tupleIJSF_S6_EEENSH_IJSG_SG_EEES6_PlJNSB_9not_fun_tI6is_oddIiEEEEEE10hipError_tPvRmT3_T4_T5_T6_T7_T9_mT8_P12ihipStream_tbDpT10_ENKUlT_T0_E_clISt17integral_constantIbLb0EES18_EEDaS13_S14_EUlS13_E_NS1_11comp_targetILNS1_3genE9ELNS1_11target_archE1100ELNS1_3gpuE3ELNS1_3repE0EEENS1_30default_config_static_selectorELNS0_4arch9wavefront6targetE0EEEvT1_.num_agpr, 0
	.set _ZN7rocprim17ROCPRIM_400000_NS6detail17trampoline_kernelINS0_14default_configENS1_25partition_config_selectorILNS1_17partition_subalgoE6EiNS0_10empty_typeEbEEZZNS1_14partition_implILS5_6ELb0ES3_mN6thrust23THRUST_200600_302600_NS6detail15normal_iteratorINSA_10device_ptrIiEEEEPS6_SG_NS0_5tupleIJSF_S6_EEENSH_IJSG_SG_EEES6_PlJNSB_9not_fun_tI6is_oddIiEEEEEE10hipError_tPvRmT3_T4_T5_T6_T7_T9_mT8_P12ihipStream_tbDpT10_ENKUlT_T0_E_clISt17integral_constantIbLb0EES18_EEDaS13_S14_EUlS13_E_NS1_11comp_targetILNS1_3genE9ELNS1_11target_archE1100ELNS1_3gpuE3ELNS1_3repE0EEENS1_30default_config_static_selectorELNS0_4arch9wavefront6targetE0EEEvT1_.numbered_sgpr, 0
	.set _ZN7rocprim17ROCPRIM_400000_NS6detail17trampoline_kernelINS0_14default_configENS1_25partition_config_selectorILNS1_17partition_subalgoE6EiNS0_10empty_typeEbEEZZNS1_14partition_implILS5_6ELb0ES3_mN6thrust23THRUST_200600_302600_NS6detail15normal_iteratorINSA_10device_ptrIiEEEEPS6_SG_NS0_5tupleIJSF_S6_EEENSH_IJSG_SG_EEES6_PlJNSB_9not_fun_tI6is_oddIiEEEEEE10hipError_tPvRmT3_T4_T5_T6_T7_T9_mT8_P12ihipStream_tbDpT10_ENKUlT_T0_E_clISt17integral_constantIbLb0EES18_EEDaS13_S14_EUlS13_E_NS1_11comp_targetILNS1_3genE9ELNS1_11target_archE1100ELNS1_3gpuE3ELNS1_3repE0EEENS1_30default_config_static_selectorELNS0_4arch9wavefront6targetE0EEEvT1_.num_named_barrier, 0
	.set _ZN7rocprim17ROCPRIM_400000_NS6detail17trampoline_kernelINS0_14default_configENS1_25partition_config_selectorILNS1_17partition_subalgoE6EiNS0_10empty_typeEbEEZZNS1_14partition_implILS5_6ELb0ES3_mN6thrust23THRUST_200600_302600_NS6detail15normal_iteratorINSA_10device_ptrIiEEEEPS6_SG_NS0_5tupleIJSF_S6_EEENSH_IJSG_SG_EEES6_PlJNSB_9not_fun_tI6is_oddIiEEEEEE10hipError_tPvRmT3_T4_T5_T6_T7_T9_mT8_P12ihipStream_tbDpT10_ENKUlT_T0_E_clISt17integral_constantIbLb0EES18_EEDaS13_S14_EUlS13_E_NS1_11comp_targetILNS1_3genE9ELNS1_11target_archE1100ELNS1_3gpuE3ELNS1_3repE0EEENS1_30default_config_static_selectorELNS0_4arch9wavefront6targetE0EEEvT1_.private_seg_size, 0
	.set _ZN7rocprim17ROCPRIM_400000_NS6detail17trampoline_kernelINS0_14default_configENS1_25partition_config_selectorILNS1_17partition_subalgoE6EiNS0_10empty_typeEbEEZZNS1_14partition_implILS5_6ELb0ES3_mN6thrust23THRUST_200600_302600_NS6detail15normal_iteratorINSA_10device_ptrIiEEEEPS6_SG_NS0_5tupleIJSF_S6_EEENSH_IJSG_SG_EEES6_PlJNSB_9not_fun_tI6is_oddIiEEEEEE10hipError_tPvRmT3_T4_T5_T6_T7_T9_mT8_P12ihipStream_tbDpT10_ENKUlT_T0_E_clISt17integral_constantIbLb0EES18_EEDaS13_S14_EUlS13_E_NS1_11comp_targetILNS1_3genE9ELNS1_11target_archE1100ELNS1_3gpuE3ELNS1_3repE0EEENS1_30default_config_static_selectorELNS0_4arch9wavefront6targetE0EEEvT1_.uses_vcc, 0
	.set _ZN7rocprim17ROCPRIM_400000_NS6detail17trampoline_kernelINS0_14default_configENS1_25partition_config_selectorILNS1_17partition_subalgoE6EiNS0_10empty_typeEbEEZZNS1_14partition_implILS5_6ELb0ES3_mN6thrust23THRUST_200600_302600_NS6detail15normal_iteratorINSA_10device_ptrIiEEEEPS6_SG_NS0_5tupleIJSF_S6_EEENSH_IJSG_SG_EEES6_PlJNSB_9not_fun_tI6is_oddIiEEEEEE10hipError_tPvRmT3_T4_T5_T6_T7_T9_mT8_P12ihipStream_tbDpT10_ENKUlT_T0_E_clISt17integral_constantIbLb0EES18_EEDaS13_S14_EUlS13_E_NS1_11comp_targetILNS1_3genE9ELNS1_11target_archE1100ELNS1_3gpuE3ELNS1_3repE0EEENS1_30default_config_static_selectorELNS0_4arch9wavefront6targetE0EEEvT1_.uses_flat_scratch, 0
	.set _ZN7rocprim17ROCPRIM_400000_NS6detail17trampoline_kernelINS0_14default_configENS1_25partition_config_selectorILNS1_17partition_subalgoE6EiNS0_10empty_typeEbEEZZNS1_14partition_implILS5_6ELb0ES3_mN6thrust23THRUST_200600_302600_NS6detail15normal_iteratorINSA_10device_ptrIiEEEEPS6_SG_NS0_5tupleIJSF_S6_EEENSH_IJSG_SG_EEES6_PlJNSB_9not_fun_tI6is_oddIiEEEEEE10hipError_tPvRmT3_T4_T5_T6_T7_T9_mT8_P12ihipStream_tbDpT10_ENKUlT_T0_E_clISt17integral_constantIbLb0EES18_EEDaS13_S14_EUlS13_E_NS1_11comp_targetILNS1_3genE9ELNS1_11target_archE1100ELNS1_3gpuE3ELNS1_3repE0EEENS1_30default_config_static_selectorELNS0_4arch9wavefront6targetE0EEEvT1_.has_dyn_sized_stack, 0
	.set _ZN7rocprim17ROCPRIM_400000_NS6detail17trampoline_kernelINS0_14default_configENS1_25partition_config_selectorILNS1_17partition_subalgoE6EiNS0_10empty_typeEbEEZZNS1_14partition_implILS5_6ELb0ES3_mN6thrust23THRUST_200600_302600_NS6detail15normal_iteratorINSA_10device_ptrIiEEEEPS6_SG_NS0_5tupleIJSF_S6_EEENSH_IJSG_SG_EEES6_PlJNSB_9not_fun_tI6is_oddIiEEEEEE10hipError_tPvRmT3_T4_T5_T6_T7_T9_mT8_P12ihipStream_tbDpT10_ENKUlT_T0_E_clISt17integral_constantIbLb0EES18_EEDaS13_S14_EUlS13_E_NS1_11comp_targetILNS1_3genE9ELNS1_11target_archE1100ELNS1_3gpuE3ELNS1_3repE0EEENS1_30default_config_static_selectorELNS0_4arch9wavefront6targetE0EEEvT1_.has_recursion, 0
	.set _ZN7rocprim17ROCPRIM_400000_NS6detail17trampoline_kernelINS0_14default_configENS1_25partition_config_selectorILNS1_17partition_subalgoE6EiNS0_10empty_typeEbEEZZNS1_14partition_implILS5_6ELb0ES3_mN6thrust23THRUST_200600_302600_NS6detail15normal_iteratorINSA_10device_ptrIiEEEEPS6_SG_NS0_5tupleIJSF_S6_EEENSH_IJSG_SG_EEES6_PlJNSB_9not_fun_tI6is_oddIiEEEEEE10hipError_tPvRmT3_T4_T5_T6_T7_T9_mT8_P12ihipStream_tbDpT10_ENKUlT_T0_E_clISt17integral_constantIbLb0EES18_EEDaS13_S14_EUlS13_E_NS1_11comp_targetILNS1_3genE9ELNS1_11target_archE1100ELNS1_3gpuE3ELNS1_3repE0EEENS1_30default_config_static_selectorELNS0_4arch9wavefront6targetE0EEEvT1_.has_indirect_call, 0
	.section	.AMDGPU.csdata,"",@progbits
; Kernel info:
; codeLenInByte = 0
; TotalNumSgprs: 0
; NumVgprs: 0
; ScratchSize: 0
; MemoryBound: 0
; FloatMode: 240
; IeeeMode: 1
; LDSByteSize: 0 bytes/workgroup (compile time only)
; SGPRBlocks: 0
; VGPRBlocks: 0
; NumSGPRsForWavesPerEU: 1
; NumVGPRsForWavesPerEU: 1
; Occupancy: 16
; WaveLimiterHint : 0
; COMPUTE_PGM_RSRC2:SCRATCH_EN: 0
; COMPUTE_PGM_RSRC2:USER_SGPR: 2
; COMPUTE_PGM_RSRC2:TRAP_HANDLER: 0
; COMPUTE_PGM_RSRC2:TGID_X_EN: 1
; COMPUTE_PGM_RSRC2:TGID_Y_EN: 0
; COMPUTE_PGM_RSRC2:TGID_Z_EN: 0
; COMPUTE_PGM_RSRC2:TIDIG_COMP_CNT: 0
	.section	.text._ZN7rocprim17ROCPRIM_400000_NS6detail17trampoline_kernelINS0_14default_configENS1_25partition_config_selectorILNS1_17partition_subalgoE6EiNS0_10empty_typeEbEEZZNS1_14partition_implILS5_6ELb0ES3_mN6thrust23THRUST_200600_302600_NS6detail15normal_iteratorINSA_10device_ptrIiEEEEPS6_SG_NS0_5tupleIJSF_S6_EEENSH_IJSG_SG_EEES6_PlJNSB_9not_fun_tI6is_oddIiEEEEEE10hipError_tPvRmT3_T4_T5_T6_T7_T9_mT8_P12ihipStream_tbDpT10_ENKUlT_T0_E_clISt17integral_constantIbLb0EES18_EEDaS13_S14_EUlS13_E_NS1_11comp_targetILNS1_3genE8ELNS1_11target_archE1030ELNS1_3gpuE2ELNS1_3repE0EEENS1_30default_config_static_selectorELNS0_4arch9wavefront6targetE0EEEvT1_,"axG",@progbits,_ZN7rocprim17ROCPRIM_400000_NS6detail17trampoline_kernelINS0_14default_configENS1_25partition_config_selectorILNS1_17partition_subalgoE6EiNS0_10empty_typeEbEEZZNS1_14partition_implILS5_6ELb0ES3_mN6thrust23THRUST_200600_302600_NS6detail15normal_iteratorINSA_10device_ptrIiEEEEPS6_SG_NS0_5tupleIJSF_S6_EEENSH_IJSG_SG_EEES6_PlJNSB_9not_fun_tI6is_oddIiEEEEEE10hipError_tPvRmT3_T4_T5_T6_T7_T9_mT8_P12ihipStream_tbDpT10_ENKUlT_T0_E_clISt17integral_constantIbLb0EES18_EEDaS13_S14_EUlS13_E_NS1_11comp_targetILNS1_3genE8ELNS1_11target_archE1030ELNS1_3gpuE2ELNS1_3repE0EEENS1_30default_config_static_selectorELNS0_4arch9wavefront6targetE0EEEvT1_,comdat
	.protected	_ZN7rocprim17ROCPRIM_400000_NS6detail17trampoline_kernelINS0_14default_configENS1_25partition_config_selectorILNS1_17partition_subalgoE6EiNS0_10empty_typeEbEEZZNS1_14partition_implILS5_6ELb0ES3_mN6thrust23THRUST_200600_302600_NS6detail15normal_iteratorINSA_10device_ptrIiEEEEPS6_SG_NS0_5tupleIJSF_S6_EEENSH_IJSG_SG_EEES6_PlJNSB_9not_fun_tI6is_oddIiEEEEEE10hipError_tPvRmT3_T4_T5_T6_T7_T9_mT8_P12ihipStream_tbDpT10_ENKUlT_T0_E_clISt17integral_constantIbLb0EES18_EEDaS13_S14_EUlS13_E_NS1_11comp_targetILNS1_3genE8ELNS1_11target_archE1030ELNS1_3gpuE2ELNS1_3repE0EEENS1_30default_config_static_selectorELNS0_4arch9wavefront6targetE0EEEvT1_ ; -- Begin function _ZN7rocprim17ROCPRIM_400000_NS6detail17trampoline_kernelINS0_14default_configENS1_25partition_config_selectorILNS1_17partition_subalgoE6EiNS0_10empty_typeEbEEZZNS1_14partition_implILS5_6ELb0ES3_mN6thrust23THRUST_200600_302600_NS6detail15normal_iteratorINSA_10device_ptrIiEEEEPS6_SG_NS0_5tupleIJSF_S6_EEENSH_IJSG_SG_EEES6_PlJNSB_9not_fun_tI6is_oddIiEEEEEE10hipError_tPvRmT3_T4_T5_T6_T7_T9_mT8_P12ihipStream_tbDpT10_ENKUlT_T0_E_clISt17integral_constantIbLb0EES18_EEDaS13_S14_EUlS13_E_NS1_11comp_targetILNS1_3genE8ELNS1_11target_archE1030ELNS1_3gpuE2ELNS1_3repE0EEENS1_30default_config_static_selectorELNS0_4arch9wavefront6targetE0EEEvT1_
	.globl	_ZN7rocprim17ROCPRIM_400000_NS6detail17trampoline_kernelINS0_14default_configENS1_25partition_config_selectorILNS1_17partition_subalgoE6EiNS0_10empty_typeEbEEZZNS1_14partition_implILS5_6ELb0ES3_mN6thrust23THRUST_200600_302600_NS6detail15normal_iteratorINSA_10device_ptrIiEEEEPS6_SG_NS0_5tupleIJSF_S6_EEENSH_IJSG_SG_EEES6_PlJNSB_9not_fun_tI6is_oddIiEEEEEE10hipError_tPvRmT3_T4_T5_T6_T7_T9_mT8_P12ihipStream_tbDpT10_ENKUlT_T0_E_clISt17integral_constantIbLb0EES18_EEDaS13_S14_EUlS13_E_NS1_11comp_targetILNS1_3genE8ELNS1_11target_archE1030ELNS1_3gpuE2ELNS1_3repE0EEENS1_30default_config_static_selectorELNS0_4arch9wavefront6targetE0EEEvT1_
	.p2align	8
	.type	_ZN7rocprim17ROCPRIM_400000_NS6detail17trampoline_kernelINS0_14default_configENS1_25partition_config_selectorILNS1_17partition_subalgoE6EiNS0_10empty_typeEbEEZZNS1_14partition_implILS5_6ELb0ES3_mN6thrust23THRUST_200600_302600_NS6detail15normal_iteratorINSA_10device_ptrIiEEEEPS6_SG_NS0_5tupleIJSF_S6_EEENSH_IJSG_SG_EEES6_PlJNSB_9not_fun_tI6is_oddIiEEEEEE10hipError_tPvRmT3_T4_T5_T6_T7_T9_mT8_P12ihipStream_tbDpT10_ENKUlT_T0_E_clISt17integral_constantIbLb0EES18_EEDaS13_S14_EUlS13_E_NS1_11comp_targetILNS1_3genE8ELNS1_11target_archE1030ELNS1_3gpuE2ELNS1_3repE0EEENS1_30default_config_static_selectorELNS0_4arch9wavefront6targetE0EEEvT1_,@function
_ZN7rocprim17ROCPRIM_400000_NS6detail17trampoline_kernelINS0_14default_configENS1_25partition_config_selectorILNS1_17partition_subalgoE6EiNS0_10empty_typeEbEEZZNS1_14partition_implILS5_6ELb0ES3_mN6thrust23THRUST_200600_302600_NS6detail15normal_iteratorINSA_10device_ptrIiEEEEPS6_SG_NS0_5tupleIJSF_S6_EEENSH_IJSG_SG_EEES6_PlJNSB_9not_fun_tI6is_oddIiEEEEEE10hipError_tPvRmT3_T4_T5_T6_T7_T9_mT8_P12ihipStream_tbDpT10_ENKUlT_T0_E_clISt17integral_constantIbLb0EES18_EEDaS13_S14_EUlS13_E_NS1_11comp_targetILNS1_3genE8ELNS1_11target_archE1030ELNS1_3gpuE2ELNS1_3repE0EEENS1_30default_config_static_selectorELNS0_4arch9wavefront6targetE0EEEvT1_: ; @_ZN7rocprim17ROCPRIM_400000_NS6detail17trampoline_kernelINS0_14default_configENS1_25partition_config_selectorILNS1_17partition_subalgoE6EiNS0_10empty_typeEbEEZZNS1_14partition_implILS5_6ELb0ES3_mN6thrust23THRUST_200600_302600_NS6detail15normal_iteratorINSA_10device_ptrIiEEEEPS6_SG_NS0_5tupleIJSF_S6_EEENSH_IJSG_SG_EEES6_PlJNSB_9not_fun_tI6is_oddIiEEEEEE10hipError_tPvRmT3_T4_T5_T6_T7_T9_mT8_P12ihipStream_tbDpT10_ENKUlT_T0_E_clISt17integral_constantIbLb0EES18_EEDaS13_S14_EUlS13_E_NS1_11comp_targetILNS1_3genE8ELNS1_11target_archE1030ELNS1_3gpuE2ELNS1_3repE0EEENS1_30default_config_static_selectorELNS0_4arch9wavefront6targetE0EEEvT1_
; %bb.0:
	.section	.rodata,"a",@progbits
	.p2align	6, 0x0
	.amdhsa_kernel _ZN7rocprim17ROCPRIM_400000_NS6detail17trampoline_kernelINS0_14default_configENS1_25partition_config_selectorILNS1_17partition_subalgoE6EiNS0_10empty_typeEbEEZZNS1_14partition_implILS5_6ELb0ES3_mN6thrust23THRUST_200600_302600_NS6detail15normal_iteratorINSA_10device_ptrIiEEEEPS6_SG_NS0_5tupleIJSF_S6_EEENSH_IJSG_SG_EEES6_PlJNSB_9not_fun_tI6is_oddIiEEEEEE10hipError_tPvRmT3_T4_T5_T6_T7_T9_mT8_P12ihipStream_tbDpT10_ENKUlT_T0_E_clISt17integral_constantIbLb0EES18_EEDaS13_S14_EUlS13_E_NS1_11comp_targetILNS1_3genE8ELNS1_11target_archE1030ELNS1_3gpuE2ELNS1_3repE0EEENS1_30default_config_static_selectorELNS0_4arch9wavefront6targetE0EEEvT1_
		.amdhsa_group_segment_fixed_size 0
		.amdhsa_private_segment_fixed_size 0
		.amdhsa_kernarg_size 112
		.amdhsa_user_sgpr_count 2
		.amdhsa_user_sgpr_dispatch_ptr 0
		.amdhsa_user_sgpr_queue_ptr 0
		.amdhsa_user_sgpr_kernarg_segment_ptr 1
		.amdhsa_user_sgpr_dispatch_id 0
		.amdhsa_user_sgpr_private_segment_size 0
		.amdhsa_wavefront_size32 1
		.amdhsa_uses_dynamic_stack 0
		.amdhsa_enable_private_segment 0
		.amdhsa_system_sgpr_workgroup_id_x 1
		.amdhsa_system_sgpr_workgroup_id_y 0
		.amdhsa_system_sgpr_workgroup_id_z 0
		.amdhsa_system_sgpr_workgroup_info 0
		.amdhsa_system_vgpr_workitem_id 0
		.amdhsa_next_free_vgpr 1
		.amdhsa_next_free_sgpr 1
		.amdhsa_reserve_vcc 0
		.amdhsa_float_round_mode_32 0
		.amdhsa_float_round_mode_16_64 0
		.amdhsa_float_denorm_mode_32 3
		.amdhsa_float_denorm_mode_16_64 3
		.amdhsa_fp16_overflow 0
		.amdhsa_workgroup_processor_mode 1
		.amdhsa_memory_ordered 1
		.amdhsa_forward_progress 1
		.amdhsa_inst_pref_size 0
		.amdhsa_round_robin_scheduling 0
		.amdhsa_exception_fp_ieee_invalid_op 0
		.amdhsa_exception_fp_denorm_src 0
		.amdhsa_exception_fp_ieee_div_zero 0
		.amdhsa_exception_fp_ieee_overflow 0
		.amdhsa_exception_fp_ieee_underflow 0
		.amdhsa_exception_fp_ieee_inexact 0
		.amdhsa_exception_int_div_zero 0
	.end_amdhsa_kernel
	.section	.text._ZN7rocprim17ROCPRIM_400000_NS6detail17trampoline_kernelINS0_14default_configENS1_25partition_config_selectorILNS1_17partition_subalgoE6EiNS0_10empty_typeEbEEZZNS1_14partition_implILS5_6ELb0ES3_mN6thrust23THRUST_200600_302600_NS6detail15normal_iteratorINSA_10device_ptrIiEEEEPS6_SG_NS0_5tupleIJSF_S6_EEENSH_IJSG_SG_EEES6_PlJNSB_9not_fun_tI6is_oddIiEEEEEE10hipError_tPvRmT3_T4_T5_T6_T7_T9_mT8_P12ihipStream_tbDpT10_ENKUlT_T0_E_clISt17integral_constantIbLb0EES18_EEDaS13_S14_EUlS13_E_NS1_11comp_targetILNS1_3genE8ELNS1_11target_archE1030ELNS1_3gpuE2ELNS1_3repE0EEENS1_30default_config_static_selectorELNS0_4arch9wavefront6targetE0EEEvT1_,"axG",@progbits,_ZN7rocprim17ROCPRIM_400000_NS6detail17trampoline_kernelINS0_14default_configENS1_25partition_config_selectorILNS1_17partition_subalgoE6EiNS0_10empty_typeEbEEZZNS1_14partition_implILS5_6ELb0ES3_mN6thrust23THRUST_200600_302600_NS6detail15normal_iteratorINSA_10device_ptrIiEEEEPS6_SG_NS0_5tupleIJSF_S6_EEENSH_IJSG_SG_EEES6_PlJNSB_9not_fun_tI6is_oddIiEEEEEE10hipError_tPvRmT3_T4_T5_T6_T7_T9_mT8_P12ihipStream_tbDpT10_ENKUlT_T0_E_clISt17integral_constantIbLb0EES18_EEDaS13_S14_EUlS13_E_NS1_11comp_targetILNS1_3genE8ELNS1_11target_archE1030ELNS1_3gpuE2ELNS1_3repE0EEENS1_30default_config_static_selectorELNS0_4arch9wavefront6targetE0EEEvT1_,comdat
.Lfunc_end90:
	.size	_ZN7rocprim17ROCPRIM_400000_NS6detail17trampoline_kernelINS0_14default_configENS1_25partition_config_selectorILNS1_17partition_subalgoE6EiNS0_10empty_typeEbEEZZNS1_14partition_implILS5_6ELb0ES3_mN6thrust23THRUST_200600_302600_NS6detail15normal_iteratorINSA_10device_ptrIiEEEEPS6_SG_NS0_5tupleIJSF_S6_EEENSH_IJSG_SG_EEES6_PlJNSB_9not_fun_tI6is_oddIiEEEEEE10hipError_tPvRmT3_T4_T5_T6_T7_T9_mT8_P12ihipStream_tbDpT10_ENKUlT_T0_E_clISt17integral_constantIbLb0EES18_EEDaS13_S14_EUlS13_E_NS1_11comp_targetILNS1_3genE8ELNS1_11target_archE1030ELNS1_3gpuE2ELNS1_3repE0EEENS1_30default_config_static_selectorELNS0_4arch9wavefront6targetE0EEEvT1_, .Lfunc_end90-_ZN7rocprim17ROCPRIM_400000_NS6detail17trampoline_kernelINS0_14default_configENS1_25partition_config_selectorILNS1_17partition_subalgoE6EiNS0_10empty_typeEbEEZZNS1_14partition_implILS5_6ELb0ES3_mN6thrust23THRUST_200600_302600_NS6detail15normal_iteratorINSA_10device_ptrIiEEEEPS6_SG_NS0_5tupleIJSF_S6_EEENSH_IJSG_SG_EEES6_PlJNSB_9not_fun_tI6is_oddIiEEEEEE10hipError_tPvRmT3_T4_T5_T6_T7_T9_mT8_P12ihipStream_tbDpT10_ENKUlT_T0_E_clISt17integral_constantIbLb0EES18_EEDaS13_S14_EUlS13_E_NS1_11comp_targetILNS1_3genE8ELNS1_11target_archE1030ELNS1_3gpuE2ELNS1_3repE0EEENS1_30default_config_static_selectorELNS0_4arch9wavefront6targetE0EEEvT1_
                                        ; -- End function
	.set _ZN7rocprim17ROCPRIM_400000_NS6detail17trampoline_kernelINS0_14default_configENS1_25partition_config_selectorILNS1_17partition_subalgoE6EiNS0_10empty_typeEbEEZZNS1_14partition_implILS5_6ELb0ES3_mN6thrust23THRUST_200600_302600_NS6detail15normal_iteratorINSA_10device_ptrIiEEEEPS6_SG_NS0_5tupleIJSF_S6_EEENSH_IJSG_SG_EEES6_PlJNSB_9not_fun_tI6is_oddIiEEEEEE10hipError_tPvRmT3_T4_T5_T6_T7_T9_mT8_P12ihipStream_tbDpT10_ENKUlT_T0_E_clISt17integral_constantIbLb0EES18_EEDaS13_S14_EUlS13_E_NS1_11comp_targetILNS1_3genE8ELNS1_11target_archE1030ELNS1_3gpuE2ELNS1_3repE0EEENS1_30default_config_static_selectorELNS0_4arch9wavefront6targetE0EEEvT1_.num_vgpr, 0
	.set _ZN7rocprim17ROCPRIM_400000_NS6detail17trampoline_kernelINS0_14default_configENS1_25partition_config_selectorILNS1_17partition_subalgoE6EiNS0_10empty_typeEbEEZZNS1_14partition_implILS5_6ELb0ES3_mN6thrust23THRUST_200600_302600_NS6detail15normal_iteratorINSA_10device_ptrIiEEEEPS6_SG_NS0_5tupleIJSF_S6_EEENSH_IJSG_SG_EEES6_PlJNSB_9not_fun_tI6is_oddIiEEEEEE10hipError_tPvRmT3_T4_T5_T6_T7_T9_mT8_P12ihipStream_tbDpT10_ENKUlT_T0_E_clISt17integral_constantIbLb0EES18_EEDaS13_S14_EUlS13_E_NS1_11comp_targetILNS1_3genE8ELNS1_11target_archE1030ELNS1_3gpuE2ELNS1_3repE0EEENS1_30default_config_static_selectorELNS0_4arch9wavefront6targetE0EEEvT1_.num_agpr, 0
	.set _ZN7rocprim17ROCPRIM_400000_NS6detail17trampoline_kernelINS0_14default_configENS1_25partition_config_selectorILNS1_17partition_subalgoE6EiNS0_10empty_typeEbEEZZNS1_14partition_implILS5_6ELb0ES3_mN6thrust23THRUST_200600_302600_NS6detail15normal_iteratorINSA_10device_ptrIiEEEEPS6_SG_NS0_5tupleIJSF_S6_EEENSH_IJSG_SG_EEES6_PlJNSB_9not_fun_tI6is_oddIiEEEEEE10hipError_tPvRmT3_T4_T5_T6_T7_T9_mT8_P12ihipStream_tbDpT10_ENKUlT_T0_E_clISt17integral_constantIbLb0EES18_EEDaS13_S14_EUlS13_E_NS1_11comp_targetILNS1_3genE8ELNS1_11target_archE1030ELNS1_3gpuE2ELNS1_3repE0EEENS1_30default_config_static_selectorELNS0_4arch9wavefront6targetE0EEEvT1_.numbered_sgpr, 0
	.set _ZN7rocprim17ROCPRIM_400000_NS6detail17trampoline_kernelINS0_14default_configENS1_25partition_config_selectorILNS1_17partition_subalgoE6EiNS0_10empty_typeEbEEZZNS1_14partition_implILS5_6ELb0ES3_mN6thrust23THRUST_200600_302600_NS6detail15normal_iteratorINSA_10device_ptrIiEEEEPS6_SG_NS0_5tupleIJSF_S6_EEENSH_IJSG_SG_EEES6_PlJNSB_9not_fun_tI6is_oddIiEEEEEE10hipError_tPvRmT3_T4_T5_T6_T7_T9_mT8_P12ihipStream_tbDpT10_ENKUlT_T0_E_clISt17integral_constantIbLb0EES18_EEDaS13_S14_EUlS13_E_NS1_11comp_targetILNS1_3genE8ELNS1_11target_archE1030ELNS1_3gpuE2ELNS1_3repE0EEENS1_30default_config_static_selectorELNS0_4arch9wavefront6targetE0EEEvT1_.num_named_barrier, 0
	.set _ZN7rocprim17ROCPRIM_400000_NS6detail17trampoline_kernelINS0_14default_configENS1_25partition_config_selectorILNS1_17partition_subalgoE6EiNS0_10empty_typeEbEEZZNS1_14partition_implILS5_6ELb0ES3_mN6thrust23THRUST_200600_302600_NS6detail15normal_iteratorINSA_10device_ptrIiEEEEPS6_SG_NS0_5tupleIJSF_S6_EEENSH_IJSG_SG_EEES6_PlJNSB_9not_fun_tI6is_oddIiEEEEEE10hipError_tPvRmT3_T4_T5_T6_T7_T9_mT8_P12ihipStream_tbDpT10_ENKUlT_T0_E_clISt17integral_constantIbLb0EES18_EEDaS13_S14_EUlS13_E_NS1_11comp_targetILNS1_3genE8ELNS1_11target_archE1030ELNS1_3gpuE2ELNS1_3repE0EEENS1_30default_config_static_selectorELNS0_4arch9wavefront6targetE0EEEvT1_.private_seg_size, 0
	.set _ZN7rocprim17ROCPRIM_400000_NS6detail17trampoline_kernelINS0_14default_configENS1_25partition_config_selectorILNS1_17partition_subalgoE6EiNS0_10empty_typeEbEEZZNS1_14partition_implILS5_6ELb0ES3_mN6thrust23THRUST_200600_302600_NS6detail15normal_iteratorINSA_10device_ptrIiEEEEPS6_SG_NS0_5tupleIJSF_S6_EEENSH_IJSG_SG_EEES6_PlJNSB_9not_fun_tI6is_oddIiEEEEEE10hipError_tPvRmT3_T4_T5_T6_T7_T9_mT8_P12ihipStream_tbDpT10_ENKUlT_T0_E_clISt17integral_constantIbLb0EES18_EEDaS13_S14_EUlS13_E_NS1_11comp_targetILNS1_3genE8ELNS1_11target_archE1030ELNS1_3gpuE2ELNS1_3repE0EEENS1_30default_config_static_selectorELNS0_4arch9wavefront6targetE0EEEvT1_.uses_vcc, 0
	.set _ZN7rocprim17ROCPRIM_400000_NS6detail17trampoline_kernelINS0_14default_configENS1_25partition_config_selectorILNS1_17partition_subalgoE6EiNS0_10empty_typeEbEEZZNS1_14partition_implILS5_6ELb0ES3_mN6thrust23THRUST_200600_302600_NS6detail15normal_iteratorINSA_10device_ptrIiEEEEPS6_SG_NS0_5tupleIJSF_S6_EEENSH_IJSG_SG_EEES6_PlJNSB_9not_fun_tI6is_oddIiEEEEEE10hipError_tPvRmT3_T4_T5_T6_T7_T9_mT8_P12ihipStream_tbDpT10_ENKUlT_T0_E_clISt17integral_constantIbLb0EES18_EEDaS13_S14_EUlS13_E_NS1_11comp_targetILNS1_3genE8ELNS1_11target_archE1030ELNS1_3gpuE2ELNS1_3repE0EEENS1_30default_config_static_selectorELNS0_4arch9wavefront6targetE0EEEvT1_.uses_flat_scratch, 0
	.set _ZN7rocprim17ROCPRIM_400000_NS6detail17trampoline_kernelINS0_14default_configENS1_25partition_config_selectorILNS1_17partition_subalgoE6EiNS0_10empty_typeEbEEZZNS1_14partition_implILS5_6ELb0ES3_mN6thrust23THRUST_200600_302600_NS6detail15normal_iteratorINSA_10device_ptrIiEEEEPS6_SG_NS0_5tupleIJSF_S6_EEENSH_IJSG_SG_EEES6_PlJNSB_9not_fun_tI6is_oddIiEEEEEE10hipError_tPvRmT3_T4_T5_T6_T7_T9_mT8_P12ihipStream_tbDpT10_ENKUlT_T0_E_clISt17integral_constantIbLb0EES18_EEDaS13_S14_EUlS13_E_NS1_11comp_targetILNS1_3genE8ELNS1_11target_archE1030ELNS1_3gpuE2ELNS1_3repE0EEENS1_30default_config_static_selectorELNS0_4arch9wavefront6targetE0EEEvT1_.has_dyn_sized_stack, 0
	.set _ZN7rocprim17ROCPRIM_400000_NS6detail17trampoline_kernelINS0_14default_configENS1_25partition_config_selectorILNS1_17partition_subalgoE6EiNS0_10empty_typeEbEEZZNS1_14partition_implILS5_6ELb0ES3_mN6thrust23THRUST_200600_302600_NS6detail15normal_iteratorINSA_10device_ptrIiEEEEPS6_SG_NS0_5tupleIJSF_S6_EEENSH_IJSG_SG_EEES6_PlJNSB_9not_fun_tI6is_oddIiEEEEEE10hipError_tPvRmT3_T4_T5_T6_T7_T9_mT8_P12ihipStream_tbDpT10_ENKUlT_T0_E_clISt17integral_constantIbLb0EES18_EEDaS13_S14_EUlS13_E_NS1_11comp_targetILNS1_3genE8ELNS1_11target_archE1030ELNS1_3gpuE2ELNS1_3repE0EEENS1_30default_config_static_selectorELNS0_4arch9wavefront6targetE0EEEvT1_.has_recursion, 0
	.set _ZN7rocprim17ROCPRIM_400000_NS6detail17trampoline_kernelINS0_14default_configENS1_25partition_config_selectorILNS1_17partition_subalgoE6EiNS0_10empty_typeEbEEZZNS1_14partition_implILS5_6ELb0ES3_mN6thrust23THRUST_200600_302600_NS6detail15normal_iteratorINSA_10device_ptrIiEEEEPS6_SG_NS0_5tupleIJSF_S6_EEENSH_IJSG_SG_EEES6_PlJNSB_9not_fun_tI6is_oddIiEEEEEE10hipError_tPvRmT3_T4_T5_T6_T7_T9_mT8_P12ihipStream_tbDpT10_ENKUlT_T0_E_clISt17integral_constantIbLb0EES18_EEDaS13_S14_EUlS13_E_NS1_11comp_targetILNS1_3genE8ELNS1_11target_archE1030ELNS1_3gpuE2ELNS1_3repE0EEENS1_30default_config_static_selectorELNS0_4arch9wavefront6targetE0EEEvT1_.has_indirect_call, 0
	.section	.AMDGPU.csdata,"",@progbits
; Kernel info:
; codeLenInByte = 0
; TotalNumSgprs: 0
; NumVgprs: 0
; ScratchSize: 0
; MemoryBound: 0
; FloatMode: 240
; IeeeMode: 1
; LDSByteSize: 0 bytes/workgroup (compile time only)
; SGPRBlocks: 0
; VGPRBlocks: 0
; NumSGPRsForWavesPerEU: 1
; NumVGPRsForWavesPerEU: 1
; Occupancy: 16
; WaveLimiterHint : 0
; COMPUTE_PGM_RSRC2:SCRATCH_EN: 0
; COMPUTE_PGM_RSRC2:USER_SGPR: 2
; COMPUTE_PGM_RSRC2:TRAP_HANDLER: 0
; COMPUTE_PGM_RSRC2:TGID_X_EN: 1
; COMPUTE_PGM_RSRC2:TGID_Y_EN: 0
; COMPUTE_PGM_RSRC2:TGID_Z_EN: 0
; COMPUTE_PGM_RSRC2:TIDIG_COMP_CNT: 0
	.section	.text._ZN7rocprim17ROCPRIM_400000_NS6detail17trampoline_kernelINS0_14default_configENS1_25partition_config_selectorILNS1_17partition_subalgoE6EiNS0_10empty_typeEbEEZZNS1_14partition_implILS5_6ELb0ES3_mN6thrust23THRUST_200600_302600_NS6detail15normal_iteratorINSA_10device_ptrIiEEEEPS6_SG_NS0_5tupleIJSF_S6_EEENSH_IJSG_SG_EEES6_PlJNSB_9not_fun_tI6is_oddIiEEEEEE10hipError_tPvRmT3_T4_T5_T6_T7_T9_mT8_P12ihipStream_tbDpT10_ENKUlT_T0_E_clISt17integral_constantIbLb1EES18_EEDaS13_S14_EUlS13_E_NS1_11comp_targetILNS1_3genE0ELNS1_11target_archE4294967295ELNS1_3gpuE0ELNS1_3repE0EEENS1_30default_config_static_selectorELNS0_4arch9wavefront6targetE0EEEvT1_,"axG",@progbits,_ZN7rocprim17ROCPRIM_400000_NS6detail17trampoline_kernelINS0_14default_configENS1_25partition_config_selectorILNS1_17partition_subalgoE6EiNS0_10empty_typeEbEEZZNS1_14partition_implILS5_6ELb0ES3_mN6thrust23THRUST_200600_302600_NS6detail15normal_iteratorINSA_10device_ptrIiEEEEPS6_SG_NS0_5tupleIJSF_S6_EEENSH_IJSG_SG_EEES6_PlJNSB_9not_fun_tI6is_oddIiEEEEEE10hipError_tPvRmT3_T4_T5_T6_T7_T9_mT8_P12ihipStream_tbDpT10_ENKUlT_T0_E_clISt17integral_constantIbLb1EES18_EEDaS13_S14_EUlS13_E_NS1_11comp_targetILNS1_3genE0ELNS1_11target_archE4294967295ELNS1_3gpuE0ELNS1_3repE0EEENS1_30default_config_static_selectorELNS0_4arch9wavefront6targetE0EEEvT1_,comdat
	.protected	_ZN7rocprim17ROCPRIM_400000_NS6detail17trampoline_kernelINS0_14default_configENS1_25partition_config_selectorILNS1_17partition_subalgoE6EiNS0_10empty_typeEbEEZZNS1_14partition_implILS5_6ELb0ES3_mN6thrust23THRUST_200600_302600_NS6detail15normal_iteratorINSA_10device_ptrIiEEEEPS6_SG_NS0_5tupleIJSF_S6_EEENSH_IJSG_SG_EEES6_PlJNSB_9not_fun_tI6is_oddIiEEEEEE10hipError_tPvRmT3_T4_T5_T6_T7_T9_mT8_P12ihipStream_tbDpT10_ENKUlT_T0_E_clISt17integral_constantIbLb1EES18_EEDaS13_S14_EUlS13_E_NS1_11comp_targetILNS1_3genE0ELNS1_11target_archE4294967295ELNS1_3gpuE0ELNS1_3repE0EEENS1_30default_config_static_selectorELNS0_4arch9wavefront6targetE0EEEvT1_ ; -- Begin function _ZN7rocprim17ROCPRIM_400000_NS6detail17trampoline_kernelINS0_14default_configENS1_25partition_config_selectorILNS1_17partition_subalgoE6EiNS0_10empty_typeEbEEZZNS1_14partition_implILS5_6ELb0ES3_mN6thrust23THRUST_200600_302600_NS6detail15normal_iteratorINSA_10device_ptrIiEEEEPS6_SG_NS0_5tupleIJSF_S6_EEENSH_IJSG_SG_EEES6_PlJNSB_9not_fun_tI6is_oddIiEEEEEE10hipError_tPvRmT3_T4_T5_T6_T7_T9_mT8_P12ihipStream_tbDpT10_ENKUlT_T0_E_clISt17integral_constantIbLb1EES18_EEDaS13_S14_EUlS13_E_NS1_11comp_targetILNS1_3genE0ELNS1_11target_archE4294967295ELNS1_3gpuE0ELNS1_3repE0EEENS1_30default_config_static_selectorELNS0_4arch9wavefront6targetE0EEEvT1_
	.globl	_ZN7rocprim17ROCPRIM_400000_NS6detail17trampoline_kernelINS0_14default_configENS1_25partition_config_selectorILNS1_17partition_subalgoE6EiNS0_10empty_typeEbEEZZNS1_14partition_implILS5_6ELb0ES3_mN6thrust23THRUST_200600_302600_NS6detail15normal_iteratorINSA_10device_ptrIiEEEEPS6_SG_NS0_5tupleIJSF_S6_EEENSH_IJSG_SG_EEES6_PlJNSB_9not_fun_tI6is_oddIiEEEEEE10hipError_tPvRmT3_T4_T5_T6_T7_T9_mT8_P12ihipStream_tbDpT10_ENKUlT_T0_E_clISt17integral_constantIbLb1EES18_EEDaS13_S14_EUlS13_E_NS1_11comp_targetILNS1_3genE0ELNS1_11target_archE4294967295ELNS1_3gpuE0ELNS1_3repE0EEENS1_30default_config_static_selectorELNS0_4arch9wavefront6targetE0EEEvT1_
	.p2align	8
	.type	_ZN7rocprim17ROCPRIM_400000_NS6detail17trampoline_kernelINS0_14default_configENS1_25partition_config_selectorILNS1_17partition_subalgoE6EiNS0_10empty_typeEbEEZZNS1_14partition_implILS5_6ELb0ES3_mN6thrust23THRUST_200600_302600_NS6detail15normal_iteratorINSA_10device_ptrIiEEEEPS6_SG_NS0_5tupleIJSF_S6_EEENSH_IJSG_SG_EEES6_PlJNSB_9not_fun_tI6is_oddIiEEEEEE10hipError_tPvRmT3_T4_T5_T6_T7_T9_mT8_P12ihipStream_tbDpT10_ENKUlT_T0_E_clISt17integral_constantIbLb1EES18_EEDaS13_S14_EUlS13_E_NS1_11comp_targetILNS1_3genE0ELNS1_11target_archE4294967295ELNS1_3gpuE0ELNS1_3repE0EEENS1_30default_config_static_selectorELNS0_4arch9wavefront6targetE0EEEvT1_,@function
_ZN7rocprim17ROCPRIM_400000_NS6detail17trampoline_kernelINS0_14default_configENS1_25partition_config_selectorILNS1_17partition_subalgoE6EiNS0_10empty_typeEbEEZZNS1_14partition_implILS5_6ELb0ES3_mN6thrust23THRUST_200600_302600_NS6detail15normal_iteratorINSA_10device_ptrIiEEEEPS6_SG_NS0_5tupleIJSF_S6_EEENSH_IJSG_SG_EEES6_PlJNSB_9not_fun_tI6is_oddIiEEEEEE10hipError_tPvRmT3_T4_T5_T6_T7_T9_mT8_P12ihipStream_tbDpT10_ENKUlT_T0_E_clISt17integral_constantIbLb1EES18_EEDaS13_S14_EUlS13_E_NS1_11comp_targetILNS1_3genE0ELNS1_11target_archE4294967295ELNS1_3gpuE0ELNS1_3repE0EEENS1_30default_config_static_selectorELNS0_4arch9wavefront6targetE0EEEvT1_: ; @_ZN7rocprim17ROCPRIM_400000_NS6detail17trampoline_kernelINS0_14default_configENS1_25partition_config_selectorILNS1_17partition_subalgoE6EiNS0_10empty_typeEbEEZZNS1_14partition_implILS5_6ELb0ES3_mN6thrust23THRUST_200600_302600_NS6detail15normal_iteratorINSA_10device_ptrIiEEEEPS6_SG_NS0_5tupleIJSF_S6_EEENSH_IJSG_SG_EEES6_PlJNSB_9not_fun_tI6is_oddIiEEEEEE10hipError_tPvRmT3_T4_T5_T6_T7_T9_mT8_P12ihipStream_tbDpT10_ENKUlT_T0_E_clISt17integral_constantIbLb1EES18_EEDaS13_S14_EUlS13_E_NS1_11comp_targetILNS1_3genE0ELNS1_11target_archE4294967295ELNS1_3gpuE0ELNS1_3repE0EEENS1_30default_config_static_selectorELNS0_4arch9wavefront6targetE0EEEvT1_
; %bb.0:
	.section	.rodata,"a",@progbits
	.p2align	6, 0x0
	.amdhsa_kernel _ZN7rocprim17ROCPRIM_400000_NS6detail17trampoline_kernelINS0_14default_configENS1_25partition_config_selectorILNS1_17partition_subalgoE6EiNS0_10empty_typeEbEEZZNS1_14partition_implILS5_6ELb0ES3_mN6thrust23THRUST_200600_302600_NS6detail15normal_iteratorINSA_10device_ptrIiEEEEPS6_SG_NS0_5tupleIJSF_S6_EEENSH_IJSG_SG_EEES6_PlJNSB_9not_fun_tI6is_oddIiEEEEEE10hipError_tPvRmT3_T4_T5_T6_T7_T9_mT8_P12ihipStream_tbDpT10_ENKUlT_T0_E_clISt17integral_constantIbLb1EES18_EEDaS13_S14_EUlS13_E_NS1_11comp_targetILNS1_3genE0ELNS1_11target_archE4294967295ELNS1_3gpuE0ELNS1_3repE0EEENS1_30default_config_static_selectorELNS0_4arch9wavefront6targetE0EEEvT1_
		.amdhsa_group_segment_fixed_size 0
		.amdhsa_private_segment_fixed_size 0
		.amdhsa_kernarg_size 128
		.amdhsa_user_sgpr_count 2
		.amdhsa_user_sgpr_dispatch_ptr 0
		.amdhsa_user_sgpr_queue_ptr 0
		.amdhsa_user_sgpr_kernarg_segment_ptr 1
		.amdhsa_user_sgpr_dispatch_id 0
		.amdhsa_user_sgpr_private_segment_size 0
		.amdhsa_wavefront_size32 1
		.amdhsa_uses_dynamic_stack 0
		.amdhsa_enable_private_segment 0
		.amdhsa_system_sgpr_workgroup_id_x 1
		.amdhsa_system_sgpr_workgroup_id_y 0
		.amdhsa_system_sgpr_workgroup_id_z 0
		.amdhsa_system_sgpr_workgroup_info 0
		.amdhsa_system_vgpr_workitem_id 0
		.amdhsa_next_free_vgpr 1
		.amdhsa_next_free_sgpr 1
		.amdhsa_reserve_vcc 0
		.amdhsa_float_round_mode_32 0
		.amdhsa_float_round_mode_16_64 0
		.amdhsa_float_denorm_mode_32 3
		.amdhsa_float_denorm_mode_16_64 3
		.amdhsa_fp16_overflow 0
		.amdhsa_workgroup_processor_mode 1
		.amdhsa_memory_ordered 1
		.amdhsa_forward_progress 1
		.amdhsa_inst_pref_size 0
		.amdhsa_round_robin_scheduling 0
		.amdhsa_exception_fp_ieee_invalid_op 0
		.amdhsa_exception_fp_denorm_src 0
		.amdhsa_exception_fp_ieee_div_zero 0
		.amdhsa_exception_fp_ieee_overflow 0
		.amdhsa_exception_fp_ieee_underflow 0
		.amdhsa_exception_fp_ieee_inexact 0
		.amdhsa_exception_int_div_zero 0
	.end_amdhsa_kernel
	.section	.text._ZN7rocprim17ROCPRIM_400000_NS6detail17trampoline_kernelINS0_14default_configENS1_25partition_config_selectorILNS1_17partition_subalgoE6EiNS0_10empty_typeEbEEZZNS1_14partition_implILS5_6ELb0ES3_mN6thrust23THRUST_200600_302600_NS6detail15normal_iteratorINSA_10device_ptrIiEEEEPS6_SG_NS0_5tupleIJSF_S6_EEENSH_IJSG_SG_EEES6_PlJNSB_9not_fun_tI6is_oddIiEEEEEE10hipError_tPvRmT3_T4_T5_T6_T7_T9_mT8_P12ihipStream_tbDpT10_ENKUlT_T0_E_clISt17integral_constantIbLb1EES18_EEDaS13_S14_EUlS13_E_NS1_11comp_targetILNS1_3genE0ELNS1_11target_archE4294967295ELNS1_3gpuE0ELNS1_3repE0EEENS1_30default_config_static_selectorELNS0_4arch9wavefront6targetE0EEEvT1_,"axG",@progbits,_ZN7rocprim17ROCPRIM_400000_NS6detail17trampoline_kernelINS0_14default_configENS1_25partition_config_selectorILNS1_17partition_subalgoE6EiNS0_10empty_typeEbEEZZNS1_14partition_implILS5_6ELb0ES3_mN6thrust23THRUST_200600_302600_NS6detail15normal_iteratorINSA_10device_ptrIiEEEEPS6_SG_NS0_5tupleIJSF_S6_EEENSH_IJSG_SG_EEES6_PlJNSB_9not_fun_tI6is_oddIiEEEEEE10hipError_tPvRmT3_T4_T5_T6_T7_T9_mT8_P12ihipStream_tbDpT10_ENKUlT_T0_E_clISt17integral_constantIbLb1EES18_EEDaS13_S14_EUlS13_E_NS1_11comp_targetILNS1_3genE0ELNS1_11target_archE4294967295ELNS1_3gpuE0ELNS1_3repE0EEENS1_30default_config_static_selectorELNS0_4arch9wavefront6targetE0EEEvT1_,comdat
.Lfunc_end91:
	.size	_ZN7rocprim17ROCPRIM_400000_NS6detail17trampoline_kernelINS0_14default_configENS1_25partition_config_selectorILNS1_17partition_subalgoE6EiNS0_10empty_typeEbEEZZNS1_14partition_implILS5_6ELb0ES3_mN6thrust23THRUST_200600_302600_NS6detail15normal_iteratorINSA_10device_ptrIiEEEEPS6_SG_NS0_5tupleIJSF_S6_EEENSH_IJSG_SG_EEES6_PlJNSB_9not_fun_tI6is_oddIiEEEEEE10hipError_tPvRmT3_T4_T5_T6_T7_T9_mT8_P12ihipStream_tbDpT10_ENKUlT_T0_E_clISt17integral_constantIbLb1EES18_EEDaS13_S14_EUlS13_E_NS1_11comp_targetILNS1_3genE0ELNS1_11target_archE4294967295ELNS1_3gpuE0ELNS1_3repE0EEENS1_30default_config_static_selectorELNS0_4arch9wavefront6targetE0EEEvT1_, .Lfunc_end91-_ZN7rocprim17ROCPRIM_400000_NS6detail17trampoline_kernelINS0_14default_configENS1_25partition_config_selectorILNS1_17partition_subalgoE6EiNS0_10empty_typeEbEEZZNS1_14partition_implILS5_6ELb0ES3_mN6thrust23THRUST_200600_302600_NS6detail15normal_iteratorINSA_10device_ptrIiEEEEPS6_SG_NS0_5tupleIJSF_S6_EEENSH_IJSG_SG_EEES6_PlJNSB_9not_fun_tI6is_oddIiEEEEEE10hipError_tPvRmT3_T4_T5_T6_T7_T9_mT8_P12ihipStream_tbDpT10_ENKUlT_T0_E_clISt17integral_constantIbLb1EES18_EEDaS13_S14_EUlS13_E_NS1_11comp_targetILNS1_3genE0ELNS1_11target_archE4294967295ELNS1_3gpuE0ELNS1_3repE0EEENS1_30default_config_static_selectorELNS0_4arch9wavefront6targetE0EEEvT1_
                                        ; -- End function
	.set _ZN7rocprim17ROCPRIM_400000_NS6detail17trampoline_kernelINS0_14default_configENS1_25partition_config_selectorILNS1_17partition_subalgoE6EiNS0_10empty_typeEbEEZZNS1_14partition_implILS5_6ELb0ES3_mN6thrust23THRUST_200600_302600_NS6detail15normal_iteratorINSA_10device_ptrIiEEEEPS6_SG_NS0_5tupleIJSF_S6_EEENSH_IJSG_SG_EEES6_PlJNSB_9not_fun_tI6is_oddIiEEEEEE10hipError_tPvRmT3_T4_T5_T6_T7_T9_mT8_P12ihipStream_tbDpT10_ENKUlT_T0_E_clISt17integral_constantIbLb1EES18_EEDaS13_S14_EUlS13_E_NS1_11comp_targetILNS1_3genE0ELNS1_11target_archE4294967295ELNS1_3gpuE0ELNS1_3repE0EEENS1_30default_config_static_selectorELNS0_4arch9wavefront6targetE0EEEvT1_.num_vgpr, 0
	.set _ZN7rocprim17ROCPRIM_400000_NS6detail17trampoline_kernelINS0_14default_configENS1_25partition_config_selectorILNS1_17partition_subalgoE6EiNS0_10empty_typeEbEEZZNS1_14partition_implILS5_6ELb0ES3_mN6thrust23THRUST_200600_302600_NS6detail15normal_iteratorINSA_10device_ptrIiEEEEPS6_SG_NS0_5tupleIJSF_S6_EEENSH_IJSG_SG_EEES6_PlJNSB_9not_fun_tI6is_oddIiEEEEEE10hipError_tPvRmT3_T4_T5_T6_T7_T9_mT8_P12ihipStream_tbDpT10_ENKUlT_T0_E_clISt17integral_constantIbLb1EES18_EEDaS13_S14_EUlS13_E_NS1_11comp_targetILNS1_3genE0ELNS1_11target_archE4294967295ELNS1_3gpuE0ELNS1_3repE0EEENS1_30default_config_static_selectorELNS0_4arch9wavefront6targetE0EEEvT1_.num_agpr, 0
	.set _ZN7rocprim17ROCPRIM_400000_NS6detail17trampoline_kernelINS0_14default_configENS1_25partition_config_selectorILNS1_17partition_subalgoE6EiNS0_10empty_typeEbEEZZNS1_14partition_implILS5_6ELb0ES3_mN6thrust23THRUST_200600_302600_NS6detail15normal_iteratorINSA_10device_ptrIiEEEEPS6_SG_NS0_5tupleIJSF_S6_EEENSH_IJSG_SG_EEES6_PlJNSB_9not_fun_tI6is_oddIiEEEEEE10hipError_tPvRmT3_T4_T5_T6_T7_T9_mT8_P12ihipStream_tbDpT10_ENKUlT_T0_E_clISt17integral_constantIbLb1EES18_EEDaS13_S14_EUlS13_E_NS1_11comp_targetILNS1_3genE0ELNS1_11target_archE4294967295ELNS1_3gpuE0ELNS1_3repE0EEENS1_30default_config_static_selectorELNS0_4arch9wavefront6targetE0EEEvT1_.numbered_sgpr, 0
	.set _ZN7rocprim17ROCPRIM_400000_NS6detail17trampoline_kernelINS0_14default_configENS1_25partition_config_selectorILNS1_17partition_subalgoE6EiNS0_10empty_typeEbEEZZNS1_14partition_implILS5_6ELb0ES3_mN6thrust23THRUST_200600_302600_NS6detail15normal_iteratorINSA_10device_ptrIiEEEEPS6_SG_NS0_5tupleIJSF_S6_EEENSH_IJSG_SG_EEES6_PlJNSB_9not_fun_tI6is_oddIiEEEEEE10hipError_tPvRmT3_T4_T5_T6_T7_T9_mT8_P12ihipStream_tbDpT10_ENKUlT_T0_E_clISt17integral_constantIbLb1EES18_EEDaS13_S14_EUlS13_E_NS1_11comp_targetILNS1_3genE0ELNS1_11target_archE4294967295ELNS1_3gpuE0ELNS1_3repE0EEENS1_30default_config_static_selectorELNS0_4arch9wavefront6targetE0EEEvT1_.num_named_barrier, 0
	.set _ZN7rocprim17ROCPRIM_400000_NS6detail17trampoline_kernelINS0_14default_configENS1_25partition_config_selectorILNS1_17partition_subalgoE6EiNS0_10empty_typeEbEEZZNS1_14partition_implILS5_6ELb0ES3_mN6thrust23THRUST_200600_302600_NS6detail15normal_iteratorINSA_10device_ptrIiEEEEPS6_SG_NS0_5tupleIJSF_S6_EEENSH_IJSG_SG_EEES6_PlJNSB_9not_fun_tI6is_oddIiEEEEEE10hipError_tPvRmT3_T4_T5_T6_T7_T9_mT8_P12ihipStream_tbDpT10_ENKUlT_T0_E_clISt17integral_constantIbLb1EES18_EEDaS13_S14_EUlS13_E_NS1_11comp_targetILNS1_3genE0ELNS1_11target_archE4294967295ELNS1_3gpuE0ELNS1_3repE0EEENS1_30default_config_static_selectorELNS0_4arch9wavefront6targetE0EEEvT1_.private_seg_size, 0
	.set _ZN7rocprim17ROCPRIM_400000_NS6detail17trampoline_kernelINS0_14default_configENS1_25partition_config_selectorILNS1_17partition_subalgoE6EiNS0_10empty_typeEbEEZZNS1_14partition_implILS5_6ELb0ES3_mN6thrust23THRUST_200600_302600_NS6detail15normal_iteratorINSA_10device_ptrIiEEEEPS6_SG_NS0_5tupleIJSF_S6_EEENSH_IJSG_SG_EEES6_PlJNSB_9not_fun_tI6is_oddIiEEEEEE10hipError_tPvRmT3_T4_T5_T6_T7_T9_mT8_P12ihipStream_tbDpT10_ENKUlT_T0_E_clISt17integral_constantIbLb1EES18_EEDaS13_S14_EUlS13_E_NS1_11comp_targetILNS1_3genE0ELNS1_11target_archE4294967295ELNS1_3gpuE0ELNS1_3repE0EEENS1_30default_config_static_selectorELNS0_4arch9wavefront6targetE0EEEvT1_.uses_vcc, 0
	.set _ZN7rocprim17ROCPRIM_400000_NS6detail17trampoline_kernelINS0_14default_configENS1_25partition_config_selectorILNS1_17partition_subalgoE6EiNS0_10empty_typeEbEEZZNS1_14partition_implILS5_6ELb0ES3_mN6thrust23THRUST_200600_302600_NS6detail15normal_iteratorINSA_10device_ptrIiEEEEPS6_SG_NS0_5tupleIJSF_S6_EEENSH_IJSG_SG_EEES6_PlJNSB_9not_fun_tI6is_oddIiEEEEEE10hipError_tPvRmT3_T4_T5_T6_T7_T9_mT8_P12ihipStream_tbDpT10_ENKUlT_T0_E_clISt17integral_constantIbLb1EES18_EEDaS13_S14_EUlS13_E_NS1_11comp_targetILNS1_3genE0ELNS1_11target_archE4294967295ELNS1_3gpuE0ELNS1_3repE0EEENS1_30default_config_static_selectorELNS0_4arch9wavefront6targetE0EEEvT1_.uses_flat_scratch, 0
	.set _ZN7rocprim17ROCPRIM_400000_NS6detail17trampoline_kernelINS0_14default_configENS1_25partition_config_selectorILNS1_17partition_subalgoE6EiNS0_10empty_typeEbEEZZNS1_14partition_implILS5_6ELb0ES3_mN6thrust23THRUST_200600_302600_NS6detail15normal_iteratorINSA_10device_ptrIiEEEEPS6_SG_NS0_5tupleIJSF_S6_EEENSH_IJSG_SG_EEES6_PlJNSB_9not_fun_tI6is_oddIiEEEEEE10hipError_tPvRmT3_T4_T5_T6_T7_T9_mT8_P12ihipStream_tbDpT10_ENKUlT_T0_E_clISt17integral_constantIbLb1EES18_EEDaS13_S14_EUlS13_E_NS1_11comp_targetILNS1_3genE0ELNS1_11target_archE4294967295ELNS1_3gpuE0ELNS1_3repE0EEENS1_30default_config_static_selectorELNS0_4arch9wavefront6targetE0EEEvT1_.has_dyn_sized_stack, 0
	.set _ZN7rocprim17ROCPRIM_400000_NS6detail17trampoline_kernelINS0_14default_configENS1_25partition_config_selectorILNS1_17partition_subalgoE6EiNS0_10empty_typeEbEEZZNS1_14partition_implILS5_6ELb0ES3_mN6thrust23THRUST_200600_302600_NS6detail15normal_iteratorINSA_10device_ptrIiEEEEPS6_SG_NS0_5tupleIJSF_S6_EEENSH_IJSG_SG_EEES6_PlJNSB_9not_fun_tI6is_oddIiEEEEEE10hipError_tPvRmT3_T4_T5_T6_T7_T9_mT8_P12ihipStream_tbDpT10_ENKUlT_T0_E_clISt17integral_constantIbLb1EES18_EEDaS13_S14_EUlS13_E_NS1_11comp_targetILNS1_3genE0ELNS1_11target_archE4294967295ELNS1_3gpuE0ELNS1_3repE0EEENS1_30default_config_static_selectorELNS0_4arch9wavefront6targetE0EEEvT1_.has_recursion, 0
	.set _ZN7rocprim17ROCPRIM_400000_NS6detail17trampoline_kernelINS0_14default_configENS1_25partition_config_selectorILNS1_17partition_subalgoE6EiNS0_10empty_typeEbEEZZNS1_14partition_implILS5_6ELb0ES3_mN6thrust23THRUST_200600_302600_NS6detail15normal_iteratorINSA_10device_ptrIiEEEEPS6_SG_NS0_5tupleIJSF_S6_EEENSH_IJSG_SG_EEES6_PlJNSB_9not_fun_tI6is_oddIiEEEEEE10hipError_tPvRmT3_T4_T5_T6_T7_T9_mT8_P12ihipStream_tbDpT10_ENKUlT_T0_E_clISt17integral_constantIbLb1EES18_EEDaS13_S14_EUlS13_E_NS1_11comp_targetILNS1_3genE0ELNS1_11target_archE4294967295ELNS1_3gpuE0ELNS1_3repE0EEENS1_30default_config_static_selectorELNS0_4arch9wavefront6targetE0EEEvT1_.has_indirect_call, 0
	.section	.AMDGPU.csdata,"",@progbits
; Kernel info:
; codeLenInByte = 0
; TotalNumSgprs: 0
; NumVgprs: 0
; ScratchSize: 0
; MemoryBound: 0
; FloatMode: 240
; IeeeMode: 1
; LDSByteSize: 0 bytes/workgroup (compile time only)
; SGPRBlocks: 0
; VGPRBlocks: 0
; NumSGPRsForWavesPerEU: 1
; NumVGPRsForWavesPerEU: 1
; Occupancy: 16
; WaveLimiterHint : 0
; COMPUTE_PGM_RSRC2:SCRATCH_EN: 0
; COMPUTE_PGM_RSRC2:USER_SGPR: 2
; COMPUTE_PGM_RSRC2:TRAP_HANDLER: 0
; COMPUTE_PGM_RSRC2:TGID_X_EN: 1
; COMPUTE_PGM_RSRC2:TGID_Y_EN: 0
; COMPUTE_PGM_RSRC2:TGID_Z_EN: 0
; COMPUTE_PGM_RSRC2:TIDIG_COMP_CNT: 0
	.section	.text._ZN7rocprim17ROCPRIM_400000_NS6detail17trampoline_kernelINS0_14default_configENS1_25partition_config_selectorILNS1_17partition_subalgoE6EiNS0_10empty_typeEbEEZZNS1_14partition_implILS5_6ELb0ES3_mN6thrust23THRUST_200600_302600_NS6detail15normal_iteratorINSA_10device_ptrIiEEEEPS6_SG_NS0_5tupleIJSF_S6_EEENSH_IJSG_SG_EEES6_PlJNSB_9not_fun_tI6is_oddIiEEEEEE10hipError_tPvRmT3_T4_T5_T6_T7_T9_mT8_P12ihipStream_tbDpT10_ENKUlT_T0_E_clISt17integral_constantIbLb1EES18_EEDaS13_S14_EUlS13_E_NS1_11comp_targetILNS1_3genE5ELNS1_11target_archE942ELNS1_3gpuE9ELNS1_3repE0EEENS1_30default_config_static_selectorELNS0_4arch9wavefront6targetE0EEEvT1_,"axG",@progbits,_ZN7rocprim17ROCPRIM_400000_NS6detail17trampoline_kernelINS0_14default_configENS1_25partition_config_selectorILNS1_17partition_subalgoE6EiNS0_10empty_typeEbEEZZNS1_14partition_implILS5_6ELb0ES3_mN6thrust23THRUST_200600_302600_NS6detail15normal_iteratorINSA_10device_ptrIiEEEEPS6_SG_NS0_5tupleIJSF_S6_EEENSH_IJSG_SG_EEES6_PlJNSB_9not_fun_tI6is_oddIiEEEEEE10hipError_tPvRmT3_T4_T5_T6_T7_T9_mT8_P12ihipStream_tbDpT10_ENKUlT_T0_E_clISt17integral_constantIbLb1EES18_EEDaS13_S14_EUlS13_E_NS1_11comp_targetILNS1_3genE5ELNS1_11target_archE942ELNS1_3gpuE9ELNS1_3repE0EEENS1_30default_config_static_selectorELNS0_4arch9wavefront6targetE0EEEvT1_,comdat
	.protected	_ZN7rocprim17ROCPRIM_400000_NS6detail17trampoline_kernelINS0_14default_configENS1_25partition_config_selectorILNS1_17partition_subalgoE6EiNS0_10empty_typeEbEEZZNS1_14partition_implILS5_6ELb0ES3_mN6thrust23THRUST_200600_302600_NS6detail15normal_iteratorINSA_10device_ptrIiEEEEPS6_SG_NS0_5tupleIJSF_S6_EEENSH_IJSG_SG_EEES6_PlJNSB_9not_fun_tI6is_oddIiEEEEEE10hipError_tPvRmT3_T4_T5_T6_T7_T9_mT8_P12ihipStream_tbDpT10_ENKUlT_T0_E_clISt17integral_constantIbLb1EES18_EEDaS13_S14_EUlS13_E_NS1_11comp_targetILNS1_3genE5ELNS1_11target_archE942ELNS1_3gpuE9ELNS1_3repE0EEENS1_30default_config_static_selectorELNS0_4arch9wavefront6targetE0EEEvT1_ ; -- Begin function _ZN7rocprim17ROCPRIM_400000_NS6detail17trampoline_kernelINS0_14default_configENS1_25partition_config_selectorILNS1_17partition_subalgoE6EiNS0_10empty_typeEbEEZZNS1_14partition_implILS5_6ELb0ES3_mN6thrust23THRUST_200600_302600_NS6detail15normal_iteratorINSA_10device_ptrIiEEEEPS6_SG_NS0_5tupleIJSF_S6_EEENSH_IJSG_SG_EEES6_PlJNSB_9not_fun_tI6is_oddIiEEEEEE10hipError_tPvRmT3_T4_T5_T6_T7_T9_mT8_P12ihipStream_tbDpT10_ENKUlT_T0_E_clISt17integral_constantIbLb1EES18_EEDaS13_S14_EUlS13_E_NS1_11comp_targetILNS1_3genE5ELNS1_11target_archE942ELNS1_3gpuE9ELNS1_3repE0EEENS1_30default_config_static_selectorELNS0_4arch9wavefront6targetE0EEEvT1_
	.globl	_ZN7rocprim17ROCPRIM_400000_NS6detail17trampoline_kernelINS0_14default_configENS1_25partition_config_selectorILNS1_17partition_subalgoE6EiNS0_10empty_typeEbEEZZNS1_14partition_implILS5_6ELb0ES3_mN6thrust23THRUST_200600_302600_NS6detail15normal_iteratorINSA_10device_ptrIiEEEEPS6_SG_NS0_5tupleIJSF_S6_EEENSH_IJSG_SG_EEES6_PlJNSB_9not_fun_tI6is_oddIiEEEEEE10hipError_tPvRmT3_T4_T5_T6_T7_T9_mT8_P12ihipStream_tbDpT10_ENKUlT_T0_E_clISt17integral_constantIbLb1EES18_EEDaS13_S14_EUlS13_E_NS1_11comp_targetILNS1_3genE5ELNS1_11target_archE942ELNS1_3gpuE9ELNS1_3repE0EEENS1_30default_config_static_selectorELNS0_4arch9wavefront6targetE0EEEvT1_
	.p2align	8
	.type	_ZN7rocprim17ROCPRIM_400000_NS6detail17trampoline_kernelINS0_14default_configENS1_25partition_config_selectorILNS1_17partition_subalgoE6EiNS0_10empty_typeEbEEZZNS1_14partition_implILS5_6ELb0ES3_mN6thrust23THRUST_200600_302600_NS6detail15normal_iteratorINSA_10device_ptrIiEEEEPS6_SG_NS0_5tupleIJSF_S6_EEENSH_IJSG_SG_EEES6_PlJNSB_9not_fun_tI6is_oddIiEEEEEE10hipError_tPvRmT3_T4_T5_T6_T7_T9_mT8_P12ihipStream_tbDpT10_ENKUlT_T0_E_clISt17integral_constantIbLb1EES18_EEDaS13_S14_EUlS13_E_NS1_11comp_targetILNS1_3genE5ELNS1_11target_archE942ELNS1_3gpuE9ELNS1_3repE0EEENS1_30default_config_static_selectorELNS0_4arch9wavefront6targetE0EEEvT1_,@function
_ZN7rocprim17ROCPRIM_400000_NS6detail17trampoline_kernelINS0_14default_configENS1_25partition_config_selectorILNS1_17partition_subalgoE6EiNS0_10empty_typeEbEEZZNS1_14partition_implILS5_6ELb0ES3_mN6thrust23THRUST_200600_302600_NS6detail15normal_iteratorINSA_10device_ptrIiEEEEPS6_SG_NS0_5tupleIJSF_S6_EEENSH_IJSG_SG_EEES6_PlJNSB_9not_fun_tI6is_oddIiEEEEEE10hipError_tPvRmT3_T4_T5_T6_T7_T9_mT8_P12ihipStream_tbDpT10_ENKUlT_T0_E_clISt17integral_constantIbLb1EES18_EEDaS13_S14_EUlS13_E_NS1_11comp_targetILNS1_3genE5ELNS1_11target_archE942ELNS1_3gpuE9ELNS1_3repE0EEENS1_30default_config_static_selectorELNS0_4arch9wavefront6targetE0EEEvT1_: ; @_ZN7rocprim17ROCPRIM_400000_NS6detail17trampoline_kernelINS0_14default_configENS1_25partition_config_selectorILNS1_17partition_subalgoE6EiNS0_10empty_typeEbEEZZNS1_14partition_implILS5_6ELb0ES3_mN6thrust23THRUST_200600_302600_NS6detail15normal_iteratorINSA_10device_ptrIiEEEEPS6_SG_NS0_5tupleIJSF_S6_EEENSH_IJSG_SG_EEES6_PlJNSB_9not_fun_tI6is_oddIiEEEEEE10hipError_tPvRmT3_T4_T5_T6_T7_T9_mT8_P12ihipStream_tbDpT10_ENKUlT_T0_E_clISt17integral_constantIbLb1EES18_EEDaS13_S14_EUlS13_E_NS1_11comp_targetILNS1_3genE5ELNS1_11target_archE942ELNS1_3gpuE9ELNS1_3repE0EEENS1_30default_config_static_selectorELNS0_4arch9wavefront6targetE0EEEvT1_
; %bb.0:
	.section	.rodata,"a",@progbits
	.p2align	6, 0x0
	.amdhsa_kernel _ZN7rocprim17ROCPRIM_400000_NS6detail17trampoline_kernelINS0_14default_configENS1_25partition_config_selectorILNS1_17partition_subalgoE6EiNS0_10empty_typeEbEEZZNS1_14partition_implILS5_6ELb0ES3_mN6thrust23THRUST_200600_302600_NS6detail15normal_iteratorINSA_10device_ptrIiEEEEPS6_SG_NS0_5tupleIJSF_S6_EEENSH_IJSG_SG_EEES6_PlJNSB_9not_fun_tI6is_oddIiEEEEEE10hipError_tPvRmT3_T4_T5_T6_T7_T9_mT8_P12ihipStream_tbDpT10_ENKUlT_T0_E_clISt17integral_constantIbLb1EES18_EEDaS13_S14_EUlS13_E_NS1_11comp_targetILNS1_3genE5ELNS1_11target_archE942ELNS1_3gpuE9ELNS1_3repE0EEENS1_30default_config_static_selectorELNS0_4arch9wavefront6targetE0EEEvT1_
		.amdhsa_group_segment_fixed_size 0
		.amdhsa_private_segment_fixed_size 0
		.amdhsa_kernarg_size 128
		.amdhsa_user_sgpr_count 2
		.amdhsa_user_sgpr_dispatch_ptr 0
		.amdhsa_user_sgpr_queue_ptr 0
		.amdhsa_user_sgpr_kernarg_segment_ptr 1
		.amdhsa_user_sgpr_dispatch_id 0
		.amdhsa_user_sgpr_private_segment_size 0
		.amdhsa_wavefront_size32 1
		.amdhsa_uses_dynamic_stack 0
		.amdhsa_enable_private_segment 0
		.amdhsa_system_sgpr_workgroup_id_x 1
		.amdhsa_system_sgpr_workgroup_id_y 0
		.amdhsa_system_sgpr_workgroup_id_z 0
		.amdhsa_system_sgpr_workgroup_info 0
		.amdhsa_system_vgpr_workitem_id 0
		.amdhsa_next_free_vgpr 1
		.amdhsa_next_free_sgpr 1
		.amdhsa_reserve_vcc 0
		.amdhsa_float_round_mode_32 0
		.amdhsa_float_round_mode_16_64 0
		.amdhsa_float_denorm_mode_32 3
		.amdhsa_float_denorm_mode_16_64 3
		.amdhsa_fp16_overflow 0
		.amdhsa_workgroup_processor_mode 1
		.amdhsa_memory_ordered 1
		.amdhsa_forward_progress 1
		.amdhsa_inst_pref_size 0
		.amdhsa_round_robin_scheduling 0
		.amdhsa_exception_fp_ieee_invalid_op 0
		.amdhsa_exception_fp_denorm_src 0
		.amdhsa_exception_fp_ieee_div_zero 0
		.amdhsa_exception_fp_ieee_overflow 0
		.amdhsa_exception_fp_ieee_underflow 0
		.amdhsa_exception_fp_ieee_inexact 0
		.amdhsa_exception_int_div_zero 0
	.end_amdhsa_kernel
	.section	.text._ZN7rocprim17ROCPRIM_400000_NS6detail17trampoline_kernelINS0_14default_configENS1_25partition_config_selectorILNS1_17partition_subalgoE6EiNS0_10empty_typeEbEEZZNS1_14partition_implILS5_6ELb0ES3_mN6thrust23THRUST_200600_302600_NS6detail15normal_iteratorINSA_10device_ptrIiEEEEPS6_SG_NS0_5tupleIJSF_S6_EEENSH_IJSG_SG_EEES6_PlJNSB_9not_fun_tI6is_oddIiEEEEEE10hipError_tPvRmT3_T4_T5_T6_T7_T9_mT8_P12ihipStream_tbDpT10_ENKUlT_T0_E_clISt17integral_constantIbLb1EES18_EEDaS13_S14_EUlS13_E_NS1_11comp_targetILNS1_3genE5ELNS1_11target_archE942ELNS1_3gpuE9ELNS1_3repE0EEENS1_30default_config_static_selectorELNS0_4arch9wavefront6targetE0EEEvT1_,"axG",@progbits,_ZN7rocprim17ROCPRIM_400000_NS6detail17trampoline_kernelINS0_14default_configENS1_25partition_config_selectorILNS1_17partition_subalgoE6EiNS0_10empty_typeEbEEZZNS1_14partition_implILS5_6ELb0ES3_mN6thrust23THRUST_200600_302600_NS6detail15normal_iteratorINSA_10device_ptrIiEEEEPS6_SG_NS0_5tupleIJSF_S6_EEENSH_IJSG_SG_EEES6_PlJNSB_9not_fun_tI6is_oddIiEEEEEE10hipError_tPvRmT3_T4_T5_T6_T7_T9_mT8_P12ihipStream_tbDpT10_ENKUlT_T0_E_clISt17integral_constantIbLb1EES18_EEDaS13_S14_EUlS13_E_NS1_11comp_targetILNS1_3genE5ELNS1_11target_archE942ELNS1_3gpuE9ELNS1_3repE0EEENS1_30default_config_static_selectorELNS0_4arch9wavefront6targetE0EEEvT1_,comdat
.Lfunc_end92:
	.size	_ZN7rocprim17ROCPRIM_400000_NS6detail17trampoline_kernelINS0_14default_configENS1_25partition_config_selectorILNS1_17partition_subalgoE6EiNS0_10empty_typeEbEEZZNS1_14partition_implILS5_6ELb0ES3_mN6thrust23THRUST_200600_302600_NS6detail15normal_iteratorINSA_10device_ptrIiEEEEPS6_SG_NS0_5tupleIJSF_S6_EEENSH_IJSG_SG_EEES6_PlJNSB_9not_fun_tI6is_oddIiEEEEEE10hipError_tPvRmT3_T4_T5_T6_T7_T9_mT8_P12ihipStream_tbDpT10_ENKUlT_T0_E_clISt17integral_constantIbLb1EES18_EEDaS13_S14_EUlS13_E_NS1_11comp_targetILNS1_3genE5ELNS1_11target_archE942ELNS1_3gpuE9ELNS1_3repE0EEENS1_30default_config_static_selectorELNS0_4arch9wavefront6targetE0EEEvT1_, .Lfunc_end92-_ZN7rocprim17ROCPRIM_400000_NS6detail17trampoline_kernelINS0_14default_configENS1_25partition_config_selectorILNS1_17partition_subalgoE6EiNS0_10empty_typeEbEEZZNS1_14partition_implILS5_6ELb0ES3_mN6thrust23THRUST_200600_302600_NS6detail15normal_iteratorINSA_10device_ptrIiEEEEPS6_SG_NS0_5tupleIJSF_S6_EEENSH_IJSG_SG_EEES6_PlJNSB_9not_fun_tI6is_oddIiEEEEEE10hipError_tPvRmT3_T4_T5_T6_T7_T9_mT8_P12ihipStream_tbDpT10_ENKUlT_T0_E_clISt17integral_constantIbLb1EES18_EEDaS13_S14_EUlS13_E_NS1_11comp_targetILNS1_3genE5ELNS1_11target_archE942ELNS1_3gpuE9ELNS1_3repE0EEENS1_30default_config_static_selectorELNS0_4arch9wavefront6targetE0EEEvT1_
                                        ; -- End function
	.set _ZN7rocprim17ROCPRIM_400000_NS6detail17trampoline_kernelINS0_14default_configENS1_25partition_config_selectorILNS1_17partition_subalgoE6EiNS0_10empty_typeEbEEZZNS1_14partition_implILS5_6ELb0ES3_mN6thrust23THRUST_200600_302600_NS6detail15normal_iteratorINSA_10device_ptrIiEEEEPS6_SG_NS0_5tupleIJSF_S6_EEENSH_IJSG_SG_EEES6_PlJNSB_9not_fun_tI6is_oddIiEEEEEE10hipError_tPvRmT3_T4_T5_T6_T7_T9_mT8_P12ihipStream_tbDpT10_ENKUlT_T0_E_clISt17integral_constantIbLb1EES18_EEDaS13_S14_EUlS13_E_NS1_11comp_targetILNS1_3genE5ELNS1_11target_archE942ELNS1_3gpuE9ELNS1_3repE0EEENS1_30default_config_static_selectorELNS0_4arch9wavefront6targetE0EEEvT1_.num_vgpr, 0
	.set _ZN7rocprim17ROCPRIM_400000_NS6detail17trampoline_kernelINS0_14default_configENS1_25partition_config_selectorILNS1_17partition_subalgoE6EiNS0_10empty_typeEbEEZZNS1_14partition_implILS5_6ELb0ES3_mN6thrust23THRUST_200600_302600_NS6detail15normal_iteratorINSA_10device_ptrIiEEEEPS6_SG_NS0_5tupleIJSF_S6_EEENSH_IJSG_SG_EEES6_PlJNSB_9not_fun_tI6is_oddIiEEEEEE10hipError_tPvRmT3_T4_T5_T6_T7_T9_mT8_P12ihipStream_tbDpT10_ENKUlT_T0_E_clISt17integral_constantIbLb1EES18_EEDaS13_S14_EUlS13_E_NS1_11comp_targetILNS1_3genE5ELNS1_11target_archE942ELNS1_3gpuE9ELNS1_3repE0EEENS1_30default_config_static_selectorELNS0_4arch9wavefront6targetE0EEEvT1_.num_agpr, 0
	.set _ZN7rocprim17ROCPRIM_400000_NS6detail17trampoline_kernelINS0_14default_configENS1_25partition_config_selectorILNS1_17partition_subalgoE6EiNS0_10empty_typeEbEEZZNS1_14partition_implILS5_6ELb0ES3_mN6thrust23THRUST_200600_302600_NS6detail15normal_iteratorINSA_10device_ptrIiEEEEPS6_SG_NS0_5tupleIJSF_S6_EEENSH_IJSG_SG_EEES6_PlJNSB_9not_fun_tI6is_oddIiEEEEEE10hipError_tPvRmT3_T4_T5_T6_T7_T9_mT8_P12ihipStream_tbDpT10_ENKUlT_T0_E_clISt17integral_constantIbLb1EES18_EEDaS13_S14_EUlS13_E_NS1_11comp_targetILNS1_3genE5ELNS1_11target_archE942ELNS1_3gpuE9ELNS1_3repE0EEENS1_30default_config_static_selectorELNS0_4arch9wavefront6targetE0EEEvT1_.numbered_sgpr, 0
	.set _ZN7rocprim17ROCPRIM_400000_NS6detail17trampoline_kernelINS0_14default_configENS1_25partition_config_selectorILNS1_17partition_subalgoE6EiNS0_10empty_typeEbEEZZNS1_14partition_implILS5_6ELb0ES3_mN6thrust23THRUST_200600_302600_NS6detail15normal_iteratorINSA_10device_ptrIiEEEEPS6_SG_NS0_5tupleIJSF_S6_EEENSH_IJSG_SG_EEES6_PlJNSB_9not_fun_tI6is_oddIiEEEEEE10hipError_tPvRmT3_T4_T5_T6_T7_T9_mT8_P12ihipStream_tbDpT10_ENKUlT_T0_E_clISt17integral_constantIbLb1EES18_EEDaS13_S14_EUlS13_E_NS1_11comp_targetILNS1_3genE5ELNS1_11target_archE942ELNS1_3gpuE9ELNS1_3repE0EEENS1_30default_config_static_selectorELNS0_4arch9wavefront6targetE0EEEvT1_.num_named_barrier, 0
	.set _ZN7rocprim17ROCPRIM_400000_NS6detail17trampoline_kernelINS0_14default_configENS1_25partition_config_selectorILNS1_17partition_subalgoE6EiNS0_10empty_typeEbEEZZNS1_14partition_implILS5_6ELb0ES3_mN6thrust23THRUST_200600_302600_NS6detail15normal_iteratorINSA_10device_ptrIiEEEEPS6_SG_NS0_5tupleIJSF_S6_EEENSH_IJSG_SG_EEES6_PlJNSB_9not_fun_tI6is_oddIiEEEEEE10hipError_tPvRmT3_T4_T5_T6_T7_T9_mT8_P12ihipStream_tbDpT10_ENKUlT_T0_E_clISt17integral_constantIbLb1EES18_EEDaS13_S14_EUlS13_E_NS1_11comp_targetILNS1_3genE5ELNS1_11target_archE942ELNS1_3gpuE9ELNS1_3repE0EEENS1_30default_config_static_selectorELNS0_4arch9wavefront6targetE0EEEvT1_.private_seg_size, 0
	.set _ZN7rocprim17ROCPRIM_400000_NS6detail17trampoline_kernelINS0_14default_configENS1_25partition_config_selectorILNS1_17partition_subalgoE6EiNS0_10empty_typeEbEEZZNS1_14partition_implILS5_6ELb0ES3_mN6thrust23THRUST_200600_302600_NS6detail15normal_iteratorINSA_10device_ptrIiEEEEPS6_SG_NS0_5tupleIJSF_S6_EEENSH_IJSG_SG_EEES6_PlJNSB_9not_fun_tI6is_oddIiEEEEEE10hipError_tPvRmT3_T4_T5_T6_T7_T9_mT8_P12ihipStream_tbDpT10_ENKUlT_T0_E_clISt17integral_constantIbLb1EES18_EEDaS13_S14_EUlS13_E_NS1_11comp_targetILNS1_3genE5ELNS1_11target_archE942ELNS1_3gpuE9ELNS1_3repE0EEENS1_30default_config_static_selectorELNS0_4arch9wavefront6targetE0EEEvT1_.uses_vcc, 0
	.set _ZN7rocprim17ROCPRIM_400000_NS6detail17trampoline_kernelINS0_14default_configENS1_25partition_config_selectorILNS1_17partition_subalgoE6EiNS0_10empty_typeEbEEZZNS1_14partition_implILS5_6ELb0ES3_mN6thrust23THRUST_200600_302600_NS6detail15normal_iteratorINSA_10device_ptrIiEEEEPS6_SG_NS0_5tupleIJSF_S6_EEENSH_IJSG_SG_EEES6_PlJNSB_9not_fun_tI6is_oddIiEEEEEE10hipError_tPvRmT3_T4_T5_T6_T7_T9_mT8_P12ihipStream_tbDpT10_ENKUlT_T0_E_clISt17integral_constantIbLb1EES18_EEDaS13_S14_EUlS13_E_NS1_11comp_targetILNS1_3genE5ELNS1_11target_archE942ELNS1_3gpuE9ELNS1_3repE0EEENS1_30default_config_static_selectorELNS0_4arch9wavefront6targetE0EEEvT1_.uses_flat_scratch, 0
	.set _ZN7rocprim17ROCPRIM_400000_NS6detail17trampoline_kernelINS0_14default_configENS1_25partition_config_selectorILNS1_17partition_subalgoE6EiNS0_10empty_typeEbEEZZNS1_14partition_implILS5_6ELb0ES3_mN6thrust23THRUST_200600_302600_NS6detail15normal_iteratorINSA_10device_ptrIiEEEEPS6_SG_NS0_5tupleIJSF_S6_EEENSH_IJSG_SG_EEES6_PlJNSB_9not_fun_tI6is_oddIiEEEEEE10hipError_tPvRmT3_T4_T5_T6_T7_T9_mT8_P12ihipStream_tbDpT10_ENKUlT_T0_E_clISt17integral_constantIbLb1EES18_EEDaS13_S14_EUlS13_E_NS1_11comp_targetILNS1_3genE5ELNS1_11target_archE942ELNS1_3gpuE9ELNS1_3repE0EEENS1_30default_config_static_selectorELNS0_4arch9wavefront6targetE0EEEvT1_.has_dyn_sized_stack, 0
	.set _ZN7rocprim17ROCPRIM_400000_NS6detail17trampoline_kernelINS0_14default_configENS1_25partition_config_selectorILNS1_17partition_subalgoE6EiNS0_10empty_typeEbEEZZNS1_14partition_implILS5_6ELb0ES3_mN6thrust23THRUST_200600_302600_NS6detail15normal_iteratorINSA_10device_ptrIiEEEEPS6_SG_NS0_5tupleIJSF_S6_EEENSH_IJSG_SG_EEES6_PlJNSB_9not_fun_tI6is_oddIiEEEEEE10hipError_tPvRmT3_T4_T5_T6_T7_T9_mT8_P12ihipStream_tbDpT10_ENKUlT_T0_E_clISt17integral_constantIbLb1EES18_EEDaS13_S14_EUlS13_E_NS1_11comp_targetILNS1_3genE5ELNS1_11target_archE942ELNS1_3gpuE9ELNS1_3repE0EEENS1_30default_config_static_selectorELNS0_4arch9wavefront6targetE0EEEvT1_.has_recursion, 0
	.set _ZN7rocprim17ROCPRIM_400000_NS6detail17trampoline_kernelINS0_14default_configENS1_25partition_config_selectorILNS1_17partition_subalgoE6EiNS0_10empty_typeEbEEZZNS1_14partition_implILS5_6ELb0ES3_mN6thrust23THRUST_200600_302600_NS6detail15normal_iteratorINSA_10device_ptrIiEEEEPS6_SG_NS0_5tupleIJSF_S6_EEENSH_IJSG_SG_EEES6_PlJNSB_9not_fun_tI6is_oddIiEEEEEE10hipError_tPvRmT3_T4_T5_T6_T7_T9_mT8_P12ihipStream_tbDpT10_ENKUlT_T0_E_clISt17integral_constantIbLb1EES18_EEDaS13_S14_EUlS13_E_NS1_11comp_targetILNS1_3genE5ELNS1_11target_archE942ELNS1_3gpuE9ELNS1_3repE0EEENS1_30default_config_static_selectorELNS0_4arch9wavefront6targetE0EEEvT1_.has_indirect_call, 0
	.section	.AMDGPU.csdata,"",@progbits
; Kernel info:
; codeLenInByte = 0
; TotalNumSgprs: 0
; NumVgprs: 0
; ScratchSize: 0
; MemoryBound: 0
; FloatMode: 240
; IeeeMode: 1
; LDSByteSize: 0 bytes/workgroup (compile time only)
; SGPRBlocks: 0
; VGPRBlocks: 0
; NumSGPRsForWavesPerEU: 1
; NumVGPRsForWavesPerEU: 1
; Occupancy: 16
; WaveLimiterHint : 0
; COMPUTE_PGM_RSRC2:SCRATCH_EN: 0
; COMPUTE_PGM_RSRC2:USER_SGPR: 2
; COMPUTE_PGM_RSRC2:TRAP_HANDLER: 0
; COMPUTE_PGM_RSRC2:TGID_X_EN: 1
; COMPUTE_PGM_RSRC2:TGID_Y_EN: 0
; COMPUTE_PGM_RSRC2:TGID_Z_EN: 0
; COMPUTE_PGM_RSRC2:TIDIG_COMP_CNT: 0
	.section	.text._ZN7rocprim17ROCPRIM_400000_NS6detail17trampoline_kernelINS0_14default_configENS1_25partition_config_selectorILNS1_17partition_subalgoE6EiNS0_10empty_typeEbEEZZNS1_14partition_implILS5_6ELb0ES3_mN6thrust23THRUST_200600_302600_NS6detail15normal_iteratorINSA_10device_ptrIiEEEEPS6_SG_NS0_5tupleIJSF_S6_EEENSH_IJSG_SG_EEES6_PlJNSB_9not_fun_tI6is_oddIiEEEEEE10hipError_tPvRmT3_T4_T5_T6_T7_T9_mT8_P12ihipStream_tbDpT10_ENKUlT_T0_E_clISt17integral_constantIbLb1EES18_EEDaS13_S14_EUlS13_E_NS1_11comp_targetILNS1_3genE4ELNS1_11target_archE910ELNS1_3gpuE8ELNS1_3repE0EEENS1_30default_config_static_selectorELNS0_4arch9wavefront6targetE0EEEvT1_,"axG",@progbits,_ZN7rocprim17ROCPRIM_400000_NS6detail17trampoline_kernelINS0_14default_configENS1_25partition_config_selectorILNS1_17partition_subalgoE6EiNS0_10empty_typeEbEEZZNS1_14partition_implILS5_6ELb0ES3_mN6thrust23THRUST_200600_302600_NS6detail15normal_iteratorINSA_10device_ptrIiEEEEPS6_SG_NS0_5tupleIJSF_S6_EEENSH_IJSG_SG_EEES6_PlJNSB_9not_fun_tI6is_oddIiEEEEEE10hipError_tPvRmT3_T4_T5_T6_T7_T9_mT8_P12ihipStream_tbDpT10_ENKUlT_T0_E_clISt17integral_constantIbLb1EES18_EEDaS13_S14_EUlS13_E_NS1_11comp_targetILNS1_3genE4ELNS1_11target_archE910ELNS1_3gpuE8ELNS1_3repE0EEENS1_30default_config_static_selectorELNS0_4arch9wavefront6targetE0EEEvT1_,comdat
	.protected	_ZN7rocprim17ROCPRIM_400000_NS6detail17trampoline_kernelINS0_14default_configENS1_25partition_config_selectorILNS1_17partition_subalgoE6EiNS0_10empty_typeEbEEZZNS1_14partition_implILS5_6ELb0ES3_mN6thrust23THRUST_200600_302600_NS6detail15normal_iteratorINSA_10device_ptrIiEEEEPS6_SG_NS0_5tupleIJSF_S6_EEENSH_IJSG_SG_EEES6_PlJNSB_9not_fun_tI6is_oddIiEEEEEE10hipError_tPvRmT3_T4_T5_T6_T7_T9_mT8_P12ihipStream_tbDpT10_ENKUlT_T0_E_clISt17integral_constantIbLb1EES18_EEDaS13_S14_EUlS13_E_NS1_11comp_targetILNS1_3genE4ELNS1_11target_archE910ELNS1_3gpuE8ELNS1_3repE0EEENS1_30default_config_static_selectorELNS0_4arch9wavefront6targetE0EEEvT1_ ; -- Begin function _ZN7rocprim17ROCPRIM_400000_NS6detail17trampoline_kernelINS0_14default_configENS1_25partition_config_selectorILNS1_17partition_subalgoE6EiNS0_10empty_typeEbEEZZNS1_14partition_implILS5_6ELb0ES3_mN6thrust23THRUST_200600_302600_NS6detail15normal_iteratorINSA_10device_ptrIiEEEEPS6_SG_NS0_5tupleIJSF_S6_EEENSH_IJSG_SG_EEES6_PlJNSB_9not_fun_tI6is_oddIiEEEEEE10hipError_tPvRmT3_T4_T5_T6_T7_T9_mT8_P12ihipStream_tbDpT10_ENKUlT_T0_E_clISt17integral_constantIbLb1EES18_EEDaS13_S14_EUlS13_E_NS1_11comp_targetILNS1_3genE4ELNS1_11target_archE910ELNS1_3gpuE8ELNS1_3repE0EEENS1_30default_config_static_selectorELNS0_4arch9wavefront6targetE0EEEvT1_
	.globl	_ZN7rocprim17ROCPRIM_400000_NS6detail17trampoline_kernelINS0_14default_configENS1_25partition_config_selectorILNS1_17partition_subalgoE6EiNS0_10empty_typeEbEEZZNS1_14partition_implILS5_6ELb0ES3_mN6thrust23THRUST_200600_302600_NS6detail15normal_iteratorINSA_10device_ptrIiEEEEPS6_SG_NS0_5tupleIJSF_S6_EEENSH_IJSG_SG_EEES6_PlJNSB_9not_fun_tI6is_oddIiEEEEEE10hipError_tPvRmT3_T4_T5_T6_T7_T9_mT8_P12ihipStream_tbDpT10_ENKUlT_T0_E_clISt17integral_constantIbLb1EES18_EEDaS13_S14_EUlS13_E_NS1_11comp_targetILNS1_3genE4ELNS1_11target_archE910ELNS1_3gpuE8ELNS1_3repE0EEENS1_30default_config_static_selectorELNS0_4arch9wavefront6targetE0EEEvT1_
	.p2align	8
	.type	_ZN7rocprim17ROCPRIM_400000_NS6detail17trampoline_kernelINS0_14default_configENS1_25partition_config_selectorILNS1_17partition_subalgoE6EiNS0_10empty_typeEbEEZZNS1_14partition_implILS5_6ELb0ES3_mN6thrust23THRUST_200600_302600_NS6detail15normal_iteratorINSA_10device_ptrIiEEEEPS6_SG_NS0_5tupleIJSF_S6_EEENSH_IJSG_SG_EEES6_PlJNSB_9not_fun_tI6is_oddIiEEEEEE10hipError_tPvRmT3_T4_T5_T6_T7_T9_mT8_P12ihipStream_tbDpT10_ENKUlT_T0_E_clISt17integral_constantIbLb1EES18_EEDaS13_S14_EUlS13_E_NS1_11comp_targetILNS1_3genE4ELNS1_11target_archE910ELNS1_3gpuE8ELNS1_3repE0EEENS1_30default_config_static_selectorELNS0_4arch9wavefront6targetE0EEEvT1_,@function
_ZN7rocprim17ROCPRIM_400000_NS6detail17trampoline_kernelINS0_14default_configENS1_25partition_config_selectorILNS1_17partition_subalgoE6EiNS0_10empty_typeEbEEZZNS1_14partition_implILS5_6ELb0ES3_mN6thrust23THRUST_200600_302600_NS6detail15normal_iteratorINSA_10device_ptrIiEEEEPS6_SG_NS0_5tupleIJSF_S6_EEENSH_IJSG_SG_EEES6_PlJNSB_9not_fun_tI6is_oddIiEEEEEE10hipError_tPvRmT3_T4_T5_T6_T7_T9_mT8_P12ihipStream_tbDpT10_ENKUlT_T0_E_clISt17integral_constantIbLb1EES18_EEDaS13_S14_EUlS13_E_NS1_11comp_targetILNS1_3genE4ELNS1_11target_archE910ELNS1_3gpuE8ELNS1_3repE0EEENS1_30default_config_static_selectorELNS0_4arch9wavefront6targetE0EEEvT1_: ; @_ZN7rocprim17ROCPRIM_400000_NS6detail17trampoline_kernelINS0_14default_configENS1_25partition_config_selectorILNS1_17partition_subalgoE6EiNS0_10empty_typeEbEEZZNS1_14partition_implILS5_6ELb0ES3_mN6thrust23THRUST_200600_302600_NS6detail15normal_iteratorINSA_10device_ptrIiEEEEPS6_SG_NS0_5tupleIJSF_S6_EEENSH_IJSG_SG_EEES6_PlJNSB_9not_fun_tI6is_oddIiEEEEEE10hipError_tPvRmT3_T4_T5_T6_T7_T9_mT8_P12ihipStream_tbDpT10_ENKUlT_T0_E_clISt17integral_constantIbLb1EES18_EEDaS13_S14_EUlS13_E_NS1_11comp_targetILNS1_3genE4ELNS1_11target_archE910ELNS1_3gpuE8ELNS1_3repE0EEENS1_30default_config_static_selectorELNS0_4arch9wavefront6targetE0EEEvT1_
; %bb.0:
	.section	.rodata,"a",@progbits
	.p2align	6, 0x0
	.amdhsa_kernel _ZN7rocprim17ROCPRIM_400000_NS6detail17trampoline_kernelINS0_14default_configENS1_25partition_config_selectorILNS1_17partition_subalgoE6EiNS0_10empty_typeEbEEZZNS1_14partition_implILS5_6ELb0ES3_mN6thrust23THRUST_200600_302600_NS6detail15normal_iteratorINSA_10device_ptrIiEEEEPS6_SG_NS0_5tupleIJSF_S6_EEENSH_IJSG_SG_EEES6_PlJNSB_9not_fun_tI6is_oddIiEEEEEE10hipError_tPvRmT3_T4_T5_T6_T7_T9_mT8_P12ihipStream_tbDpT10_ENKUlT_T0_E_clISt17integral_constantIbLb1EES18_EEDaS13_S14_EUlS13_E_NS1_11comp_targetILNS1_3genE4ELNS1_11target_archE910ELNS1_3gpuE8ELNS1_3repE0EEENS1_30default_config_static_selectorELNS0_4arch9wavefront6targetE0EEEvT1_
		.amdhsa_group_segment_fixed_size 0
		.amdhsa_private_segment_fixed_size 0
		.amdhsa_kernarg_size 128
		.amdhsa_user_sgpr_count 2
		.amdhsa_user_sgpr_dispatch_ptr 0
		.amdhsa_user_sgpr_queue_ptr 0
		.amdhsa_user_sgpr_kernarg_segment_ptr 1
		.amdhsa_user_sgpr_dispatch_id 0
		.amdhsa_user_sgpr_private_segment_size 0
		.amdhsa_wavefront_size32 1
		.amdhsa_uses_dynamic_stack 0
		.amdhsa_enable_private_segment 0
		.amdhsa_system_sgpr_workgroup_id_x 1
		.amdhsa_system_sgpr_workgroup_id_y 0
		.amdhsa_system_sgpr_workgroup_id_z 0
		.amdhsa_system_sgpr_workgroup_info 0
		.amdhsa_system_vgpr_workitem_id 0
		.amdhsa_next_free_vgpr 1
		.amdhsa_next_free_sgpr 1
		.amdhsa_reserve_vcc 0
		.amdhsa_float_round_mode_32 0
		.amdhsa_float_round_mode_16_64 0
		.amdhsa_float_denorm_mode_32 3
		.amdhsa_float_denorm_mode_16_64 3
		.amdhsa_fp16_overflow 0
		.amdhsa_workgroup_processor_mode 1
		.amdhsa_memory_ordered 1
		.amdhsa_forward_progress 1
		.amdhsa_inst_pref_size 0
		.amdhsa_round_robin_scheduling 0
		.amdhsa_exception_fp_ieee_invalid_op 0
		.amdhsa_exception_fp_denorm_src 0
		.amdhsa_exception_fp_ieee_div_zero 0
		.amdhsa_exception_fp_ieee_overflow 0
		.amdhsa_exception_fp_ieee_underflow 0
		.amdhsa_exception_fp_ieee_inexact 0
		.amdhsa_exception_int_div_zero 0
	.end_amdhsa_kernel
	.section	.text._ZN7rocprim17ROCPRIM_400000_NS6detail17trampoline_kernelINS0_14default_configENS1_25partition_config_selectorILNS1_17partition_subalgoE6EiNS0_10empty_typeEbEEZZNS1_14partition_implILS5_6ELb0ES3_mN6thrust23THRUST_200600_302600_NS6detail15normal_iteratorINSA_10device_ptrIiEEEEPS6_SG_NS0_5tupleIJSF_S6_EEENSH_IJSG_SG_EEES6_PlJNSB_9not_fun_tI6is_oddIiEEEEEE10hipError_tPvRmT3_T4_T5_T6_T7_T9_mT8_P12ihipStream_tbDpT10_ENKUlT_T0_E_clISt17integral_constantIbLb1EES18_EEDaS13_S14_EUlS13_E_NS1_11comp_targetILNS1_3genE4ELNS1_11target_archE910ELNS1_3gpuE8ELNS1_3repE0EEENS1_30default_config_static_selectorELNS0_4arch9wavefront6targetE0EEEvT1_,"axG",@progbits,_ZN7rocprim17ROCPRIM_400000_NS6detail17trampoline_kernelINS0_14default_configENS1_25partition_config_selectorILNS1_17partition_subalgoE6EiNS0_10empty_typeEbEEZZNS1_14partition_implILS5_6ELb0ES3_mN6thrust23THRUST_200600_302600_NS6detail15normal_iteratorINSA_10device_ptrIiEEEEPS6_SG_NS0_5tupleIJSF_S6_EEENSH_IJSG_SG_EEES6_PlJNSB_9not_fun_tI6is_oddIiEEEEEE10hipError_tPvRmT3_T4_T5_T6_T7_T9_mT8_P12ihipStream_tbDpT10_ENKUlT_T0_E_clISt17integral_constantIbLb1EES18_EEDaS13_S14_EUlS13_E_NS1_11comp_targetILNS1_3genE4ELNS1_11target_archE910ELNS1_3gpuE8ELNS1_3repE0EEENS1_30default_config_static_selectorELNS0_4arch9wavefront6targetE0EEEvT1_,comdat
.Lfunc_end93:
	.size	_ZN7rocprim17ROCPRIM_400000_NS6detail17trampoline_kernelINS0_14default_configENS1_25partition_config_selectorILNS1_17partition_subalgoE6EiNS0_10empty_typeEbEEZZNS1_14partition_implILS5_6ELb0ES3_mN6thrust23THRUST_200600_302600_NS6detail15normal_iteratorINSA_10device_ptrIiEEEEPS6_SG_NS0_5tupleIJSF_S6_EEENSH_IJSG_SG_EEES6_PlJNSB_9not_fun_tI6is_oddIiEEEEEE10hipError_tPvRmT3_T4_T5_T6_T7_T9_mT8_P12ihipStream_tbDpT10_ENKUlT_T0_E_clISt17integral_constantIbLb1EES18_EEDaS13_S14_EUlS13_E_NS1_11comp_targetILNS1_3genE4ELNS1_11target_archE910ELNS1_3gpuE8ELNS1_3repE0EEENS1_30default_config_static_selectorELNS0_4arch9wavefront6targetE0EEEvT1_, .Lfunc_end93-_ZN7rocprim17ROCPRIM_400000_NS6detail17trampoline_kernelINS0_14default_configENS1_25partition_config_selectorILNS1_17partition_subalgoE6EiNS0_10empty_typeEbEEZZNS1_14partition_implILS5_6ELb0ES3_mN6thrust23THRUST_200600_302600_NS6detail15normal_iteratorINSA_10device_ptrIiEEEEPS6_SG_NS0_5tupleIJSF_S6_EEENSH_IJSG_SG_EEES6_PlJNSB_9not_fun_tI6is_oddIiEEEEEE10hipError_tPvRmT3_T4_T5_T6_T7_T9_mT8_P12ihipStream_tbDpT10_ENKUlT_T0_E_clISt17integral_constantIbLb1EES18_EEDaS13_S14_EUlS13_E_NS1_11comp_targetILNS1_3genE4ELNS1_11target_archE910ELNS1_3gpuE8ELNS1_3repE0EEENS1_30default_config_static_selectorELNS0_4arch9wavefront6targetE0EEEvT1_
                                        ; -- End function
	.set _ZN7rocprim17ROCPRIM_400000_NS6detail17trampoline_kernelINS0_14default_configENS1_25partition_config_selectorILNS1_17partition_subalgoE6EiNS0_10empty_typeEbEEZZNS1_14partition_implILS5_6ELb0ES3_mN6thrust23THRUST_200600_302600_NS6detail15normal_iteratorINSA_10device_ptrIiEEEEPS6_SG_NS0_5tupleIJSF_S6_EEENSH_IJSG_SG_EEES6_PlJNSB_9not_fun_tI6is_oddIiEEEEEE10hipError_tPvRmT3_T4_T5_T6_T7_T9_mT8_P12ihipStream_tbDpT10_ENKUlT_T0_E_clISt17integral_constantIbLb1EES18_EEDaS13_S14_EUlS13_E_NS1_11comp_targetILNS1_3genE4ELNS1_11target_archE910ELNS1_3gpuE8ELNS1_3repE0EEENS1_30default_config_static_selectorELNS0_4arch9wavefront6targetE0EEEvT1_.num_vgpr, 0
	.set _ZN7rocprim17ROCPRIM_400000_NS6detail17trampoline_kernelINS0_14default_configENS1_25partition_config_selectorILNS1_17partition_subalgoE6EiNS0_10empty_typeEbEEZZNS1_14partition_implILS5_6ELb0ES3_mN6thrust23THRUST_200600_302600_NS6detail15normal_iteratorINSA_10device_ptrIiEEEEPS6_SG_NS0_5tupleIJSF_S6_EEENSH_IJSG_SG_EEES6_PlJNSB_9not_fun_tI6is_oddIiEEEEEE10hipError_tPvRmT3_T4_T5_T6_T7_T9_mT8_P12ihipStream_tbDpT10_ENKUlT_T0_E_clISt17integral_constantIbLb1EES18_EEDaS13_S14_EUlS13_E_NS1_11comp_targetILNS1_3genE4ELNS1_11target_archE910ELNS1_3gpuE8ELNS1_3repE0EEENS1_30default_config_static_selectorELNS0_4arch9wavefront6targetE0EEEvT1_.num_agpr, 0
	.set _ZN7rocprim17ROCPRIM_400000_NS6detail17trampoline_kernelINS0_14default_configENS1_25partition_config_selectorILNS1_17partition_subalgoE6EiNS0_10empty_typeEbEEZZNS1_14partition_implILS5_6ELb0ES3_mN6thrust23THRUST_200600_302600_NS6detail15normal_iteratorINSA_10device_ptrIiEEEEPS6_SG_NS0_5tupleIJSF_S6_EEENSH_IJSG_SG_EEES6_PlJNSB_9not_fun_tI6is_oddIiEEEEEE10hipError_tPvRmT3_T4_T5_T6_T7_T9_mT8_P12ihipStream_tbDpT10_ENKUlT_T0_E_clISt17integral_constantIbLb1EES18_EEDaS13_S14_EUlS13_E_NS1_11comp_targetILNS1_3genE4ELNS1_11target_archE910ELNS1_3gpuE8ELNS1_3repE0EEENS1_30default_config_static_selectorELNS0_4arch9wavefront6targetE0EEEvT1_.numbered_sgpr, 0
	.set _ZN7rocprim17ROCPRIM_400000_NS6detail17trampoline_kernelINS0_14default_configENS1_25partition_config_selectorILNS1_17partition_subalgoE6EiNS0_10empty_typeEbEEZZNS1_14partition_implILS5_6ELb0ES3_mN6thrust23THRUST_200600_302600_NS6detail15normal_iteratorINSA_10device_ptrIiEEEEPS6_SG_NS0_5tupleIJSF_S6_EEENSH_IJSG_SG_EEES6_PlJNSB_9not_fun_tI6is_oddIiEEEEEE10hipError_tPvRmT3_T4_T5_T6_T7_T9_mT8_P12ihipStream_tbDpT10_ENKUlT_T0_E_clISt17integral_constantIbLb1EES18_EEDaS13_S14_EUlS13_E_NS1_11comp_targetILNS1_3genE4ELNS1_11target_archE910ELNS1_3gpuE8ELNS1_3repE0EEENS1_30default_config_static_selectorELNS0_4arch9wavefront6targetE0EEEvT1_.num_named_barrier, 0
	.set _ZN7rocprim17ROCPRIM_400000_NS6detail17trampoline_kernelINS0_14default_configENS1_25partition_config_selectorILNS1_17partition_subalgoE6EiNS0_10empty_typeEbEEZZNS1_14partition_implILS5_6ELb0ES3_mN6thrust23THRUST_200600_302600_NS6detail15normal_iteratorINSA_10device_ptrIiEEEEPS6_SG_NS0_5tupleIJSF_S6_EEENSH_IJSG_SG_EEES6_PlJNSB_9not_fun_tI6is_oddIiEEEEEE10hipError_tPvRmT3_T4_T5_T6_T7_T9_mT8_P12ihipStream_tbDpT10_ENKUlT_T0_E_clISt17integral_constantIbLb1EES18_EEDaS13_S14_EUlS13_E_NS1_11comp_targetILNS1_3genE4ELNS1_11target_archE910ELNS1_3gpuE8ELNS1_3repE0EEENS1_30default_config_static_selectorELNS0_4arch9wavefront6targetE0EEEvT1_.private_seg_size, 0
	.set _ZN7rocprim17ROCPRIM_400000_NS6detail17trampoline_kernelINS0_14default_configENS1_25partition_config_selectorILNS1_17partition_subalgoE6EiNS0_10empty_typeEbEEZZNS1_14partition_implILS5_6ELb0ES3_mN6thrust23THRUST_200600_302600_NS6detail15normal_iteratorINSA_10device_ptrIiEEEEPS6_SG_NS0_5tupleIJSF_S6_EEENSH_IJSG_SG_EEES6_PlJNSB_9not_fun_tI6is_oddIiEEEEEE10hipError_tPvRmT3_T4_T5_T6_T7_T9_mT8_P12ihipStream_tbDpT10_ENKUlT_T0_E_clISt17integral_constantIbLb1EES18_EEDaS13_S14_EUlS13_E_NS1_11comp_targetILNS1_3genE4ELNS1_11target_archE910ELNS1_3gpuE8ELNS1_3repE0EEENS1_30default_config_static_selectorELNS0_4arch9wavefront6targetE0EEEvT1_.uses_vcc, 0
	.set _ZN7rocprim17ROCPRIM_400000_NS6detail17trampoline_kernelINS0_14default_configENS1_25partition_config_selectorILNS1_17partition_subalgoE6EiNS0_10empty_typeEbEEZZNS1_14partition_implILS5_6ELb0ES3_mN6thrust23THRUST_200600_302600_NS6detail15normal_iteratorINSA_10device_ptrIiEEEEPS6_SG_NS0_5tupleIJSF_S6_EEENSH_IJSG_SG_EEES6_PlJNSB_9not_fun_tI6is_oddIiEEEEEE10hipError_tPvRmT3_T4_T5_T6_T7_T9_mT8_P12ihipStream_tbDpT10_ENKUlT_T0_E_clISt17integral_constantIbLb1EES18_EEDaS13_S14_EUlS13_E_NS1_11comp_targetILNS1_3genE4ELNS1_11target_archE910ELNS1_3gpuE8ELNS1_3repE0EEENS1_30default_config_static_selectorELNS0_4arch9wavefront6targetE0EEEvT1_.uses_flat_scratch, 0
	.set _ZN7rocprim17ROCPRIM_400000_NS6detail17trampoline_kernelINS0_14default_configENS1_25partition_config_selectorILNS1_17partition_subalgoE6EiNS0_10empty_typeEbEEZZNS1_14partition_implILS5_6ELb0ES3_mN6thrust23THRUST_200600_302600_NS6detail15normal_iteratorINSA_10device_ptrIiEEEEPS6_SG_NS0_5tupleIJSF_S6_EEENSH_IJSG_SG_EEES6_PlJNSB_9not_fun_tI6is_oddIiEEEEEE10hipError_tPvRmT3_T4_T5_T6_T7_T9_mT8_P12ihipStream_tbDpT10_ENKUlT_T0_E_clISt17integral_constantIbLb1EES18_EEDaS13_S14_EUlS13_E_NS1_11comp_targetILNS1_3genE4ELNS1_11target_archE910ELNS1_3gpuE8ELNS1_3repE0EEENS1_30default_config_static_selectorELNS0_4arch9wavefront6targetE0EEEvT1_.has_dyn_sized_stack, 0
	.set _ZN7rocprim17ROCPRIM_400000_NS6detail17trampoline_kernelINS0_14default_configENS1_25partition_config_selectorILNS1_17partition_subalgoE6EiNS0_10empty_typeEbEEZZNS1_14partition_implILS5_6ELb0ES3_mN6thrust23THRUST_200600_302600_NS6detail15normal_iteratorINSA_10device_ptrIiEEEEPS6_SG_NS0_5tupleIJSF_S6_EEENSH_IJSG_SG_EEES6_PlJNSB_9not_fun_tI6is_oddIiEEEEEE10hipError_tPvRmT3_T4_T5_T6_T7_T9_mT8_P12ihipStream_tbDpT10_ENKUlT_T0_E_clISt17integral_constantIbLb1EES18_EEDaS13_S14_EUlS13_E_NS1_11comp_targetILNS1_3genE4ELNS1_11target_archE910ELNS1_3gpuE8ELNS1_3repE0EEENS1_30default_config_static_selectorELNS0_4arch9wavefront6targetE0EEEvT1_.has_recursion, 0
	.set _ZN7rocprim17ROCPRIM_400000_NS6detail17trampoline_kernelINS0_14default_configENS1_25partition_config_selectorILNS1_17partition_subalgoE6EiNS0_10empty_typeEbEEZZNS1_14partition_implILS5_6ELb0ES3_mN6thrust23THRUST_200600_302600_NS6detail15normal_iteratorINSA_10device_ptrIiEEEEPS6_SG_NS0_5tupleIJSF_S6_EEENSH_IJSG_SG_EEES6_PlJNSB_9not_fun_tI6is_oddIiEEEEEE10hipError_tPvRmT3_T4_T5_T6_T7_T9_mT8_P12ihipStream_tbDpT10_ENKUlT_T0_E_clISt17integral_constantIbLb1EES18_EEDaS13_S14_EUlS13_E_NS1_11comp_targetILNS1_3genE4ELNS1_11target_archE910ELNS1_3gpuE8ELNS1_3repE0EEENS1_30default_config_static_selectorELNS0_4arch9wavefront6targetE0EEEvT1_.has_indirect_call, 0
	.section	.AMDGPU.csdata,"",@progbits
; Kernel info:
; codeLenInByte = 0
; TotalNumSgprs: 0
; NumVgprs: 0
; ScratchSize: 0
; MemoryBound: 0
; FloatMode: 240
; IeeeMode: 1
; LDSByteSize: 0 bytes/workgroup (compile time only)
; SGPRBlocks: 0
; VGPRBlocks: 0
; NumSGPRsForWavesPerEU: 1
; NumVGPRsForWavesPerEU: 1
; Occupancy: 16
; WaveLimiterHint : 0
; COMPUTE_PGM_RSRC2:SCRATCH_EN: 0
; COMPUTE_PGM_RSRC2:USER_SGPR: 2
; COMPUTE_PGM_RSRC2:TRAP_HANDLER: 0
; COMPUTE_PGM_RSRC2:TGID_X_EN: 1
; COMPUTE_PGM_RSRC2:TGID_Y_EN: 0
; COMPUTE_PGM_RSRC2:TGID_Z_EN: 0
; COMPUTE_PGM_RSRC2:TIDIG_COMP_CNT: 0
	.section	.text._ZN7rocprim17ROCPRIM_400000_NS6detail17trampoline_kernelINS0_14default_configENS1_25partition_config_selectorILNS1_17partition_subalgoE6EiNS0_10empty_typeEbEEZZNS1_14partition_implILS5_6ELb0ES3_mN6thrust23THRUST_200600_302600_NS6detail15normal_iteratorINSA_10device_ptrIiEEEEPS6_SG_NS0_5tupleIJSF_S6_EEENSH_IJSG_SG_EEES6_PlJNSB_9not_fun_tI6is_oddIiEEEEEE10hipError_tPvRmT3_T4_T5_T6_T7_T9_mT8_P12ihipStream_tbDpT10_ENKUlT_T0_E_clISt17integral_constantIbLb1EES18_EEDaS13_S14_EUlS13_E_NS1_11comp_targetILNS1_3genE3ELNS1_11target_archE908ELNS1_3gpuE7ELNS1_3repE0EEENS1_30default_config_static_selectorELNS0_4arch9wavefront6targetE0EEEvT1_,"axG",@progbits,_ZN7rocprim17ROCPRIM_400000_NS6detail17trampoline_kernelINS0_14default_configENS1_25partition_config_selectorILNS1_17partition_subalgoE6EiNS0_10empty_typeEbEEZZNS1_14partition_implILS5_6ELb0ES3_mN6thrust23THRUST_200600_302600_NS6detail15normal_iteratorINSA_10device_ptrIiEEEEPS6_SG_NS0_5tupleIJSF_S6_EEENSH_IJSG_SG_EEES6_PlJNSB_9not_fun_tI6is_oddIiEEEEEE10hipError_tPvRmT3_T4_T5_T6_T7_T9_mT8_P12ihipStream_tbDpT10_ENKUlT_T0_E_clISt17integral_constantIbLb1EES18_EEDaS13_S14_EUlS13_E_NS1_11comp_targetILNS1_3genE3ELNS1_11target_archE908ELNS1_3gpuE7ELNS1_3repE0EEENS1_30default_config_static_selectorELNS0_4arch9wavefront6targetE0EEEvT1_,comdat
	.protected	_ZN7rocprim17ROCPRIM_400000_NS6detail17trampoline_kernelINS0_14default_configENS1_25partition_config_selectorILNS1_17partition_subalgoE6EiNS0_10empty_typeEbEEZZNS1_14partition_implILS5_6ELb0ES3_mN6thrust23THRUST_200600_302600_NS6detail15normal_iteratorINSA_10device_ptrIiEEEEPS6_SG_NS0_5tupleIJSF_S6_EEENSH_IJSG_SG_EEES6_PlJNSB_9not_fun_tI6is_oddIiEEEEEE10hipError_tPvRmT3_T4_T5_T6_T7_T9_mT8_P12ihipStream_tbDpT10_ENKUlT_T0_E_clISt17integral_constantIbLb1EES18_EEDaS13_S14_EUlS13_E_NS1_11comp_targetILNS1_3genE3ELNS1_11target_archE908ELNS1_3gpuE7ELNS1_3repE0EEENS1_30default_config_static_selectorELNS0_4arch9wavefront6targetE0EEEvT1_ ; -- Begin function _ZN7rocprim17ROCPRIM_400000_NS6detail17trampoline_kernelINS0_14default_configENS1_25partition_config_selectorILNS1_17partition_subalgoE6EiNS0_10empty_typeEbEEZZNS1_14partition_implILS5_6ELb0ES3_mN6thrust23THRUST_200600_302600_NS6detail15normal_iteratorINSA_10device_ptrIiEEEEPS6_SG_NS0_5tupleIJSF_S6_EEENSH_IJSG_SG_EEES6_PlJNSB_9not_fun_tI6is_oddIiEEEEEE10hipError_tPvRmT3_T4_T5_T6_T7_T9_mT8_P12ihipStream_tbDpT10_ENKUlT_T0_E_clISt17integral_constantIbLb1EES18_EEDaS13_S14_EUlS13_E_NS1_11comp_targetILNS1_3genE3ELNS1_11target_archE908ELNS1_3gpuE7ELNS1_3repE0EEENS1_30default_config_static_selectorELNS0_4arch9wavefront6targetE0EEEvT1_
	.globl	_ZN7rocprim17ROCPRIM_400000_NS6detail17trampoline_kernelINS0_14default_configENS1_25partition_config_selectorILNS1_17partition_subalgoE6EiNS0_10empty_typeEbEEZZNS1_14partition_implILS5_6ELb0ES3_mN6thrust23THRUST_200600_302600_NS6detail15normal_iteratorINSA_10device_ptrIiEEEEPS6_SG_NS0_5tupleIJSF_S6_EEENSH_IJSG_SG_EEES6_PlJNSB_9not_fun_tI6is_oddIiEEEEEE10hipError_tPvRmT3_T4_T5_T6_T7_T9_mT8_P12ihipStream_tbDpT10_ENKUlT_T0_E_clISt17integral_constantIbLb1EES18_EEDaS13_S14_EUlS13_E_NS1_11comp_targetILNS1_3genE3ELNS1_11target_archE908ELNS1_3gpuE7ELNS1_3repE0EEENS1_30default_config_static_selectorELNS0_4arch9wavefront6targetE0EEEvT1_
	.p2align	8
	.type	_ZN7rocprim17ROCPRIM_400000_NS6detail17trampoline_kernelINS0_14default_configENS1_25partition_config_selectorILNS1_17partition_subalgoE6EiNS0_10empty_typeEbEEZZNS1_14partition_implILS5_6ELb0ES3_mN6thrust23THRUST_200600_302600_NS6detail15normal_iteratorINSA_10device_ptrIiEEEEPS6_SG_NS0_5tupleIJSF_S6_EEENSH_IJSG_SG_EEES6_PlJNSB_9not_fun_tI6is_oddIiEEEEEE10hipError_tPvRmT3_T4_T5_T6_T7_T9_mT8_P12ihipStream_tbDpT10_ENKUlT_T0_E_clISt17integral_constantIbLb1EES18_EEDaS13_S14_EUlS13_E_NS1_11comp_targetILNS1_3genE3ELNS1_11target_archE908ELNS1_3gpuE7ELNS1_3repE0EEENS1_30default_config_static_selectorELNS0_4arch9wavefront6targetE0EEEvT1_,@function
_ZN7rocprim17ROCPRIM_400000_NS6detail17trampoline_kernelINS0_14default_configENS1_25partition_config_selectorILNS1_17partition_subalgoE6EiNS0_10empty_typeEbEEZZNS1_14partition_implILS5_6ELb0ES3_mN6thrust23THRUST_200600_302600_NS6detail15normal_iteratorINSA_10device_ptrIiEEEEPS6_SG_NS0_5tupleIJSF_S6_EEENSH_IJSG_SG_EEES6_PlJNSB_9not_fun_tI6is_oddIiEEEEEE10hipError_tPvRmT3_T4_T5_T6_T7_T9_mT8_P12ihipStream_tbDpT10_ENKUlT_T0_E_clISt17integral_constantIbLb1EES18_EEDaS13_S14_EUlS13_E_NS1_11comp_targetILNS1_3genE3ELNS1_11target_archE908ELNS1_3gpuE7ELNS1_3repE0EEENS1_30default_config_static_selectorELNS0_4arch9wavefront6targetE0EEEvT1_: ; @_ZN7rocprim17ROCPRIM_400000_NS6detail17trampoline_kernelINS0_14default_configENS1_25partition_config_selectorILNS1_17partition_subalgoE6EiNS0_10empty_typeEbEEZZNS1_14partition_implILS5_6ELb0ES3_mN6thrust23THRUST_200600_302600_NS6detail15normal_iteratorINSA_10device_ptrIiEEEEPS6_SG_NS0_5tupleIJSF_S6_EEENSH_IJSG_SG_EEES6_PlJNSB_9not_fun_tI6is_oddIiEEEEEE10hipError_tPvRmT3_T4_T5_T6_T7_T9_mT8_P12ihipStream_tbDpT10_ENKUlT_T0_E_clISt17integral_constantIbLb1EES18_EEDaS13_S14_EUlS13_E_NS1_11comp_targetILNS1_3genE3ELNS1_11target_archE908ELNS1_3gpuE7ELNS1_3repE0EEENS1_30default_config_static_selectorELNS0_4arch9wavefront6targetE0EEEvT1_
; %bb.0:
	.section	.rodata,"a",@progbits
	.p2align	6, 0x0
	.amdhsa_kernel _ZN7rocprim17ROCPRIM_400000_NS6detail17trampoline_kernelINS0_14default_configENS1_25partition_config_selectorILNS1_17partition_subalgoE6EiNS0_10empty_typeEbEEZZNS1_14partition_implILS5_6ELb0ES3_mN6thrust23THRUST_200600_302600_NS6detail15normal_iteratorINSA_10device_ptrIiEEEEPS6_SG_NS0_5tupleIJSF_S6_EEENSH_IJSG_SG_EEES6_PlJNSB_9not_fun_tI6is_oddIiEEEEEE10hipError_tPvRmT3_T4_T5_T6_T7_T9_mT8_P12ihipStream_tbDpT10_ENKUlT_T0_E_clISt17integral_constantIbLb1EES18_EEDaS13_S14_EUlS13_E_NS1_11comp_targetILNS1_3genE3ELNS1_11target_archE908ELNS1_3gpuE7ELNS1_3repE0EEENS1_30default_config_static_selectorELNS0_4arch9wavefront6targetE0EEEvT1_
		.amdhsa_group_segment_fixed_size 0
		.amdhsa_private_segment_fixed_size 0
		.amdhsa_kernarg_size 128
		.amdhsa_user_sgpr_count 2
		.amdhsa_user_sgpr_dispatch_ptr 0
		.amdhsa_user_sgpr_queue_ptr 0
		.amdhsa_user_sgpr_kernarg_segment_ptr 1
		.amdhsa_user_sgpr_dispatch_id 0
		.amdhsa_user_sgpr_private_segment_size 0
		.amdhsa_wavefront_size32 1
		.amdhsa_uses_dynamic_stack 0
		.amdhsa_enable_private_segment 0
		.amdhsa_system_sgpr_workgroup_id_x 1
		.amdhsa_system_sgpr_workgroup_id_y 0
		.amdhsa_system_sgpr_workgroup_id_z 0
		.amdhsa_system_sgpr_workgroup_info 0
		.amdhsa_system_vgpr_workitem_id 0
		.amdhsa_next_free_vgpr 1
		.amdhsa_next_free_sgpr 1
		.amdhsa_reserve_vcc 0
		.amdhsa_float_round_mode_32 0
		.amdhsa_float_round_mode_16_64 0
		.amdhsa_float_denorm_mode_32 3
		.amdhsa_float_denorm_mode_16_64 3
		.amdhsa_fp16_overflow 0
		.amdhsa_workgroup_processor_mode 1
		.amdhsa_memory_ordered 1
		.amdhsa_forward_progress 1
		.amdhsa_inst_pref_size 0
		.amdhsa_round_robin_scheduling 0
		.amdhsa_exception_fp_ieee_invalid_op 0
		.amdhsa_exception_fp_denorm_src 0
		.amdhsa_exception_fp_ieee_div_zero 0
		.amdhsa_exception_fp_ieee_overflow 0
		.amdhsa_exception_fp_ieee_underflow 0
		.amdhsa_exception_fp_ieee_inexact 0
		.amdhsa_exception_int_div_zero 0
	.end_amdhsa_kernel
	.section	.text._ZN7rocprim17ROCPRIM_400000_NS6detail17trampoline_kernelINS0_14default_configENS1_25partition_config_selectorILNS1_17partition_subalgoE6EiNS0_10empty_typeEbEEZZNS1_14partition_implILS5_6ELb0ES3_mN6thrust23THRUST_200600_302600_NS6detail15normal_iteratorINSA_10device_ptrIiEEEEPS6_SG_NS0_5tupleIJSF_S6_EEENSH_IJSG_SG_EEES6_PlJNSB_9not_fun_tI6is_oddIiEEEEEE10hipError_tPvRmT3_T4_T5_T6_T7_T9_mT8_P12ihipStream_tbDpT10_ENKUlT_T0_E_clISt17integral_constantIbLb1EES18_EEDaS13_S14_EUlS13_E_NS1_11comp_targetILNS1_3genE3ELNS1_11target_archE908ELNS1_3gpuE7ELNS1_3repE0EEENS1_30default_config_static_selectorELNS0_4arch9wavefront6targetE0EEEvT1_,"axG",@progbits,_ZN7rocprim17ROCPRIM_400000_NS6detail17trampoline_kernelINS0_14default_configENS1_25partition_config_selectorILNS1_17partition_subalgoE6EiNS0_10empty_typeEbEEZZNS1_14partition_implILS5_6ELb0ES3_mN6thrust23THRUST_200600_302600_NS6detail15normal_iteratorINSA_10device_ptrIiEEEEPS6_SG_NS0_5tupleIJSF_S6_EEENSH_IJSG_SG_EEES6_PlJNSB_9not_fun_tI6is_oddIiEEEEEE10hipError_tPvRmT3_T4_T5_T6_T7_T9_mT8_P12ihipStream_tbDpT10_ENKUlT_T0_E_clISt17integral_constantIbLb1EES18_EEDaS13_S14_EUlS13_E_NS1_11comp_targetILNS1_3genE3ELNS1_11target_archE908ELNS1_3gpuE7ELNS1_3repE0EEENS1_30default_config_static_selectorELNS0_4arch9wavefront6targetE0EEEvT1_,comdat
.Lfunc_end94:
	.size	_ZN7rocprim17ROCPRIM_400000_NS6detail17trampoline_kernelINS0_14default_configENS1_25partition_config_selectorILNS1_17partition_subalgoE6EiNS0_10empty_typeEbEEZZNS1_14partition_implILS5_6ELb0ES3_mN6thrust23THRUST_200600_302600_NS6detail15normal_iteratorINSA_10device_ptrIiEEEEPS6_SG_NS0_5tupleIJSF_S6_EEENSH_IJSG_SG_EEES6_PlJNSB_9not_fun_tI6is_oddIiEEEEEE10hipError_tPvRmT3_T4_T5_T6_T7_T9_mT8_P12ihipStream_tbDpT10_ENKUlT_T0_E_clISt17integral_constantIbLb1EES18_EEDaS13_S14_EUlS13_E_NS1_11comp_targetILNS1_3genE3ELNS1_11target_archE908ELNS1_3gpuE7ELNS1_3repE0EEENS1_30default_config_static_selectorELNS0_4arch9wavefront6targetE0EEEvT1_, .Lfunc_end94-_ZN7rocprim17ROCPRIM_400000_NS6detail17trampoline_kernelINS0_14default_configENS1_25partition_config_selectorILNS1_17partition_subalgoE6EiNS0_10empty_typeEbEEZZNS1_14partition_implILS5_6ELb0ES3_mN6thrust23THRUST_200600_302600_NS6detail15normal_iteratorINSA_10device_ptrIiEEEEPS6_SG_NS0_5tupleIJSF_S6_EEENSH_IJSG_SG_EEES6_PlJNSB_9not_fun_tI6is_oddIiEEEEEE10hipError_tPvRmT3_T4_T5_T6_T7_T9_mT8_P12ihipStream_tbDpT10_ENKUlT_T0_E_clISt17integral_constantIbLb1EES18_EEDaS13_S14_EUlS13_E_NS1_11comp_targetILNS1_3genE3ELNS1_11target_archE908ELNS1_3gpuE7ELNS1_3repE0EEENS1_30default_config_static_selectorELNS0_4arch9wavefront6targetE0EEEvT1_
                                        ; -- End function
	.set _ZN7rocprim17ROCPRIM_400000_NS6detail17trampoline_kernelINS0_14default_configENS1_25partition_config_selectorILNS1_17partition_subalgoE6EiNS0_10empty_typeEbEEZZNS1_14partition_implILS5_6ELb0ES3_mN6thrust23THRUST_200600_302600_NS6detail15normal_iteratorINSA_10device_ptrIiEEEEPS6_SG_NS0_5tupleIJSF_S6_EEENSH_IJSG_SG_EEES6_PlJNSB_9not_fun_tI6is_oddIiEEEEEE10hipError_tPvRmT3_T4_T5_T6_T7_T9_mT8_P12ihipStream_tbDpT10_ENKUlT_T0_E_clISt17integral_constantIbLb1EES18_EEDaS13_S14_EUlS13_E_NS1_11comp_targetILNS1_3genE3ELNS1_11target_archE908ELNS1_3gpuE7ELNS1_3repE0EEENS1_30default_config_static_selectorELNS0_4arch9wavefront6targetE0EEEvT1_.num_vgpr, 0
	.set _ZN7rocprim17ROCPRIM_400000_NS6detail17trampoline_kernelINS0_14default_configENS1_25partition_config_selectorILNS1_17partition_subalgoE6EiNS0_10empty_typeEbEEZZNS1_14partition_implILS5_6ELb0ES3_mN6thrust23THRUST_200600_302600_NS6detail15normal_iteratorINSA_10device_ptrIiEEEEPS6_SG_NS0_5tupleIJSF_S6_EEENSH_IJSG_SG_EEES6_PlJNSB_9not_fun_tI6is_oddIiEEEEEE10hipError_tPvRmT3_T4_T5_T6_T7_T9_mT8_P12ihipStream_tbDpT10_ENKUlT_T0_E_clISt17integral_constantIbLb1EES18_EEDaS13_S14_EUlS13_E_NS1_11comp_targetILNS1_3genE3ELNS1_11target_archE908ELNS1_3gpuE7ELNS1_3repE0EEENS1_30default_config_static_selectorELNS0_4arch9wavefront6targetE0EEEvT1_.num_agpr, 0
	.set _ZN7rocprim17ROCPRIM_400000_NS6detail17trampoline_kernelINS0_14default_configENS1_25partition_config_selectorILNS1_17partition_subalgoE6EiNS0_10empty_typeEbEEZZNS1_14partition_implILS5_6ELb0ES3_mN6thrust23THRUST_200600_302600_NS6detail15normal_iteratorINSA_10device_ptrIiEEEEPS6_SG_NS0_5tupleIJSF_S6_EEENSH_IJSG_SG_EEES6_PlJNSB_9not_fun_tI6is_oddIiEEEEEE10hipError_tPvRmT3_T4_T5_T6_T7_T9_mT8_P12ihipStream_tbDpT10_ENKUlT_T0_E_clISt17integral_constantIbLb1EES18_EEDaS13_S14_EUlS13_E_NS1_11comp_targetILNS1_3genE3ELNS1_11target_archE908ELNS1_3gpuE7ELNS1_3repE0EEENS1_30default_config_static_selectorELNS0_4arch9wavefront6targetE0EEEvT1_.numbered_sgpr, 0
	.set _ZN7rocprim17ROCPRIM_400000_NS6detail17trampoline_kernelINS0_14default_configENS1_25partition_config_selectorILNS1_17partition_subalgoE6EiNS0_10empty_typeEbEEZZNS1_14partition_implILS5_6ELb0ES3_mN6thrust23THRUST_200600_302600_NS6detail15normal_iteratorINSA_10device_ptrIiEEEEPS6_SG_NS0_5tupleIJSF_S6_EEENSH_IJSG_SG_EEES6_PlJNSB_9not_fun_tI6is_oddIiEEEEEE10hipError_tPvRmT3_T4_T5_T6_T7_T9_mT8_P12ihipStream_tbDpT10_ENKUlT_T0_E_clISt17integral_constantIbLb1EES18_EEDaS13_S14_EUlS13_E_NS1_11comp_targetILNS1_3genE3ELNS1_11target_archE908ELNS1_3gpuE7ELNS1_3repE0EEENS1_30default_config_static_selectorELNS0_4arch9wavefront6targetE0EEEvT1_.num_named_barrier, 0
	.set _ZN7rocprim17ROCPRIM_400000_NS6detail17trampoline_kernelINS0_14default_configENS1_25partition_config_selectorILNS1_17partition_subalgoE6EiNS0_10empty_typeEbEEZZNS1_14partition_implILS5_6ELb0ES3_mN6thrust23THRUST_200600_302600_NS6detail15normal_iteratorINSA_10device_ptrIiEEEEPS6_SG_NS0_5tupleIJSF_S6_EEENSH_IJSG_SG_EEES6_PlJNSB_9not_fun_tI6is_oddIiEEEEEE10hipError_tPvRmT3_T4_T5_T6_T7_T9_mT8_P12ihipStream_tbDpT10_ENKUlT_T0_E_clISt17integral_constantIbLb1EES18_EEDaS13_S14_EUlS13_E_NS1_11comp_targetILNS1_3genE3ELNS1_11target_archE908ELNS1_3gpuE7ELNS1_3repE0EEENS1_30default_config_static_selectorELNS0_4arch9wavefront6targetE0EEEvT1_.private_seg_size, 0
	.set _ZN7rocprim17ROCPRIM_400000_NS6detail17trampoline_kernelINS0_14default_configENS1_25partition_config_selectorILNS1_17partition_subalgoE6EiNS0_10empty_typeEbEEZZNS1_14partition_implILS5_6ELb0ES3_mN6thrust23THRUST_200600_302600_NS6detail15normal_iteratorINSA_10device_ptrIiEEEEPS6_SG_NS0_5tupleIJSF_S6_EEENSH_IJSG_SG_EEES6_PlJNSB_9not_fun_tI6is_oddIiEEEEEE10hipError_tPvRmT3_T4_T5_T6_T7_T9_mT8_P12ihipStream_tbDpT10_ENKUlT_T0_E_clISt17integral_constantIbLb1EES18_EEDaS13_S14_EUlS13_E_NS1_11comp_targetILNS1_3genE3ELNS1_11target_archE908ELNS1_3gpuE7ELNS1_3repE0EEENS1_30default_config_static_selectorELNS0_4arch9wavefront6targetE0EEEvT1_.uses_vcc, 0
	.set _ZN7rocprim17ROCPRIM_400000_NS6detail17trampoline_kernelINS0_14default_configENS1_25partition_config_selectorILNS1_17partition_subalgoE6EiNS0_10empty_typeEbEEZZNS1_14partition_implILS5_6ELb0ES3_mN6thrust23THRUST_200600_302600_NS6detail15normal_iteratorINSA_10device_ptrIiEEEEPS6_SG_NS0_5tupleIJSF_S6_EEENSH_IJSG_SG_EEES6_PlJNSB_9not_fun_tI6is_oddIiEEEEEE10hipError_tPvRmT3_T4_T5_T6_T7_T9_mT8_P12ihipStream_tbDpT10_ENKUlT_T0_E_clISt17integral_constantIbLb1EES18_EEDaS13_S14_EUlS13_E_NS1_11comp_targetILNS1_3genE3ELNS1_11target_archE908ELNS1_3gpuE7ELNS1_3repE0EEENS1_30default_config_static_selectorELNS0_4arch9wavefront6targetE0EEEvT1_.uses_flat_scratch, 0
	.set _ZN7rocprim17ROCPRIM_400000_NS6detail17trampoline_kernelINS0_14default_configENS1_25partition_config_selectorILNS1_17partition_subalgoE6EiNS0_10empty_typeEbEEZZNS1_14partition_implILS5_6ELb0ES3_mN6thrust23THRUST_200600_302600_NS6detail15normal_iteratorINSA_10device_ptrIiEEEEPS6_SG_NS0_5tupleIJSF_S6_EEENSH_IJSG_SG_EEES6_PlJNSB_9not_fun_tI6is_oddIiEEEEEE10hipError_tPvRmT3_T4_T5_T6_T7_T9_mT8_P12ihipStream_tbDpT10_ENKUlT_T0_E_clISt17integral_constantIbLb1EES18_EEDaS13_S14_EUlS13_E_NS1_11comp_targetILNS1_3genE3ELNS1_11target_archE908ELNS1_3gpuE7ELNS1_3repE0EEENS1_30default_config_static_selectorELNS0_4arch9wavefront6targetE0EEEvT1_.has_dyn_sized_stack, 0
	.set _ZN7rocprim17ROCPRIM_400000_NS6detail17trampoline_kernelINS0_14default_configENS1_25partition_config_selectorILNS1_17partition_subalgoE6EiNS0_10empty_typeEbEEZZNS1_14partition_implILS5_6ELb0ES3_mN6thrust23THRUST_200600_302600_NS6detail15normal_iteratorINSA_10device_ptrIiEEEEPS6_SG_NS0_5tupleIJSF_S6_EEENSH_IJSG_SG_EEES6_PlJNSB_9not_fun_tI6is_oddIiEEEEEE10hipError_tPvRmT3_T4_T5_T6_T7_T9_mT8_P12ihipStream_tbDpT10_ENKUlT_T0_E_clISt17integral_constantIbLb1EES18_EEDaS13_S14_EUlS13_E_NS1_11comp_targetILNS1_3genE3ELNS1_11target_archE908ELNS1_3gpuE7ELNS1_3repE0EEENS1_30default_config_static_selectorELNS0_4arch9wavefront6targetE0EEEvT1_.has_recursion, 0
	.set _ZN7rocprim17ROCPRIM_400000_NS6detail17trampoline_kernelINS0_14default_configENS1_25partition_config_selectorILNS1_17partition_subalgoE6EiNS0_10empty_typeEbEEZZNS1_14partition_implILS5_6ELb0ES3_mN6thrust23THRUST_200600_302600_NS6detail15normal_iteratorINSA_10device_ptrIiEEEEPS6_SG_NS0_5tupleIJSF_S6_EEENSH_IJSG_SG_EEES6_PlJNSB_9not_fun_tI6is_oddIiEEEEEE10hipError_tPvRmT3_T4_T5_T6_T7_T9_mT8_P12ihipStream_tbDpT10_ENKUlT_T0_E_clISt17integral_constantIbLb1EES18_EEDaS13_S14_EUlS13_E_NS1_11comp_targetILNS1_3genE3ELNS1_11target_archE908ELNS1_3gpuE7ELNS1_3repE0EEENS1_30default_config_static_selectorELNS0_4arch9wavefront6targetE0EEEvT1_.has_indirect_call, 0
	.section	.AMDGPU.csdata,"",@progbits
; Kernel info:
; codeLenInByte = 0
; TotalNumSgprs: 0
; NumVgprs: 0
; ScratchSize: 0
; MemoryBound: 0
; FloatMode: 240
; IeeeMode: 1
; LDSByteSize: 0 bytes/workgroup (compile time only)
; SGPRBlocks: 0
; VGPRBlocks: 0
; NumSGPRsForWavesPerEU: 1
; NumVGPRsForWavesPerEU: 1
; Occupancy: 16
; WaveLimiterHint : 0
; COMPUTE_PGM_RSRC2:SCRATCH_EN: 0
; COMPUTE_PGM_RSRC2:USER_SGPR: 2
; COMPUTE_PGM_RSRC2:TRAP_HANDLER: 0
; COMPUTE_PGM_RSRC2:TGID_X_EN: 1
; COMPUTE_PGM_RSRC2:TGID_Y_EN: 0
; COMPUTE_PGM_RSRC2:TGID_Z_EN: 0
; COMPUTE_PGM_RSRC2:TIDIG_COMP_CNT: 0
	.section	.text._ZN7rocprim17ROCPRIM_400000_NS6detail17trampoline_kernelINS0_14default_configENS1_25partition_config_selectorILNS1_17partition_subalgoE6EiNS0_10empty_typeEbEEZZNS1_14partition_implILS5_6ELb0ES3_mN6thrust23THRUST_200600_302600_NS6detail15normal_iteratorINSA_10device_ptrIiEEEEPS6_SG_NS0_5tupleIJSF_S6_EEENSH_IJSG_SG_EEES6_PlJNSB_9not_fun_tI6is_oddIiEEEEEE10hipError_tPvRmT3_T4_T5_T6_T7_T9_mT8_P12ihipStream_tbDpT10_ENKUlT_T0_E_clISt17integral_constantIbLb1EES18_EEDaS13_S14_EUlS13_E_NS1_11comp_targetILNS1_3genE2ELNS1_11target_archE906ELNS1_3gpuE6ELNS1_3repE0EEENS1_30default_config_static_selectorELNS0_4arch9wavefront6targetE0EEEvT1_,"axG",@progbits,_ZN7rocprim17ROCPRIM_400000_NS6detail17trampoline_kernelINS0_14default_configENS1_25partition_config_selectorILNS1_17partition_subalgoE6EiNS0_10empty_typeEbEEZZNS1_14partition_implILS5_6ELb0ES3_mN6thrust23THRUST_200600_302600_NS6detail15normal_iteratorINSA_10device_ptrIiEEEEPS6_SG_NS0_5tupleIJSF_S6_EEENSH_IJSG_SG_EEES6_PlJNSB_9not_fun_tI6is_oddIiEEEEEE10hipError_tPvRmT3_T4_T5_T6_T7_T9_mT8_P12ihipStream_tbDpT10_ENKUlT_T0_E_clISt17integral_constantIbLb1EES18_EEDaS13_S14_EUlS13_E_NS1_11comp_targetILNS1_3genE2ELNS1_11target_archE906ELNS1_3gpuE6ELNS1_3repE0EEENS1_30default_config_static_selectorELNS0_4arch9wavefront6targetE0EEEvT1_,comdat
	.protected	_ZN7rocprim17ROCPRIM_400000_NS6detail17trampoline_kernelINS0_14default_configENS1_25partition_config_selectorILNS1_17partition_subalgoE6EiNS0_10empty_typeEbEEZZNS1_14partition_implILS5_6ELb0ES3_mN6thrust23THRUST_200600_302600_NS6detail15normal_iteratorINSA_10device_ptrIiEEEEPS6_SG_NS0_5tupleIJSF_S6_EEENSH_IJSG_SG_EEES6_PlJNSB_9not_fun_tI6is_oddIiEEEEEE10hipError_tPvRmT3_T4_T5_T6_T7_T9_mT8_P12ihipStream_tbDpT10_ENKUlT_T0_E_clISt17integral_constantIbLb1EES18_EEDaS13_S14_EUlS13_E_NS1_11comp_targetILNS1_3genE2ELNS1_11target_archE906ELNS1_3gpuE6ELNS1_3repE0EEENS1_30default_config_static_selectorELNS0_4arch9wavefront6targetE0EEEvT1_ ; -- Begin function _ZN7rocprim17ROCPRIM_400000_NS6detail17trampoline_kernelINS0_14default_configENS1_25partition_config_selectorILNS1_17partition_subalgoE6EiNS0_10empty_typeEbEEZZNS1_14partition_implILS5_6ELb0ES3_mN6thrust23THRUST_200600_302600_NS6detail15normal_iteratorINSA_10device_ptrIiEEEEPS6_SG_NS0_5tupleIJSF_S6_EEENSH_IJSG_SG_EEES6_PlJNSB_9not_fun_tI6is_oddIiEEEEEE10hipError_tPvRmT3_T4_T5_T6_T7_T9_mT8_P12ihipStream_tbDpT10_ENKUlT_T0_E_clISt17integral_constantIbLb1EES18_EEDaS13_S14_EUlS13_E_NS1_11comp_targetILNS1_3genE2ELNS1_11target_archE906ELNS1_3gpuE6ELNS1_3repE0EEENS1_30default_config_static_selectorELNS0_4arch9wavefront6targetE0EEEvT1_
	.globl	_ZN7rocprim17ROCPRIM_400000_NS6detail17trampoline_kernelINS0_14default_configENS1_25partition_config_selectorILNS1_17partition_subalgoE6EiNS0_10empty_typeEbEEZZNS1_14partition_implILS5_6ELb0ES3_mN6thrust23THRUST_200600_302600_NS6detail15normal_iteratorINSA_10device_ptrIiEEEEPS6_SG_NS0_5tupleIJSF_S6_EEENSH_IJSG_SG_EEES6_PlJNSB_9not_fun_tI6is_oddIiEEEEEE10hipError_tPvRmT3_T4_T5_T6_T7_T9_mT8_P12ihipStream_tbDpT10_ENKUlT_T0_E_clISt17integral_constantIbLb1EES18_EEDaS13_S14_EUlS13_E_NS1_11comp_targetILNS1_3genE2ELNS1_11target_archE906ELNS1_3gpuE6ELNS1_3repE0EEENS1_30default_config_static_selectorELNS0_4arch9wavefront6targetE0EEEvT1_
	.p2align	8
	.type	_ZN7rocprim17ROCPRIM_400000_NS6detail17trampoline_kernelINS0_14default_configENS1_25partition_config_selectorILNS1_17partition_subalgoE6EiNS0_10empty_typeEbEEZZNS1_14partition_implILS5_6ELb0ES3_mN6thrust23THRUST_200600_302600_NS6detail15normal_iteratorINSA_10device_ptrIiEEEEPS6_SG_NS0_5tupleIJSF_S6_EEENSH_IJSG_SG_EEES6_PlJNSB_9not_fun_tI6is_oddIiEEEEEE10hipError_tPvRmT3_T4_T5_T6_T7_T9_mT8_P12ihipStream_tbDpT10_ENKUlT_T0_E_clISt17integral_constantIbLb1EES18_EEDaS13_S14_EUlS13_E_NS1_11comp_targetILNS1_3genE2ELNS1_11target_archE906ELNS1_3gpuE6ELNS1_3repE0EEENS1_30default_config_static_selectorELNS0_4arch9wavefront6targetE0EEEvT1_,@function
_ZN7rocprim17ROCPRIM_400000_NS6detail17trampoline_kernelINS0_14default_configENS1_25partition_config_selectorILNS1_17partition_subalgoE6EiNS0_10empty_typeEbEEZZNS1_14partition_implILS5_6ELb0ES3_mN6thrust23THRUST_200600_302600_NS6detail15normal_iteratorINSA_10device_ptrIiEEEEPS6_SG_NS0_5tupleIJSF_S6_EEENSH_IJSG_SG_EEES6_PlJNSB_9not_fun_tI6is_oddIiEEEEEE10hipError_tPvRmT3_T4_T5_T6_T7_T9_mT8_P12ihipStream_tbDpT10_ENKUlT_T0_E_clISt17integral_constantIbLb1EES18_EEDaS13_S14_EUlS13_E_NS1_11comp_targetILNS1_3genE2ELNS1_11target_archE906ELNS1_3gpuE6ELNS1_3repE0EEENS1_30default_config_static_selectorELNS0_4arch9wavefront6targetE0EEEvT1_: ; @_ZN7rocprim17ROCPRIM_400000_NS6detail17trampoline_kernelINS0_14default_configENS1_25partition_config_selectorILNS1_17partition_subalgoE6EiNS0_10empty_typeEbEEZZNS1_14partition_implILS5_6ELb0ES3_mN6thrust23THRUST_200600_302600_NS6detail15normal_iteratorINSA_10device_ptrIiEEEEPS6_SG_NS0_5tupleIJSF_S6_EEENSH_IJSG_SG_EEES6_PlJNSB_9not_fun_tI6is_oddIiEEEEEE10hipError_tPvRmT3_T4_T5_T6_T7_T9_mT8_P12ihipStream_tbDpT10_ENKUlT_T0_E_clISt17integral_constantIbLb1EES18_EEDaS13_S14_EUlS13_E_NS1_11comp_targetILNS1_3genE2ELNS1_11target_archE906ELNS1_3gpuE6ELNS1_3repE0EEENS1_30default_config_static_selectorELNS0_4arch9wavefront6targetE0EEEvT1_
; %bb.0:
	.section	.rodata,"a",@progbits
	.p2align	6, 0x0
	.amdhsa_kernel _ZN7rocprim17ROCPRIM_400000_NS6detail17trampoline_kernelINS0_14default_configENS1_25partition_config_selectorILNS1_17partition_subalgoE6EiNS0_10empty_typeEbEEZZNS1_14partition_implILS5_6ELb0ES3_mN6thrust23THRUST_200600_302600_NS6detail15normal_iteratorINSA_10device_ptrIiEEEEPS6_SG_NS0_5tupleIJSF_S6_EEENSH_IJSG_SG_EEES6_PlJNSB_9not_fun_tI6is_oddIiEEEEEE10hipError_tPvRmT3_T4_T5_T6_T7_T9_mT8_P12ihipStream_tbDpT10_ENKUlT_T0_E_clISt17integral_constantIbLb1EES18_EEDaS13_S14_EUlS13_E_NS1_11comp_targetILNS1_3genE2ELNS1_11target_archE906ELNS1_3gpuE6ELNS1_3repE0EEENS1_30default_config_static_selectorELNS0_4arch9wavefront6targetE0EEEvT1_
		.amdhsa_group_segment_fixed_size 0
		.amdhsa_private_segment_fixed_size 0
		.amdhsa_kernarg_size 128
		.amdhsa_user_sgpr_count 2
		.amdhsa_user_sgpr_dispatch_ptr 0
		.amdhsa_user_sgpr_queue_ptr 0
		.amdhsa_user_sgpr_kernarg_segment_ptr 1
		.amdhsa_user_sgpr_dispatch_id 0
		.amdhsa_user_sgpr_private_segment_size 0
		.amdhsa_wavefront_size32 1
		.amdhsa_uses_dynamic_stack 0
		.amdhsa_enable_private_segment 0
		.amdhsa_system_sgpr_workgroup_id_x 1
		.amdhsa_system_sgpr_workgroup_id_y 0
		.amdhsa_system_sgpr_workgroup_id_z 0
		.amdhsa_system_sgpr_workgroup_info 0
		.amdhsa_system_vgpr_workitem_id 0
		.amdhsa_next_free_vgpr 1
		.amdhsa_next_free_sgpr 1
		.amdhsa_reserve_vcc 0
		.amdhsa_float_round_mode_32 0
		.amdhsa_float_round_mode_16_64 0
		.amdhsa_float_denorm_mode_32 3
		.amdhsa_float_denorm_mode_16_64 3
		.amdhsa_fp16_overflow 0
		.amdhsa_workgroup_processor_mode 1
		.amdhsa_memory_ordered 1
		.amdhsa_forward_progress 1
		.amdhsa_inst_pref_size 0
		.amdhsa_round_robin_scheduling 0
		.amdhsa_exception_fp_ieee_invalid_op 0
		.amdhsa_exception_fp_denorm_src 0
		.amdhsa_exception_fp_ieee_div_zero 0
		.amdhsa_exception_fp_ieee_overflow 0
		.amdhsa_exception_fp_ieee_underflow 0
		.amdhsa_exception_fp_ieee_inexact 0
		.amdhsa_exception_int_div_zero 0
	.end_amdhsa_kernel
	.section	.text._ZN7rocprim17ROCPRIM_400000_NS6detail17trampoline_kernelINS0_14default_configENS1_25partition_config_selectorILNS1_17partition_subalgoE6EiNS0_10empty_typeEbEEZZNS1_14partition_implILS5_6ELb0ES3_mN6thrust23THRUST_200600_302600_NS6detail15normal_iteratorINSA_10device_ptrIiEEEEPS6_SG_NS0_5tupleIJSF_S6_EEENSH_IJSG_SG_EEES6_PlJNSB_9not_fun_tI6is_oddIiEEEEEE10hipError_tPvRmT3_T4_T5_T6_T7_T9_mT8_P12ihipStream_tbDpT10_ENKUlT_T0_E_clISt17integral_constantIbLb1EES18_EEDaS13_S14_EUlS13_E_NS1_11comp_targetILNS1_3genE2ELNS1_11target_archE906ELNS1_3gpuE6ELNS1_3repE0EEENS1_30default_config_static_selectorELNS0_4arch9wavefront6targetE0EEEvT1_,"axG",@progbits,_ZN7rocprim17ROCPRIM_400000_NS6detail17trampoline_kernelINS0_14default_configENS1_25partition_config_selectorILNS1_17partition_subalgoE6EiNS0_10empty_typeEbEEZZNS1_14partition_implILS5_6ELb0ES3_mN6thrust23THRUST_200600_302600_NS6detail15normal_iteratorINSA_10device_ptrIiEEEEPS6_SG_NS0_5tupleIJSF_S6_EEENSH_IJSG_SG_EEES6_PlJNSB_9not_fun_tI6is_oddIiEEEEEE10hipError_tPvRmT3_T4_T5_T6_T7_T9_mT8_P12ihipStream_tbDpT10_ENKUlT_T0_E_clISt17integral_constantIbLb1EES18_EEDaS13_S14_EUlS13_E_NS1_11comp_targetILNS1_3genE2ELNS1_11target_archE906ELNS1_3gpuE6ELNS1_3repE0EEENS1_30default_config_static_selectorELNS0_4arch9wavefront6targetE0EEEvT1_,comdat
.Lfunc_end95:
	.size	_ZN7rocprim17ROCPRIM_400000_NS6detail17trampoline_kernelINS0_14default_configENS1_25partition_config_selectorILNS1_17partition_subalgoE6EiNS0_10empty_typeEbEEZZNS1_14partition_implILS5_6ELb0ES3_mN6thrust23THRUST_200600_302600_NS6detail15normal_iteratorINSA_10device_ptrIiEEEEPS6_SG_NS0_5tupleIJSF_S6_EEENSH_IJSG_SG_EEES6_PlJNSB_9not_fun_tI6is_oddIiEEEEEE10hipError_tPvRmT3_T4_T5_T6_T7_T9_mT8_P12ihipStream_tbDpT10_ENKUlT_T0_E_clISt17integral_constantIbLb1EES18_EEDaS13_S14_EUlS13_E_NS1_11comp_targetILNS1_3genE2ELNS1_11target_archE906ELNS1_3gpuE6ELNS1_3repE0EEENS1_30default_config_static_selectorELNS0_4arch9wavefront6targetE0EEEvT1_, .Lfunc_end95-_ZN7rocprim17ROCPRIM_400000_NS6detail17trampoline_kernelINS0_14default_configENS1_25partition_config_selectorILNS1_17partition_subalgoE6EiNS0_10empty_typeEbEEZZNS1_14partition_implILS5_6ELb0ES3_mN6thrust23THRUST_200600_302600_NS6detail15normal_iteratorINSA_10device_ptrIiEEEEPS6_SG_NS0_5tupleIJSF_S6_EEENSH_IJSG_SG_EEES6_PlJNSB_9not_fun_tI6is_oddIiEEEEEE10hipError_tPvRmT3_T4_T5_T6_T7_T9_mT8_P12ihipStream_tbDpT10_ENKUlT_T0_E_clISt17integral_constantIbLb1EES18_EEDaS13_S14_EUlS13_E_NS1_11comp_targetILNS1_3genE2ELNS1_11target_archE906ELNS1_3gpuE6ELNS1_3repE0EEENS1_30default_config_static_selectorELNS0_4arch9wavefront6targetE0EEEvT1_
                                        ; -- End function
	.set _ZN7rocprim17ROCPRIM_400000_NS6detail17trampoline_kernelINS0_14default_configENS1_25partition_config_selectorILNS1_17partition_subalgoE6EiNS0_10empty_typeEbEEZZNS1_14partition_implILS5_6ELb0ES3_mN6thrust23THRUST_200600_302600_NS6detail15normal_iteratorINSA_10device_ptrIiEEEEPS6_SG_NS0_5tupleIJSF_S6_EEENSH_IJSG_SG_EEES6_PlJNSB_9not_fun_tI6is_oddIiEEEEEE10hipError_tPvRmT3_T4_T5_T6_T7_T9_mT8_P12ihipStream_tbDpT10_ENKUlT_T0_E_clISt17integral_constantIbLb1EES18_EEDaS13_S14_EUlS13_E_NS1_11comp_targetILNS1_3genE2ELNS1_11target_archE906ELNS1_3gpuE6ELNS1_3repE0EEENS1_30default_config_static_selectorELNS0_4arch9wavefront6targetE0EEEvT1_.num_vgpr, 0
	.set _ZN7rocprim17ROCPRIM_400000_NS6detail17trampoline_kernelINS0_14default_configENS1_25partition_config_selectorILNS1_17partition_subalgoE6EiNS0_10empty_typeEbEEZZNS1_14partition_implILS5_6ELb0ES3_mN6thrust23THRUST_200600_302600_NS6detail15normal_iteratorINSA_10device_ptrIiEEEEPS6_SG_NS0_5tupleIJSF_S6_EEENSH_IJSG_SG_EEES6_PlJNSB_9not_fun_tI6is_oddIiEEEEEE10hipError_tPvRmT3_T4_T5_T6_T7_T9_mT8_P12ihipStream_tbDpT10_ENKUlT_T0_E_clISt17integral_constantIbLb1EES18_EEDaS13_S14_EUlS13_E_NS1_11comp_targetILNS1_3genE2ELNS1_11target_archE906ELNS1_3gpuE6ELNS1_3repE0EEENS1_30default_config_static_selectorELNS0_4arch9wavefront6targetE0EEEvT1_.num_agpr, 0
	.set _ZN7rocprim17ROCPRIM_400000_NS6detail17trampoline_kernelINS0_14default_configENS1_25partition_config_selectorILNS1_17partition_subalgoE6EiNS0_10empty_typeEbEEZZNS1_14partition_implILS5_6ELb0ES3_mN6thrust23THRUST_200600_302600_NS6detail15normal_iteratorINSA_10device_ptrIiEEEEPS6_SG_NS0_5tupleIJSF_S6_EEENSH_IJSG_SG_EEES6_PlJNSB_9not_fun_tI6is_oddIiEEEEEE10hipError_tPvRmT3_T4_T5_T6_T7_T9_mT8_P12ihipStream_tbDpT10_ENKUlT_T0_E_clISt17integral_constantIbLb1EES18_EEDaS13_S14_EUlS13_E_NS1_11comp_targetILNS1_3genE2ELNS1_11target_archE906ELNS1_3gpuE6ELNS1_3repE0EEENS1_30default_config_static_selectorELNS0_4arch9wavefront6targetE0EEEvT1_.numbered_sgpr, 0
	.set _ZN7rocprim17ROCPRIM_400000_NS6detail17trampoline_kernelINS0_14default_configENS1_25partition_config_selectorILNS1_17partition_subalgoE6EiNS0_10empty_typeEbEEZZNS1_14partition_implILS5_6ELb0ES3_mN6thrust23THRUST_200600_302600_NS6detail15normal_iteratorINSA_10device_ptrIiEEEEPS6_SG_NS0_5tupleIJSF_S6_EEENSH_IJSG_SG_EEES6_PlJNSB_9not_fun_tI6is_oddIiEEEEEE10hipError_tPvRmT3_T4_T5_T6_T7_T9_mT8_P12ihipStream_tbDpT10_ENKUlT_T0_E_clISt17integral_constantIbLb1EES18_EEDaS13_S14_EUlS13_E_NS1_11comp_targetILNS1_3genE2ELNS1_11target_archE906ELNS1_3gpuE6ELNS1_3repE0EEENS1_30default_config_static_selectorELNS0_4arch9wavefront6targetE0EEEvT1_.num_named_barrier, 0
	.set _ZN7rocprim17ROCPRIM_400000_NS6detail17trampoline_kernelINS0_14default_configENS1_25partition_config_selectorILNS1_17partition_subalgoE6EiNS0_10empty_typeEbEEZZNS1_14partition_implILS5_6ELb0ES3_mN6thrust23THRUST_200600_302600_NS6detail15normal_iteratorINSA_10device_ptrIiEEEEPS6_SG_NS0_5tupleIJSF_S6_EEENSH_IJSG_SG_EEES6_PlJNSB_9not_fun_tI6is_oddIiEEEEEE10hipError_tPvRmT3_T4_T5_T6_T7_T9_mT8_P12ihipStream_tbDpT10_ENKUlT_T0_E_clISt17integral_constantIbLb1EES18_EEDaS13_S14_EUlS13_E_NS1_11comp_targetILNS1_3genE2ELNS1_11target_archE906ELNS1_3gpuE6ELNS1_3repE0EEENS1_30default_config_static_selectorELNS0_4arch9wavefront6targetE0EEEvT1_.private_seg_size, 0
	.set _ZN7rocprim17ROCPRIM_400000_NS6detail17trampoline_kernelINS0_14default_configENS1_25partition_config_selectorILNS1_17partition_subalgoE6EiNS0_10empty_typeEbEEZZNS1_14partition_implILS5_6ELb0ES3_mN6thrust23THRUST_200600_302600_NS6detail15normal_iteratorINSA_10device_ptrIiEEEEPS6_SG_NS0_5tupleIJSF_S6_EEENSH_IJSG_SG_EEES6_PlJNSB_9not_fun_tI6is_oddIiEEEEEE10hipError_tPvRmT3_T4_T5_T6_T7_T9_mT8_P12ihipStream_tbDpT10_ENKUlT_T0_E_clISt17integral_constantIbLb1EES18_EEDaS13_S14_EUlS13_E_NS1_11comp_targetILNS1_3genE2ELNS1_11target_archE906ELNS1_3gpuE6ELNS1_3repE0EEENS1_30default_config_static_selectorELNS0_4arch9wavefront6targetE0EEEvT1_.uses_vcc, 0
	.set _ZN7rocprim17ROCPRIM_400000_NS6detail17trampoline_kernelINS0_14default_configENS1_25partition_config_selectorILNS1_17partition_subalgoE6EiNS0_10empty_typeEbEEZZNS1_14partition_implILS5_6ELb0ES3_mN6thrust23THRUST_200600_302600_NS6detail15normal_iteratorINSA_10device_ptrIiEEEEPS6_SG_NS0_5tupleIJSF_S6_EEENSH_IJSG_SG_EEES6_PlJNSB_9not_fun_tI6is_oddIiEEEEEE10hipError_tPvRmT3_T4_T5_T6_T7_T9_mT8_P12ihipStream_tbDpT10_ENKUlT_T0_E_clISt17integral_constantIbLb1EES18_EEDaS13_S14_EUlS13_E_NS1_11comp_targetILNS1_3genE2ELNS1_11target_archE906ELNS1_3gpuE6ELNS1_3repE0EEENS1_30default_config_static_selectorELNS0_4arch9wavefront6targetE0EEEvT1_.uses_flat_scratch, 0
	.set _ZN7rocprim17ROCPRIM_400000_NS6detail17trampoline_kernelINS0_14default_configENS1_25partition_config_selectorILNS1_17partition_subalgoE6EiNS0_10empty_typeEbEEZZNS1_14partition_implILS5_6ELb0ES3_mN6thrust23THRUST_200600_302600_NS6detail15normal_iteratorINSA_10device_ptrIiEEEEPS6_SG_NS0_5tupleIJSF_S6_EEENSH_IJSG_SG_EEES6_PlJNSB_9not_fun_tI6is_oddIiEEEEEE10hipError_tPvRmT3_T4_T5_T6_T7_T9_mT8_P12ihipStream_tbDpT10_ENKUlT_T0_E_clISt17integral_constantIbLb1EES18_EEDaS13_S14_EUlS13_E_NS1_11comp_targetILNS1_3genE2ELNS1_11target_archE906ELNS1_3gpuE6ELNS1_3repE0EEENS1_30default_config_static_selectorELNS0_4arch9wavefront6targetE0EEEvT1_.has_dyn_sized_stack, 0
	.set _ZN7rocprim17ROCPRIM_400000_NS6detail17trampoline_kernelINS0_14default_configENS1_25partition_config_selectorILNS1_17partition_subalgoE6EiNS0_10empty_typeEbEEZZNS1_14partition_implILS5_6ELb0ES3_mN6thrust23THRUST_200600_302600_NS6detail15normal_iteratorINSA_10device_ptrIiEEEEPS6_SG_NS0_5tupleIJSF_S6_EEENSH_IJSG_SG_EEES6_PlJNSB_9not_fun_tI6is_oddIiEEEEEE10hipError_tPvRmT3_T4_T5_T6_T7_T9_mT8_P12ihipStream_tbDpT10_ENKUlT_T0_E_clISt17integral_constantIbLb1EES18_EEDaS13_S14_EUlS13_E_NS1_11comp_targetILNS1_3genE2ELNS1_11target_archE906ELNS1_3gpuE6ELNS1_3repE0EEENS1_30default_config_static_selectorELNS0_4arch9wavefront6targetE0EEEvT1_.has_recursion, 0
	.set _ZN7rocprim17ROCPRIM_400000_NS6detail17trampoline_kernelINS0_14default_configENS1_25partition_config_selectorILNS1_17partition_subalgoE6EiNS0_10empty_typeEbEEZZNS1_14partition_implILS5_6ELb0ES3_mN6thrust23THRUST_200600_302600_NS6detail15normal_iteratorINSA_10device_ptrIiEEEEPS6_SG_NS0_5tupleIJSF_S6_EEENSH_IJSG_SG_EEES6_PlJNSB_9not_fun_tI6is_oddIiEEEEEE10hipError_tPvRmT3_T4_T5_T6_T7_T9_mT8_P12ihipStream_tbDpT10_ENKUlT_T0_E_clISt17integral_constantIbLb1EES18_EEDaS13_S14_EUlS13_E_NS1_11comp_targetILNS1_3genE2ELNS1_11target_archE906ELNS1_3gpuE6ELNS1_3repE0EEENS1_30default_config_static_selectorELNS0_4arch9wavefront6targetE0EEEvT1_.has_indirect_call, 0
	.section	.AMDGPU.csdata,"",@progbits
; Kernel info:
; codeLenInByte = 0
; TotalNumSgprs: 0
; NumVgprs: 0
; ScratchSize: 0
; MemoryBound: 0
; FloatMode: 240
; IeeeMode: 1
; LDSByteSize: 0 bytes/workgroup (compile time only)
; SGPRBlocks: 0
; VGPRBlocks: 0
; NumSGPRsForWavesPerEU: 1
; NumVGPRsForWavesPerEU: 1
; Occupancy: 16
; WaveLimiterHint : 0
; COMPUTE_PGM_RSRC2:SCRATCH_EN: 0
; COMPUTE_PGM_RSRC2:USER_SGPR: 2
; COMPUTE_PGM_RSRC2:TRAP_HANDLER: 0
; COMPUTE_PGM_RSRC2:TGID_X_EN: 1
; COMPUTE_PGM_RSRC2:TGID_Y_EN: 0
; COMPUTE_PGM_RSRC2:TGID_Z_EN: 0
; COMPUTE_PGM_RSRC2:TIDIG_COMP_CNT: 0
	.section	.text._ZN7rocprim17ROCPRIM_400000_NS6detail17trampoline_kernelINS0_14default_configENS1_25partition_config_selectorILNS1_17partition_subalgoE6EiNS0_10empty_typeEbEEZZNS1_14partition_implILS5_6ELb0ES3_mN6thrust23THRUST_200600_302600_NS6detail15normal_iteratorINSA_10device_ptrIiEEEEPS6_SG_NS0_5tupleIJSF_S6_EEENSH_IJSG_SG_EEES6_PlJNSB_9not_fun_tI6is_oddIiEEEEEE10hipError_tPvRmT3_T4_T5_T6_T7_T9_mT8_P12ihipStream_tbDpT10_ENKUlT_T0_E_clISt17integral_constantIbLb1EES18_EEDaS13_S14_EUlS13_E_NS1_11comp_targetILNS1_3genE10ELNS1_11target_archE1200ELNS1_3gpuE4ELNS1_3repE0EEENS1_30default_config_static_selectorELNS0_4arch9wavefront6targetE0EEEvT1_,"axG",@progbits,_ZN7rocprim17ROCPRIM_400000_NS6detail17trampoline_kernelINS0_14default_configENS1_25partition_config_selectorILNS1_17partition_subalgoE6EiNS0_10empty_typeEbEEZZNS1_14partition_implILS5_6ELb0ES3_mN6thrust23THRUST_200600_302600_NS6detail15normal_iteratorINSA_10device_ptrIiEEEEPS6_SG_NS0_5tupleIJSF_S6_EEENSH_IJSG_SG_EEES6_PlJNSB_9not_fun_tI6is_oddIiEEEEEE10hipError_tPvRmT3_T4_T5_T6_T7_T9_mT8_P12ihipStream_tbDpT10_ENKUlT_T0_E_clISt17integral_constantIbLb1EES18_EEDaS13_S14_EUlS13_E_NS1_11comp_targetILNS1_3genE10ELNS1_11target_archE1200ELNS1_3gpuE4ELNS1_3repE0EEENS1_30default_config_static_selectorELNS0_4arch9wavefront6targetE0EEEvT1_,comdat
	.protected	_ZN7rocprim17ROCPRIM_400000_NS6detail17trampoline_kernelINS0_14default_configENS1_25partition_config_selectorILNS1_17partition_subalgoE6EiNS0_10empty_typeEbEEZZNS1_14partition_implILS5_6ELb0ES3_mN6thrust23THRUST_200600_302600_NS6detail15normal_iteratorINSA_10device_ptrIiEEEEPS6_SG_NS0_5tupleIJSF_S6_EEENSH_IJSG_SG_EEES6_PlJNSB_9not_fun_tI6is_oddIiEEEEEE10hipError_tPvRmT3_T4_T5_T6_T7_T9_mT8_P12ihipStream_tbDpT10_ENKUlT_T0_E_clISt17integral_constantIbLb1EES18_EEDaS13_S14_EUlS13_E_NS1_11comp_targetILNS1_3genE10ELNS1_11target_archE1200ELNS1_3gpuE4ELNS1_3repE0EEENS1_30default_config_static_selectorELNS0_4arch9wavefront6targetE0EEEvT1_ ; -- Begin function _ZN7rocprim17ROCPRIM_400000_NS6detail17trampoline_kernelINS0_14default_configENS1_25partition_config_selectorILNS1_17partition_subalgoE6EiNS0_10empty_typeEbEEZZNS1_14partition_implILS5_6ELb0ES3_mN6thrust23THRUST_200600_302600_NS6detail15normal_iteratorINSA_10device_ptrIiEEEEPS6_SG_NS0_5tupleIJSF_S6_EEENSH_IJSG_SG_EEES6_PlJNSB_9not_fun_tI6is_oddIiEEEEEE10hipError_tPvRmT3_T4_T5_T6_T7_T9_mT8_P12ihipStream_tbDpT10_ENKUlT_T0_E_clISt17integral_constantIbLb1EES18_EEDaS13_S14_EUlS13_E_NS1_11comp_targetILNS1_3genE10ELNS1_11target_archE1200ELNS1_3gpuE4ELNS1_3repE0EEENS1_30default_config_static_selectorELNS0_4arch9wavefront6targetE0EEEvT1_
	.globl	_ZN7rocprim17ROCPRIM_400000_NS6detail17trampoline_kernelINS0_14default_configENS1_25partition_config_selectorILNS1_17partition_subalgoE6EiNS0_10empty_typeEbEEZZNS1_14partition_implILS5_6ELb0ES3_mN6thrust23THRUST_200600_302600_NS6detail15normal_iteratorINSA_10device_ptrIiEEEEPS6_SG_NS0_5tupleIJSF_S6_EEENSH_IJSG_SG_EEES6_PlJNSB_9not_fun_tI6is_oddIiEEEEEE10hipError_tPvRmT3_T4_T5_T6_T7_T9_mT8_P12ihipStream_tbDpT10_ENKUlT_T0_E_clISt17integral_constantIbLb1EES18_EEDaS13_S14_EUlS13_E_NS1_11comp_targetILNS1_3genE10ELNS1_11target_archE1200ELNS1_3gpuE4ELNS1_3repE0EEENS1_30default_config_static_selectorELNS0_4arch9wavefront6targetE0EEEvT1_
	.p2align	8
	.type	_ZN7rocprim17ROCPRIM_400000_NS6detail17trampoline_kernelINS0_14default_configENS1_25partition_config_selectorILNS1_17partition_subalgoE6EiNS0_10empty_typeEbEEZZNS1_14partition_implILS5_6ELb0ES3_mN6thrust23THRUST_200600_302600_NS6detail15normal_iteratorINSA_10device_ptrIiEEEEPS6_SG_NS0_5tupleIJSF_S6_EEENSH_IJSG_SG_EEES6_PlJNSB_9not_fun_tI6is_oddIiEEEEEE10hipError_tPvRmT3_T4_T5_T6_T7_T9_mT8_P12ihipStream_tbDpT10_ENKUlT_T0_E_clISt17integral_constantIbLb1EES18_EEDaS13_S14_EUlS13_E_NS1_11comp_targetILNS1_3genE10ELNS1_11target_archE1200ELNS1_3gpuE4ELNS1_3repE0EEENS1_30default_config_static_selectorELNS0_4arch9wavefront6targetE0EEEvT1_,@function
_ZN7rocprim17ROCPRIM_400000_NS6detail17trampoline_kernelINS0_14default_configENS1_25partition_config_selectorILNS1_17partition_subalgoE6EiNS0_10empty_typeEbEEZZNS1_14partition_implILS5_6ELb0ES3_mN6thrust23THRUST_200600_302600_NS6detail15normal_iteratorINSA_10device_ptrIiEEEEPS6_SG_NS0_5tupleIJSF_S6_EEENSH_IJSG_SG_EEES6_PlJNSB_9not_fun_tI6is_oddIiEEEEEE10hipError_tPvRmT3_T4_T5_T6_T7_T9_mT8_P12ihipStream_tbDpT10_ENKUlT_T0_E_clISt17integral_constantIbLb1EES18_EEDaS13_S14_EUlS13_E_NS1_11comp_targetILNS1_3genE10ELNS1_11target_archE1200ELNS1_3gpuE4ELNS1_3repE0EEENS1_30default_config_static_selectorELNS0_4arch9wavefront6targetE0EEEvT1_: ; @_ZN7rocprim17ROCPRIM_400000_NS6detail17trampoline_kernelINS0_14default_configENS1_25partition_config_selectorILNS1_17partition_subalgoE6EiNS0_10empty_typeEbEEZZNS1_14partition_implILS5_6ELb0ES3_mN6thrust23THRUST_200600_302600_NS6detail15normal_iteratorINSA_10device_ptrIiEEEEPS6_SG_NS0_5tupleIJSF_S6_EEENSH_IJSG_SG_EEES6_PlJNSB_9not_fun_tI6is_oddIiEEEEEE10hipError_tPvRmT3_T4_T5_T6_T7_T9_mT8_P12ihipStream_tbDpT10_ENKUlT_T0_E_clISt17integral_constantIbLb1EES18_EEDaS13_S14_EUlS13_E_NS1_11comp_targetILNS1_3genE10ELNS1_11target_archE1200ELNS1_3gpuE4ELNS1_3repE0EEENS1_30default_config_static_selectorELNS0_4arch9wavefront6targetE0EEEvT1_
; %bb.0:
	s_endpgm
	.section	.rodata,"a",@progbits
	.p2align	6, 0x0
	.amdhsa_kernel _ZN7rocprim17ROCPRIM_400000_NS6detail17trampoline_kernelINS0_14default_configENS1_25partition_config_selectorILNS1_17partition_subalgoE6EiNS0_10empty_typeEbEEZZNS1_14partition_implILS5_6ELb0ES3_mN6thrust23THRUST_200600_302600_NS6detail15normal_iteratorINSA_10device_ptrIiEEEEPS6_SG_NS0_5tupleIJSF_S6_EEENSH_IJSG_SG_EEES6_PlJNSB_9not_fun_tI6is_oddIiEEEEEE10hipError_tPvRmT3_T4_T5_T6_T7_T9_mT8_P12ihipStream_tbDpT10_ENKUlT_T0_E_clISt17integral_constantIbLb1EES18_EEDaS13_S14_EUlS13_E_NS1_11comp_targetILNS1_3genE10ELNS1_11target_archE1200ELNS1_3gpuE4ELNS1_3repE0EEENS1_30default_config_static_selectorELNS0_4arch9wavefront6targetE0EEEvT1_
		.amdhsa_group_segment_fixed_size 0
		.amdhsa_private_segment_fixed_size 0
		.amdhsa_kernarg_size 128
		.amdhsa_user_sgpr_count 2
		.amdhsa_user_sgpr_dispatch_ptr 0
		.amdhsa_user_sgpr_queue_ptr 0
		.amdhsa_user_sgpr_kernarg_segment_ptr 1
		.amdhsa_user_sgpr_dispatch_id 0
		.amdhsa_user_sgpr_private_segment_size 0
		.amdhsa_wavefront_size32 1
		.amdhsa_uses_dynamic_stack 0
		.amdhsa_enable_private_segment 0
		.amdhsa_system_sgpr_workgroup_id_x 1
		.amdhsa_system_sgpr_workgroup_id_y 0
		.amdhsa_system_sgpr_workgroup_id_z 0
		.amdhsa_system_sgpr_workgroup_info 0
		.amdhsa_system_vgpr_workitem_id 0
		.amdhsa_next_free_vgpr 1
		.amdhsa_next_free_sgpr 1
		.amdhsa_reserve_vcc 0
		.amdhsa_float_round_mode_32 0
		.amdhsa_float_round_mode_16_64 0
		.amdhsa_float_denorm_mode_32 3
		.amdhsa_float_denorm_mode_16_64 3
		.amdhsa_fp16_overflow 0
		.amdhsa_workgroup_processor_mode 1
		.amdhsa_memory_ordered 1
		.amdhsa_forward_progress 1
		.amdhsa_inst_pref_size 1
		.amdhsa_round_robin_scheduling 0
		.amdhsa_exception_fp_ieee_invalid_op 0
		.amdhsa_exception_fp_denorm_src 0
		.amdhsa_exception_fp_ieee_div_zero 0
		.amdhsa_exception_fp_ieee_overflow 0
		.amdhsa_exception_fp_ieee_underflow 0
		.amdhsa_exception_fp_ieee_inexact 0
		.amdhsa_exception_int_div_zero 0
	.end_amdhsa_kernel
	.section	.text._ZN7rocprim17ROCPRIM_400000_NS6detail17trampoline_kernelINS0_14default_configENS1_25partition_config_selectorILNS1_17partition_subalgoE6EiNS0_10empty_typeEbEEZZNS1_14partition_implILS5_6ELb0ES3_mN6thrust23THRUST_200600_302600_NS6detail15normal_iteratorINSA_10device_ptrIiEEEEPS6_SG_NS0_5tupleIJSF_S6_EEENSH_IJSG_SG_EEES6_PlJNSB_9not_fun_tI6is_oddIiEEEEEE10hipError_tPvRmT3_T4_T5_T6_T7_T9_mT8_P12ihipStream_tbDpT10_ENKUlT_T0_E_clISt17integral_constantIbLb1EES18_EEDaS13_S14_EUlS13_E_NS1_11comp_targetILNS1_3genE10ELNS1_11target_archE1200ELNS1_3gpuE4ELNS1_3repE0EEENS1_30default_config_static_selectorELNS0_4arch9wavefront6targetE0EEEvT1_,"axG",@progbits,_ZN7rocprim17ROCPRIM_400000_NS6detail17trampoline_kernelINS0_14default_configENS1_25partition_config_selectorILNS1_17partition_subalgoE6EiNS0_10empty_typeEbEEZZNS1_14partition_implILS5_6ELb0ES3_mN6thrust23THRUST_200600_302600_NS6detail15normal_iteratorINSA_10device_ptrIiEEEEPS6_SG_NS0_5tupleIJSF_S6_EEENSH_IJSG_SG_EEES6_PlJNSB_9not_fun_tI6is_oddIiEEEEEE10hipError_tPvRmT3_T4_T5_T6_T7_T9_mT8_P12ihipStream_tbDpT10_ENKUlT_T0_E_clISt17integral_constantIbLb1EES18_EEDaS13_S14_EUlS13_E_NS1_11comp_targetILNS1_3genE10ELNS1_11target_archE1200ELNS1_3gpuE4ELNS1_3repE0EEENS1_30default_config_static_selectorELNS0_4arch9wavefront6targetE0EEEvT1_,comdat
.Lfunc_end96:
	.size	_ZN7rocprim17ROCPRIM_400000_NS6detail17trampoline_kernelINS0_14default_configENS1_25partition_config_selectorILNS1_17partition_subalgoE6EiNS0_10empty_typeEbEEZZNS1_14partition_implILS5_6ELb0ES3_mN6thrust23THRUST_200600_302600_NS6detail15normal_iteratorINSA_10device_ptrIiEEEEPS6_SG_NS0_5tupleIJSF_S6_EEENSH_IJSG_SG_EEES6_PlJNSB_9not_fun_tI6is_oddIiEEEEEE10hipError_tPvRmT3_T4_T5_T6_T7_T9_mT8_P12ihipStream_tbDpT10_ENKUlT_T0_E_clISt17integral_constantIbLb1EES18_EEDaS13_S14_EUlS13_E_NS1_11comp_targetILNS1_3genE10ELNS1_11target_archE1200ELNS1_3gpuE4ELNS1_3repE0EEENS1_30default_config_static_selectorELNS0_4arch9wavefront6targetE0EEEvT1_, .Lfunc_end96-_ZN7rocprim17ROCPRIM_400000_NS6detail17trampoline_kernelINS0_14default_configENS1_25partition_config_selectorILNS1_17partition_subalgoE6EiNS0_10empty_typeEbEEZZNS1_14partition_implILS5_6ELb0ES3_mN6thrust23THRUST_200600_302600_NS6detail15normal_iteratorINSA_10device_ptrIiEEEEPS6_SG_NS0_5tupleIJSF_S6_EEENSH_IJSG_SG_EEES6_PlJNSB_9not_fun_tI6is_oddIiEEEEEE10hipError_tPvRmT3_T4_T5_T6_T7_T9_mT8_P12ihipStream_tbDpT10_ENKUlT_T0_E_clISt17integral_constantIbLb1EES18_EEDaS13_S14_EUlS13_E_NS1_11comp_targetILNS1_3genE10ELNS1_11target_archE1200ELNS1_3gpuE4ELNS1_3repE0EEENS1_30default_config_static_selectorELNS0_4arch9wavefront6targetE0EEEvT1_
                                        ; -- End function
	.set _ZN7rocprim17ROCPRIM_400000_NS6detail17trampoline_kernelINS0_14default_configENS1_25partition_config_selectorILNS1_17partition_subalgoE6EiNS0_10empty_typeEbEEZZNS1_14partition_implILS5_6ELb0ES3_mN6thrust23THRUST_200600_302600_NS6detail15normal_iteratorINSA_10device_ptrIiEEEEPS6_SG_NS0_5tupleIJSF_S6_EEENSH_IJSG_SG_EEES6_PlJNSB_9not_fun_tI6is_oddIiEEEEEE10hipError_tPvRmT3_T4_T5_T6_T7_T9_mT8_P12ihipStream_tbDpT10_ENKUlT_T0_E_clISt17integral_constantIbLb1EES18_EEDaS13_S14_EUlS13_E_NS1_11comp_targetILNS1_3genE10ELNS1_11target_archE1200ELNS1_3gpuE4ELNS1_3repE0EEENS1_30default_config_static_selectorELNS0_4arch9wavefront6targetE0EEEvT1_.num_vgpr, 0
	.set _ZN7rocprim17ROCPRIM_400000_NS6detail17trampoline_kernelINS0_14default_configENS1_25partition_config_selectorILNS1_17partition_subalgoE6EiNS0_10empty_typeEbEEZZNS1_14partition_implILS5_6ELb0ES3_mN6thrust23THRUST_200600_302600_NS6detail15normal_iteratorINSA_10device_ptrIiEEEEPS6_SG_NS0_5tupleIJSF_S6_EEENSH_IJSG_SG_EEES6_PlJNSB_9not_fun_tI6is_oddIiEEEEEE10hipError_tPvRmT3_T4_T5_T6_T7_T9_mT8_P12ihipStream_tbDpT10_ENKUlT_T0_E_clISt17integral_constantIbLb1EES18_EEDaS13_S14_EUlS13_E_NS1_11comp_targetILNS1_3genE10ELNS1_11target_archE1200ELNS1_3gpuE4ELNS1_3repE0EEENS1_30default_config_static_selectorELNS0_4arch9wavefront6targetE0EEEvT1_.num_agpr, 0
	.set _ZN7rocprim17ROCPRIM_400000_NS6detail17trampoline_kernelINS0_14default_configENS1_25partition_config_selectorILNS1_17partition_subalgoE6EiNS0_10empty_typeEbEEZZNS1_14partition_implILS5_6ELb0ES3_mN6thrust23THRUST_200600_302600_NS6detail15normal_iteratorINSA_10device_ptrIiEEEEPS6_SG_NS0_5tupleIJSF_S6_EEENSH_IJSG_SG_EEES6_PlJNSB_9not_fun_tI6is_oddIiEEEEEE10hipError_tPvRmT3_T4_T5_T6_T7_T9_mT8_P12ihipStream_tbDpT10_ENKUlT_T0_E_clISt17integral_constantIbLb1EES18_EEDaS13_S14_EUlS13_E_NS1_11comp_targetILNS1_3genE10ELNS1_11target_archE1200ELNS1_3gpuE4ELNS1_3repE0EEENS1_30default_config_static_selectorELNS0_4arch9wavefront6targetE0EEEvT1_.numbered_sgpr, 0
	.set _ZN7rocprim17ROCPRIM_400000_NS6detail17trampoline_kernelINS0_14default_configENS1_25partition_config_selectorILNS1_17partition_subalgoE6EiNS0_10empty_typeEbEEZZNS1_14partition_implILS5_6ELb0ES3_mN6thrust23THRUST_200600_302600_NS6detail15normal_iteratorINSA_10device_ptrIiEEEEPS6_SG_NS0_5tupleIJSF_S6_EEENSH_IJSG_SG_EEES6_PlJNSB_9not_fun_tI6is_oddIiEEEEEE10hipError_tPvRmT3_T4_T5_T6_T7_T9_mT8_P12ihipStream_tbDpT10_ENKUlT_T0_E_clISt17integral_constantIbLb1EES18_EEDaS13_S14_EUlS13_E_NS1_11comp_targetILNS1_3genE10ELNS1_11target_archE1200ELNS1_3gpuE4ELNS1_3repE0EEENS1_30default_config_static_selectorELNS0_4arch9wavefront6targetE0EEEvT1_.num_named_barrier, 0
	.set _ZN7rocprim17ROCPRIM_400000_NS6detail17trampoline_kernelINS0_14default_configENS1_25partition_config_selectorILNS1_17partition_subalgoE6EiNS0_10empty_typeEbEEZZNS1_14partition_implILS5_6ELb0ES3_mN6thrust23THRUST_200600_302600_NS6detail15normal_iteratorINSA_10device_ptrIiEEEEPS6_SG_NS0_5tupleIJSF_S6_EEENSH_IJSG_SG_EEES6_PlJNSB_9not_fun_tI6is_oddIiEEEEEE10hipError_tPvRmT3_T4_T5_T6_T7_T9_mT8_P12ihipStream_tbDpT10_ENKUlT_T0_E_clISt17integral_constantIbLb1EES18_EEDaS13_S14_EUlS13_E_NS1_11comp_targetILNS1_3genE10ELNS1_11target_archE1200ELNS1_3gpuE4ELNS1_3repE0EEENS1_30default_config_static_selectorELNS0_4arch9wavefront6targetE0EEEvT1_.private_seg_size, 0
	.set _ZN7rocprim17ROCPRIM_400000_NS6detail17trampoline_kernelINS0_14default_configENS1_25partition_config_selectorILNS1_17partition_subalgoE6EiNS0_10empty_typeEbEEZZNS1_14partition_implILS5_6ELb0ES3_mN6thrust23THRUST_200600_302600_NS6detail15normal_iteratorINSA_10device_ptrIiEEEEPS6_SG_NS0_5tupleIJSF_S6_EEENSH_IJSG_SG_EEES6_PlJNSB_9not_fun_tI6is_oddIiEEEEEE10hipError_tPvRmT3_T4_T5_T6_T7_T9_mT8_P12ihipStream_tbDpT10_ENKUlT_T0_E_clISt17integral_constantIbLb1EES18_EEDaS13_S14_EUlS13_E_NS1_11comp_targetILNS1_3genE10ELNS1_11target_archE1200ELNS1_3gpuE4ELNS1_3repE0EEENS1_30default_config_static_selectorELNS0_4arch9wavefront6targetE0EEEvT1_.uses_vcc, 0
	.set _ZN7rocprim17ROCPRIM_400000_NS6detail17trampoline_kernelINS0_14default_configENS1_25partition_config_selectorILNS1_17partition_subalgoE6EiNS0_10empty_typeEbEEZZNS1_14partition_implILS5_6ELb0ES3_mN6thrust23THRUST_200600_302600_NS6detail15normal_iteratorINSA_10device_ptrIiEEEEPS6_SG_NS0_5tupleIJSF_S6_EEENSH_IJSG_SG_EEES6_PlJNSB_9not_fun_tI6is_oddIiEEEEEE10hipError_tPvRmT3_T4_T5_T6_T7_T9_mT8_P12ihipStream_tbDpT10_ENKUlT_T0_E_clISt17integral_constantIbLb1EES18_EEDaS13_S14_EUlS13_E_NS1_11comp_targetILNS1_3genE10ELNS1_11target_archE1200ELNS1_3gpuE4ELNS1_3repE0EEENS1_30default_config_static_selectorELNS0_4arch9wavefront6targetE0EEEvT1_.uses_flat_scratch, 0
	.set _ZN7rocprim17ROCPRIM_400000_NS6detail17trampoline_kernelINS0_14default_configENS1_25partition_config_selectorILNS1_17partition_subalgoE6EiNS0_10empty_typeEbEEZZNS1_14partition_implILS5_6ELb0ES3_mN6thrust23THRUST_200600_302600_NS6detail15normal_iteratorINSA_10device_ptrIiEEEEPS6_SG_NS0_5tupleIJSF_S6_EEENSH_IJSG_SG_EEES6_PlJNSB_9not_fun_tI6is_oddIiEEEEEE10hipError_tPvRmT3_T4_T5_T6_T7_T9_mT8_P12ihipStream_tbDpT10_ENKUlT_T0_E_clISt17integral_constantIbLb1EES18_EEDaS13_S14_EUlS13_E_NS1_11comp_targetILNS1_3genE10ELNS1_11target_archE1200ELNS1_3gpuE4ELNS1_3repE0EEENS1_30default_config_static_selectorELNS0_4arch9wavefront6targetE0EEEvT1_.has_dyn_sized_stack, 0
	.set _ZN7rocprim17ROCPRIM_400000_NS6detail17trampoline_kernelINS0_14default_configENS1_25partition_config_selectorILNS1_17partition_subalgoE6EiNS0_10empty_typeEbEEZZNS1_14partition_implILS5_6ELb0ES3_mN6thrust23THRUST_200600_302600_NS6detail15normal_iteratorINSA_10device_ptrIiEEEEPS6_SG_NS0_5tupleIJSF_S6_EEENSH_IJSG_SG_EEES6_PlJNSB_9not_fun_tI6is_oddIiEEEEEE10hipError_tPvRmT3_T4_T5_T6_T7_T9_mT8_P12ihipStream_tbDpT10_ENKUlT_T0_E_clISt17integral_constantIbLb1EES18_EEDaS13_S14_EUlS13_E_NS1_11comp_targetILNS1_3genE10ELNS1_11target_archE1200ELNS1_3gpuE4ELNS1_3repE0EEENS1_30default_config_static_selectorELNS0_4arch9wavefront6targetE0EEEvT1_.has_recursion, 0
	.set _ZN7rocprim17ROCPRIM_400000_NS6detail17trampoline_kernelINS0_14default_configENS1_25partition_config_selectorILNS1_17partition_subalgoE6EiNS0_10empty_typeEbEEZZNS1_14partition_implILS5_6ELb0ES3_mN6thrust23THRUST_200600_302600_NS6detail15normal_iteratorINSA_10device_ptrIiEEEEPS6_SG_NS0_5tupleIJSF_S6_EEENSH_IJSG_SG_EEES6_PlJNSB_9not_fun_tI6is_oddIiEEEEEE10hipError_tPvRmT3_T4_T5_T6_T7_T9_mT8_P12ihipStream_tbDpT10_ENKUlT_T0_E_clISt17integral_constantIbLb1EES18_EEDaS13_S14_EUlS13_E_NS1_11comp_targetILNS1_3genE10ELNS1_11target_archE1200ELNS1_3gpuE4ELNS1_3repE0EEENS1_30default_config_static_selectorELNS0_4arch9wavefront6targetE0EEEvT1_.has_indirect_call, 0
	.section	.AMDGPU.csdata,"",@progbits
; Kernel info:
; codeLenInByte = 4
; TotalNumSgprs: 0
; NumVgprs: 0
; ScratchSize: 0
; MemoryBound: 0
; FloatMode: 240
; IeeeMode: 1
; LDSByteSize: 0 bytes/workgroup (compile time only)
; SGPRBlocks: 0
; VGPRBlocks: 0
; NumSGPRsForWavesPerEU: 1
; NumVGPRsForWavesPerEU: 1
; Occupancy: 16
; WaveLimiterHint : 0
; COMPUTE_PGM_RSRC2:SCRATCH_EN: 0
; COMPUTE_PGM_RSRC2:USER_SGPR: 2
; COMPUTE_PGM_RSRC2:TRAP_HANDLER: 0
; COMPUTE_PGM_RSRC2:TGID_X_EN: 1
; COMPUTE_PGM_RSRC2:TGID_Y_EN: 0
; COMPUTE_PGM_RSRC2:TGID_Z_EN: 0
; COMPUTE_PGM_RSRC2:TIDIG_COMP_CNT: 0
	.section	.text._ZN7rocprim17ROCPRIM_400000_NS6detail17trampoline_kernelINS0_14default_configENS1_25partition_config_selectorILNS1_17partition_subalgoE6EiNS0_10empty_typeEbEEZZNS1_14partition_implILS5_6ELb0ES3_mN6thrust23THRUST_200600_302600_NS6detail15normal_iteratorINSA_10device_ptrIiEEEEPS6_SG_NS0_5tupleIJSF_S6_EEENSH_IJSG_SG_EEES6_PlJNSB_9not_fun_tI6is_oddIiEEEEEE10hipError_tPvRmT3_T4_T5_T6_T7_T9_mT8_P12ihipStream_tbDpT10_ENKUlT_T0_E_clISt17integral_constantIbLb1EES18_EEDaS13_S14_EUlS13_E_NS1_11comp_targetILNS1_3genE9ELNS1_11target_archE1100ELNS1_3gpuE3ELNS1_3repE0EEENS1_30default_config_static_selectorELNS0_4arch9wavefront6targetE0EEEvT1_,"axG",@progbits,_ZN7rocprim17ROCPRIM_400000_NS6detail17trampoline_kernelINS0_14default_configENS1_25partition_config_selectorILNS1_17partition_subalgoE6EiNS0_10empty_typeEbEEZZNS1_14partition_implILS5_6ELb0ES3_mN6thrust23THRUST_200600_302600_NS6detail15normal_iteratorINSA_10device_ptrIiEEEEPS6_SG_NS0_5tupleIJSF_S6_EEENSH_IJSG_SG_EEES6_PlJNSB_9not_fun_tI6is_oddIiEEEEEE10hipError_tPvRmT3_T4_T5_T6_T7_T9_mT8_P12ihipStream_tbDpT10_ENKUlT_T0_E_clISt17integral_constantIbLb1EES18_EEDaS13_S14_EUlS13_E_NS1_11comp_targetILNS1_3genE9ELNS1_11target_archE1100ELNS1_3gpuE3ELNS1_3repE0EEENS1_30default_config_static_selectorELNS0_4arch9wavefront6targetE0EEEvT1_,comdat
	.protected	_ZN7rocprim17ROCPRIM_400000_NS6detail17trampoline_kernelINS0_14default_configENS1_25partition_config_selectorILNS1_17partition_subalgoE6EiNS0_10empty_typeEbEEZZNS1_14partition_implILS5_6ELb0ES3_mN6thrust23THRUST_200600_302600_NS6detail15normal_iteratorINSA_10device_ptrIiEEEEPS6_SG_NS0_5tupleIJSF_S6_EEENSH_IJSG_SG_EEES6_PlJNSB_9not_fun_tI6is_oddIiEEEEEE10hipError_tPvRmT3_T4_T5_T6_T7_T9_mT8_P12ihipStream_tbDpT10_ENKUlT_T0_E_clISt17integral_constantIbLb1EES18_EEDaS13_S14_EUlS13_E_NS1_11comp_targetILNS1_3genE9ELNS1_11target_archE1100ELNS1_3gpuE3ELNS1_3repE0EEENS1_30default_config_static_selectorELNS0_4arch9wavefront6targetE0EEEvT1_ ; -- Begin function _ZN7rocprim17ROCPRIM_400000_NS6detail17trampoline_kernelINS0_14default_configENS1_25partition_config_selectorILNS1_17partition_subalgoE6EiNS0_10empty_typeEbEEZZNS1_14partition_implILS5_6ELb0ES3_mN6thrust23THRUST_200600_302600_NS6detail15normal_iteratorINSA_10device_ptrIiEEEEPS6_SG_NS0_5tupleIJSF_S6_EEENSH_IJSG_SG_EEES6_PlJNSB_9not_fun_tI6is_oddIiEEEEEE10hipError_tPvRmT3_T4_T5_T6_T7_T9_mT8_P12ihipStream_tbDpT10_ENKUlT_T0_E_clISt17integral_constantIbLb1EES18_EEDaS13_S14_EUlS13_E_NS1_11comp_targetILNS1_3genE9ELNS1_11target_archE1100ELNS1_3gpuE3ELNS1_3repE0EEENS1_30default_config_static_selectorELNS0_4arch9wavefront6targetE0EEEvT1_
	.globl	_ZN7rocprim17ROCPRIM_400000_NS6detail17trampoline_kernelINS0_14default_configENS1_25partition_config_selectorILNS1_17partition_subalgoE6EiNS0_10empty_typeEbEEZZNS1_14partition_implILS5_6ELb0ES3_mN6thrust23THRUST_200600_302600_NS6detail15normal_iteratorINSA_10device_ptrIiEEEEPS6_SG_NS0_5tupleIJSF_S6_EEENSH_IJSG_SG_EEES6_PlJNSB_9not_fun_tI6is_oddIiEEEEEE10hipError_tPvRmT3_T4_T5_T6_T7_T9_mT8_P12ihipStream_tbDpT10_ENKUlT_T0_E_clISt17integral_constantIbLb1EES18_EEDaS13_S14_EUlS13_E_NS1_11comp_targetILNS1_3genE9ELNS1_11target_archE1100ELNS1_3gpuE3ELNS1_3repE0EEENS1_30default_config_static_selectorELNS0_4arch9wavefront6targetE0EEEvT1_
	.p2align	8
	.type	_ZN7rocprim17ROCPRIM_400000_NS6detail17trampoline_kernelINS0_14default_configENS1_25partition_config_selectorILNS1_17partition_subalgoE6EiNS0_10empty_typeEbEEZZNS1_14partition_implILS5_6ELb0ES3_mN6thrust23THRUST_200600_302600_NS6detail15normal_iteratorINSA_10device_ptrIiEEEEPS6_SG_NS0_5tupleIJSF_S6_EEENSH_IJSG_SG_EEES6_PlJNSB_9not_fun_tI6is_oddIiEEEEEE10hipError_tPvRmT3_T4_T5_T6_T7_T9_mT8_P12ihipStream_tbDpT10_ENKUlT_T0_E_clISt17integral_constantIbLb1EES18_EEDaS13_S14_EUlS13_E_NS1_11comp_targetILNS1_3genE9ELNS1_11target_archE1100ELNS1_3gpuE3ELNS1_3repE0EEENS1_30default_config_static_selectorELNS0_4arch9wavefront6targetE0EEEvT1_,@function
_ZN7rocprim17ROCPRIM_400000_NS6detail17trampoline_kernelINS0_14default_configENS1_25partition_config_selectorILNS1_17partition_subalgoE6EiNS0_10empty_typeEbEEZZNS1_14partition_implILS5_6ELb0ES3_mN6thrust23THRUST_200600_302600_NS6detail15normal_iteratorINSA_10device_ptrIiEEEEPS6_SG_NS0_5tupleIJSF_S6_EEENSH_IJSG_SG_EEES6_PlJNSB_9not_fun_tI6is_oddIiEEEEEE10hipError_tPvRmT3_T4_T5_T6_T7_T9_mT8_P12ihipStream_tbDpT10_ENKUlT_T0_E_clISt17integral_constantIbLb1EES18_EEDaS13_S14_EUlS13_E_NS1_11comp_targetILNS1_3genE9ELNS1_11target_archE1100ELNS1_3gpuE3ELNS1_3repE0EEENS1_30default_config_static_selectorELNS0_4arch9wavefront6targetE0EEEvT1_: ; @_ZN7rocprim17ROCPRIM_400000_NS6detail17trampoline_kernelINS0_14default_configENS1_25partition_config_selectorILNS1_17partition_subalgoE6EiNS0_10empty_typeEbEEZZNS1_14partition_implILS5_6ELb0ES3_mN6thrust23THRUST_200600_302600_NS6detail15normal_iteratorINSA_10device_ptrIiEEEEPS6_SG_NS0_5tupleIJSF_S6_EEENSH_IJSG_SG_EEES6_PlJNSB_9not_fun_tI6is_oddIiEEEEEE10hipError_tPvRmT3_T4_T5_T6_T7_T9_mT8_P12ihipStream_tbDpT10_ENKUlT_T0_E_clISt17integral_constantIbLb1EES18_EEDaS13_S14_EUlS13_E_NS1_11comp_targetILNS1_3genE9ELNS1_11target_archE1100ELNS1_3gpuE3ELNS1_3repE0EEENS1_30default_config_static_selectorELNS0_4arch9wavefront6targetE0EEEvT1_
; %bb.0:
	.section	.rodata,"a",@progbits
	.p2align	6, 0x0
	.amdhsa_kernel _ZN7rocprim17ROCPRIM_400000_NS6detail17trampoline_kernelINS0_14default_configENS1_25partition_config_selectorILNS1_17partition_subalgoE6EiNS0_10empty_typeEbEEZZNS1_14partition_implILS5_6ELb0ES3_mN6thrust23THRUST_200600_302600_NS6detail15normal_iteratorINSA_10device_ptrIiEEEEPS6_SG_NS0_5tupleIJSF_S6_EEENSH_IJSG_SG_EEES6_PlJNSB_9not_fun_tI6is_oddIiEEEEEE10hipError_tPvRmT3_T4_T5_T6_T7_T9_mT8_P12ihipStream_tbDpT10_ENKUlT_T0_E_clISt17integral_constantIbLb1EES18_EEDaS13_S14_EUlS13_E_NS1_11comp_targetILNS1_3genE9ELNS1_11target_archE1100ELNS1_3gpuE3ELNS1_3repE0EEENS1_30default_config_static_selectorELNS0_4arch9wavefront6targetE0EEEvT1_
		.amdhsa_group_segment_fixed_size 0
		.amdhsa_private_segment_fixed_size 0
		.amdhsa_kernarg_size 128
		.amdhsa_user_sgpr_count 2
		.amdhsa_user_sgpr_dispatch_ptr 0
		.amdhsa_user_sgpr_queue_ptr 0
		.amdhsa_user_sgpr_kernarg_segment_ptr 1
		.amdhsa_user_sgpr_dispatch_id 0
		.amdhsa_user_sgpr_private_segment_size 0
		.amdhsa_wavefront_size32 1
		.amdhsa_uses_dynamic_stack 0
		.amdhsa_enable_private_segment 0
		.amdhsa_system_sgpr_workgroup_id_x 1
		.amdhsa_system_sgpr_workgroup_id_y 0
		.amdhsa_system_sgpr_workgroup_id_z 0
		.amdhsa_system_sgpr_workgroup_info 0
		.amdhsa_system_vgpr_workitem_id 0
		.amdhsa_next_free_vgpr 1
		.amdhsa_next_free_sgpr 1
		.amdhsa_reserve_vcc 0
		.amdhsa_float_round_mode_32 0
		.amdhsa_float_round_mode_16_64 0
		.amdhsa_float_denorm_mode_32 3
		.amdhsa_float_denorm_mode_16_64 3
		.amdhsa_fp16_overflow 0
		.amdhsa_workgroup_processor_mode 1
		.amdhsa_memory_ordered 1
		.amdhsa_forward_progress 1
		.amdhsa_inst_pref_size 0
		.amdhsa_round_robin_scheduling 0
		.amdhsa_exception_fp_ieee_invalid_op 0
		.amdhsa_exception_fp_denorm_src 0
		.amdhsa_exception_fp_ieee_div_zero 0
		.amdhsa_exception_fp_ieee_overflow 0
		.amdhsa_exception_fp_ieee_underflow 0
		.amdhsa_exception_fp_ieee_inexact 0
		.amdhsa_exception_int_div_zero 0
	.end_amdhsa_kernel
	.section	.text._ZN7rocprim17ROCPRIM_400000_NS6detail17trampoline_kernelINS0_14default_configENS1_25partition_config_selectorILNS1_17partition_subalgoE6EiNS0_10empty_typeEbEEZZNS1_14partition_implILS5_6ELb0ES3_mN6thrust23THRUST_200600_302600_NS6detail15normal_iteratorINSA_10device_ptrIiEEEEPS6_SG_NS0_5tupleIJSF_S6_EEENSH_IJSG_SG_EEES6_PlJNSB_9not_fun_tI6is_oddIiEEEEEE10hipError_tPvRmT3_T4_T5_T6_T7_T9_mT8_P12ihipStream_tbDpT10_ENKUlT_T0_E_clISt17integral_constantIbLb1EES18_EEDaS13_S14_EUlS13_E_NS1_11comp_targetILNS1_3genE9ELNS1_11target_archE1100ELNS1_3gpuE3ELNS1_3repE0EEENS1_30default_config_static_selectorELNS0_4arch9wavefront6targetE0EEEvT1_,"axG",@progbits,_ZN7rocprim17ROCPRIM_400000_NS6detail17trampoline_kernelINS0_14default_configENS1_25partition_config_selectorILNS1_17partition_subalgoE6EiNS0_10empty_typeEbEEZZNS1_14partition_implILS5_6ELb0ES3_mN6thrust23THRUST_200600_302600_NS6detail15normal_iteratorINSA_10device_ptrIiEEEEPS6_SG_NS0_5tupleIJSF_S6_EEENSH_IJSG_SG_EEES6_PlJNSB_9not_fun_tI6is_oddIiEEEEEE10hipError_tPvRmT3_T4_T5_T6_T7_T9_mT8_P12ihipStream_tbDpT10_ENKUlT_T0_E_clISt17integral_constantIbLb1EES18_EEDaS13_S14_EUlS13_E_NS1_11comp_targetILNS1_3genE9ELNS1_11target_archE1100ELNS1_3gpuE3ELNS1_3repE0EEENS1_30default_config_static_selectorELNS0_4arch9wavefront6targetE0EEEvT1_,comdat
.Lfunc_end97:
	.size	_ZN7rocprim17ROCPRIM_400000_NS6detail17trampoline_kernelINS0_14default_configENS1_25partition_config_selectorILNS1_17partition_subalgoE6EiNS0_10empty_typeEbEEZZNS1_14partition_implILS5_6ELb0ES3_mN6thrust23THRUST_200600_302600_NS6detail15normal_iteratorINSA_10device_ptrIiEEEEPS6_SG_NS0_5tupleIJSF_S6_EEENSH_IJSG_SG_EEES6_PlJNSB_9not_fun_tI6is_oddIiEEEEEE10hipError_tPvRmT3_T4_T5_T6_T7_T9_mT8_P12ihipStream_tbDpT10_ENKUlT_T0_E_clISt17integral_constantIbLb1EES18_EEDaS13_S14_EUlS13_E_NS1_11comp_targetILNS1_3genE9ELNS1_11target_archE1100ELNS1_3gpuE3ELNS1_3repE0EEENS1_30default_config_static_selectorELNS0_4arch9wavefront6targetE0EEEvT1_, .Lfunc_end97-_ZN7rocprim17ROCPRIM_400000_NS6detail17trampoline_kernelINS0_14default_configENS1_25partition_config_selectorILNS1_17partition_subalgoE6EiNS0_10empty_typeEbEEZZNS1_14partition_implILS5_6ELb0ES3_mN6thrust23THRUST_200600_302600_NS6detail15normal_iteratorINSA_10device_ptrIiEEEEPS6_SG_NS0_5tupleIJSF_S6_EEENSH_IJSG_SG_EEES6_PlJNSB_9not_fun_tI6is_oddIiEEEEEE10hipError_tPvRmT3_T4_T5_T6_T7_T9_mT8_P12ihipStream_tbDpT10_ENKUlT_T0_E_clISt17integral_constantIbLb1EES18_EEDaS13_S14_EUlS13_E_NS1_11comp_targetILNS1_3genE9ELNS1_11target_archE1100ELNS1_3gpuE3ELNS1_3repE0EEENS1_30default_config_static_selectorELNS0_4arch9wavefront6targetE0EEEvT1_
                                        ; -- End function
	.set _ZN7rocprim17ROCPRIM_400000_NS6detail17trampoline_kernelINS0_14default_configENS1_25partition_config_selectorILNS1_17partition_subalgoE6EiNS0_10empty_typeEbEEZZNS1_14partition_implILS5_6ELb0ES3_mN6thrust23THRUST_200600_302600_NS6detail15normal_iteratorINSA_10device_ptrIiEEEEPS6_SG_NS0_5tupleIJSF_S6_EEENSH_IJSG_SG_EEES6_PlJNSB_9not_fun_tI6is_oddIiEEEEEE10hipError_tPvRmT3_T4_T5_T6_T7_T9_mT8_P12ihipStream_tbDpT10_ENKUlT_T0_E_clISt17integral_constantIbLb1EES18_EEDaS13_S14_EUlS13_E_NS1_11comp_targetILNS1_3genE9ELNS1_11target_archE1100ELNS1_3gpuE3ELNS1_3repE0EEENS1_30default_config_static_selectorELNS0_4arch9wavefront6targetE0EEEvT1_.num_vgpr, 0
	.set _ZN7rocprim17ROCPRIM_400000_NS6detail17trampoline_kernelINS0_14default_configENS1_25partition_config_selectorILNS1_17partition_subalgoE6EiNS0_10empty_typeEbEEZZNS1_14partition_implILS5_6ELb0ES3_mN6thrust23THRUST_200600_302600_NS6detail15normal_iteratorINSA_10device_ptrIiEEEEPS6_SG_NS0_5tupleIJSF_S6_EEENSH_IJSG_SG_EEES6_PlJNSB_9not_fun_tI6is_oddIiEEEEEE10hipError_tPvRmT3_T4_T5_T6_T7_T9_mT8_P12ihipStream_tbDpT10_ENKUlT_T0_E_clISt17integral_constantIbLb1EES18_EEDaS13_S14_EUlS13_E_NS1_11comp_targetILNS1_3genE9ELNS1_11target_archE1100ELNS1_3gpuE3ELNS1_3repE0EEENS1_30default_config_static_selectorELNS0_4arch9wavefront6targetE0EEEvT1_.num_agpr, 0
	.set _ZN7rocprim17ROCPRIM_400000_NS6detail17trampoline_kernelINS0_14default_configENS1_25partition_config_selectorILNS1_17partition_subalgoE6EiNS0_10empty_typeEbEEZZNS1_14partition_implILS5_6ELb0ES3_mN6thrust23THRUST_200600_302600_NS6detail15normal_iteratorINSA_10device_ptrIiEEEEPS6_SG_NS0_5tupleIJSF_S6_EEENSH_IJSG_SG_EEES6_PlJNSB_9not_fun_tI6is_oddIiEEEEEE10hipError_tPvRmT3_T4_T5_T6_T7_T9_mT8_P12ihipStream_tbDpT10_ENKUlT_T0_E_clISt17integral_constantIbLb1EES18_EEDaS13_S14_EUlS13_E_NS1_11comp_targetILNS1_3genE9ELNS1_11target_archE1100ELNS1_3gpuE3ELNS1_3repE0EEENS1_30default_config_static_selectorELNS0_4arch9wavefront6targetE0EEEvT1_.numbered_sgpr, 0
	.set _ZN7rocprim17ROCPRIM_400000_NS6detail17trampoline_kernelINS0_14default_configENS1_25partition_config_selectorILNS1_17partition_subalgoE6EiNS0_10empty_typeEbEEZZNS1_14partition_implILS5_6ELb0ES3_mN6thrust23THRUST_200600_302600_NS6detail15normal_iteratorINSA_10device_ptrIiEEEEPS6_SG_NS0_5tupleIJSF_S6_EEENSH_IJSG_SG_EEES6_PlJNSB_9not_fun_tI6is_oddIiEEEEEE10hipError_tPvRmT3_T4_T5_T6_T7_T9_mT8_P12ihipStream_tbDpT10_ENKUlT_T0_E_clISt17integral_constantIbLb1EES18_EEDaS13_S14_EUlS13_E_NS1_11comp_targetILNS1_3genE9ELNS1_11target_archE1100ELNS1_3gpuE3ELNS1_3repE0EEENS1_30default_config_static_selectorELNS0_4arch9wavefront6targetE0EEEvT1_.num_named_barrier, 0
	.set _ZN7rocprim17ROCPRIM_400000_NS6detail17trampoline_kernelINS0_14default_configENS1_25partition_config_selectorILNS1_17partition_subalgoE6EiNS0_10empty_typeEbEEZZNS1_14partition_implILS5_6ELb0ES3_mN6thrust23THRUST_200600_302600_NS6detail15normal_iteratorINSA_10device_ptrIiEEEEPS6_SG_NS0_5tupleIJSF_S6_EEENSH_IJSG_SG_EEES6_PlJNSB_9not_fun_tI6is_oddIiEEEEEE10hipError_tPvRmT3_T4_T5_T6_T7_T9_mT8_P12ihipStream_tbDpT10_ENKUlT_T0_E_clISt17integral_constantIbLb1EES18_EEDaS13_S14_EUlS13_E_NS1_11comp_targetILNS1_3genE9ELNS1_11target_archE1100ELNS1_3gpuE3ELNS1_3repE0EEENS1_30default_config_static_selectorELNS0_4arch9wavefront6targetE0EEEvT1_.private_seg_size, 0
	.set _ZN7rocprim17ROCPRIM_400000_NS6detail17trampoline_kernelINS0_14default_configENS1_25partition_config_selectorILNS1_17partition_subalgoE6EiNS0_10empty_typeEbEEZZNS1_14partition_implILS5_6ELb0ES3_mN6thrust23THRUST_200600_302600_NS6detail15normal_iteratorINSA_10device_ptrIiEEEEPS6_SG_NS0_5tupleIJSF_S6_EEENSH_IJSG_SG_EEES6_PlJNSB_9not_fun_tI6is_oddIiEEEEEE10hipError_tPvRmT3_T4_T5_T6_T7_T9_mT8_P12ihipStream_tbDpT10_ENKUlT_T0_E_clISt17integral_constantIbLb1EES18_EEDaS13_S14_EUlS13_E_NS1_11comp_targetILNS1_3genE9ELNS1_11target_archE1100ELNS1_3gpuE3ELNS1_3repE0EEENS1_30default_config_static_selectorELNS0_4arch9wavefront6targetE0EEEvT1_.uses_vcc, 0
	.set _ZN7rocprim17ROCPRIM_400000_NS6detail17trampoline_kernelINS0_14default_configENS1_25partition_config_selectorILNS1_17partition_subalgoE6EiNS0_10empty_typeEbEEZZNS1_14partition_implILS5_6ELb0ES3_mN6thrust23THRUST_200600_302600_NS6detail15normal_iteratorINSA_10device_ptrIiEEEEPS6_SG_NS0_5tupleIJSF_S6_EEENSH_IJSG_SG_EEES6_PlJNSB_9not_fun_tI6is_oddIiEEEEEE10hipError_tPvRmT3_T4_T5_T6_T7_T9_mT8_P12ihipStream_tbDpT10_ENKUlT_T0_E_clISt17integral_constantIbLb1EES18_EEDaS13_S14_EUlS13_E_NS1_11comp_targetILNS1_3genE9ELNS1_11target_archE1100ELNS1_3gpuE3ELNS1_3repE0EEENS1_30default_config_static_selectorELNS0_4arch9wavefront6targetE0EEEvT1_.uses_flat_scratch, 0
	.set _ZN7rocprim17ROCPRIM_400000_NS6detail17trampoline_kernelINS0_14default_configENS1_25partition_config_selectorILNS1_17partition_subalgoE6EiNS0_10empty_typeEbEEZZNS1_14partition_implILS5_6ELb0ES3_mN6thrust23THRUST_200600_302600_NS6detail15normal_iteratorINSA_10device_ptrIiEEEEPS6_SG_NS0_5tupleIJSF_S6_EEENSH_IJSG_SG_EEES6_PlJNSB_9not_fun_tI6is_oddIiEEEEEE10hipError_tPvRmT3_T4_T5_T6_T7_T9_mT8_P12ihipStream_tbDpT10_ENKUlT_T0_E_clISt17integral_constantIbLb1EES18_EEDaS13_S14_EUlS13_E_NS1_11comp_targetILNS1_3genE9ELNS1_11target_archE1100ELNS1_3gpuE3ELNS1_3repE0EEENS1_30default_config_static_selectorELNS0_4arch9wavefront6targetE0EEEvT1_.has_dyn_sized_stack, 0
	.set _ZN7rocprim17ROCPRIM_400000_NS6detail17trampoline_kernelINS0_14default_configENS1_25partition_config_selectorILNS1_17partition_subalgoE6EiNS0_10empty_typeEbEEZZNS1_14partition_implILS5_6ELb0ES3_mN6thrust23THRUST_200600_302600_NS6detail15normal_iteratorINSA_10device_ptrIiEEEEPS6_SG_NS0_5tupleIJSF_S6_EEENSH_IJSG_SG_EEES6_PlJNSB_9not_fun_tI6is_oddIiEEEEEE10hipError_tPvRmT3_T4_T5_T6_T7_T9_mT8_P12ihipStream_tbDpT10_ENKUlT_T0_E_clISt17integral_constantIbLb1EES18_EEDaS13_S14_EUlS13_E_NS1_11comp_targetILNS1_3genE9ELNS1_11target_archE1100ELNS1_3gpuE3ELNS1_3repE0EEENS1_30default_config_static_selectorELNS0_4arch9wavefront6targetE0EEEvT1_.has_recursion, 0
	.set _ZN7rocprim17ROCPRIM_400000_NS6detail17trampoline_kernelINS0_14default_configENS1_25partition_config_selectorILNS1_17partition_subalgoE6EiNS0_10empty_typeEbEEZZNS1_14partition_implILS5_6ELb0ES3_mN6thrust23THRUST_200600_302600_NS6detail15normal_iteratorINSA_10device_ptrIiEEEEPS6_SG_NS0_5tupleIJSF_S6_EEENSH_IJSG_SG_EEES6_PlJNSB_9not_fun_tI6is_oddIiEEEEEE10hipError_tPvRmT3_T4_T5_T6_T7_T9_mT8_P12ihipStream_tbDpT10_ENKUlT_T0_E_clISt17integral_constantIbLb1EES18_EEDaS13_S14_EUlS13_E_NS1_11comp_targetILNS1_3genE9ELNS1_11target_archE1100ELNS1_3gpuE3ELNS1_3repE0EEENS1_30default_config_static_selectorELNS0_4arch9wavefront6targetE0EEEvT1_.has_indirect_call, 0
	.section	.AMDGPU.csdata,"",@progbits
; Kernel info:
; codeLenInByte = 0
; TotalNumSgprs: 0
; NumVgprs: 0
; ScratchSize: 0
; MemoryBound: 0
; FloatMode: 240
; IeeeMode: 1
; LDSByteSize: 0 bytes/workgroup (compile time only)
; SGPRBlocks: 0
; VGPRBlocks: 0
; NumSGPRsForWavesPerEU: 1
; NumVGPRsForWavesPerEU: 1
; Occupancy: 16
; WaveLimiterHint : 0
; COMPUTE_PGM_RSRC2:SCRATCH_EN: 0
; COMPUTE_PGM_RSRC2:USER_SGPR: 2
; COMPUTE_PGM_RSRC2:TRAP_HANDLER: 0
; COMPUTE_PGM_RSRC2:TGID_X_EN: 1
; COMPUTE_PGM_RSRC2:TGID_Y_EN: 0
; COMPUTE_PGM_RSRC2:TGID_Z_EN: 0
; COMPUTE_PGM_RSRC2:TIDIG_COMP_CNT: 0
	.section	.text._ZN7rocprim17ROCPRIM_400000_NS6detail17trampoline_kernelINS0_14default_configENS1_25partition_config_selectorILNS1_17partition_subalgoE6EiNS0_10empty_typeEbEEZZNS1_14partition_implILS5_6ELb0ES3_mN6thrust23THRUST_200600_302600_NS6detail15normal_iteratorINSA_10device_ptrIiEEEEPS6_SG_NS0_5tupleIJSF_S6_EEENSH_IJSG_SG_EEES6_PlJNSB_9not_fun_tI6is_oddIiEEEEEE10hipError_tPvRmT3_T4_T5_T6_T7_T9_mT8_P12ihipStream_tbDpT10_ENKUlT_T0_E_clISt17integral_constantIbLb1EES18_EEDaS13_S14_EUlS13_E_NS1_11comp_targetILNS1_3genE8ELNS1_11target_archE1030ELNS1_3gpuE2ELNS1_3repE0EEENS1_30default_config_static_selectorELNS0_4arch9wavefront6targetE0EEEvT1_,"axG",@progbits,_ZN7rocprim17ROCPRIM_400000_NS6detail17trampoline_kernelINS0_14default_configENS1_25partition_config_selectorILNS1_17partition_subalgoE6EiNS0_10empty_typeEbEEZZNS1_14partition_implILS5_6ELb0ES3_mN6thrust23THRUST_200600_302600_NS6detail15normal_iteratorINSA_10device_ptrIiEEEEPS6_SG_NS0_5tupleIJSF_S6_EEENSH_IJSG_SG_EEES6_PlJNSB_9not_fun_tI6is_oddIiEEEEEE10hipError_tPvRmT3_T4_T5_T6_T7_T9_mT8_P12ihipStream_tbDpT10_ENKUlT_T0_E_clISt17integral_constantIbLb1EES18_EEDaS13_S14_EUlS13_E_NS1_11comp_targetILNS1_3genE8ELNS1_11target_archE1030ELNS1_3gpuE2ELNS1_3repE0EEENS1_30default_config_static_selectorELNS0_4arch9wavefront6targetE0EEEvT1_,comdat
	.protected	_ZN7rocprim17ROCPRIM_400000_NS6detail17trampoline_kernelINS0_14default_configENS1_25partition_config_selectorILNS1_17partition_subalgoE6EiNS0_10empty_typeEbEEZZNS1_14partition_implILS5_6ELb0ES3_mN6thrust23THRUST_200600_302600_NS6detail15normal_iteratorINSA_10device_ptrIiEEEEPS6_SG_NS0_5tupleIJSF_S6_EEENSH_IJSG_SG_EEES6_PlJNSB_9not_fun_tI6is_oddIiEEEEEE10hipError_tPvRmT3_T4_T5_T6_T7_T9_mT8_P12ihipStream_tbDpT10_ENKUlT_T0_E_clISt17integral_constantIbLb1EES18_EEDaS13_S14_EUlS13_E_NS1_11comp_targetILNS1_3genE8ELNS1_11target_archE1030ELNS1_3gpuE2ELNS1_3repE0EEENS1_30default_config_static_selectorELNS0_4arch9wavefront6targetE0EEEvT1_ ; -- Begin function _ZN7rocprim17ROCPRIM_400000_NS6detail17trampoline_kernelINS0_14default_configENS1_25partition_config_selectorILNS1_17partition_subalgoE6EiNS0_10empty_typeEbEEZZNS1_14partition_implILS5_6ELb0ES3_mN6thrust23THRUST_200600_302600_NS6detail15normal_iteratorINSA_10device_ptrIiEEEEPS6_SG_NS0_5tupleIJSF_S6_EEENSH_IJSG_SG_EEES6_PlJNSB_9not_fun_tI6is_oddIiEEEEEE10hipError_tPvRmT3_T4_T5_T6_T7_T9_mT8_P12ihipStream_tbDpT10_ENKUlT_T0_E_clISt17integral_constantIbLb1EES18_EEDaS13_S14_EUlS13_E_NS1_11comp_targetILNS1_3genE8ELNS1_11target_archE1030ELNS1_3gpuE2ELNS1_3repE0EEENS1_30default_config_static_selectorELNS0_4arch9wavefront6targetE0EEEvT1_
	.globl	_ZN7rocprim17ROCPRIM_400000_NS6detail17trampoline_kernelINS0_14default_configENS1_25partition_config_selectorILNS1_17partition_subalgoE6EiNS0_10empty_typeEbEEZZNS1_14partition_implILS5_6ELb0ES3_mN6thrust23THRUST_200600_302600_NS6detail15normal_iteratorINSA_10device_ptrIiEEEEPS6_SG_NS0_5tupleIJSF_S6_EEENSH_IJSG_SG_EEES6_PlJNSB_9not_fun_tI6is_oddIiEEEEEE10hipError_tPvRmT3_T4_T5_T6_T7_T9_mT8_P12ihipStream_tbDpT10_ENKUlT_T0_E_clISt17integral_constantIbLb1EES18_EEDaS13_S14_EUlS13_E_NS1_11comp_targetILNS1_3genE8ELNS1_11target_archE1030ELNS1_3gpuE2ELNS1_3repE0EEENS1_30default_config_static_selectorELNS0_4arch9wavefront6targetE0EEEvT1_
	.p2align	8
	.type	_ZN7rocprim17ROCPRIM_400000_NS6detail17trampoline_kernelINS0_14default_configENS1_25partition_config_selectorILNS1_17partition_subalgoE6EiNS0_10empty_typeEbEEZZNS1_14partition_implILS5_6ELb0ES3_mN6thrust23THRUST_200600_302600_NS6detail15normal_iteratorINSA_10device_ptrIiEEEEPS6_SG_NS0_5tupleIJSF_S6_EEENSH_IJSG_SG_EEES6_PlJNSB_9not_fun_tI6is_oddIiEEEEEE10hipError_tPvRmT3_T4_T5_T6_T7_T9_mT8_P12ihipStream_tbDpT10_ENKUlT_T0_E_clISt17integral_constantIbLb1EES18_EEDaS13_S14_EUlS13_E_NS1_11comp_targetILNS1_3genE8ELNS1_11target_archE1030ELNS1_3gpuE2ELNS1_3repE0EEENS1_30default_config_static_selectorELNS0_4arch9wavefront6targetE0EEEvT1_,@function
_ZN7rocprim17ROCPRIM_400000_NS6detail17trampoline_kernelINS0_14default_configENS1_25partition_config_selectorILNS1_17partition_subalgoE6EiNS0_10empty_typeEbEEZZNS1_14partition_implILS5_6ELb0ES3_mN6thrust23THRUST_200600_302600_NS6detail15normal_iteratorINSA_10device_ptrIiEEEEPS6_SG_NS0_5tupleIJSF_S6_EEENSH_IJSG_SG_EEES6_PlJNSB_9not_fun_tI6is_oddIiEEEEEE10hipError_tPvRmT3_T4_T5_T6_T7_T9_mT8_P12ihipStream_tbDpT10_ENKUlT_T0_E_clISt17integral_constantIbLb1EES18_EEDaS13_S14_EUlS13_E_NS1_11comp_targetILNS1_3genE8ELNS1_11target_archE1030ELNS1_3gpuE2ELNS1_3repE0EEENS1_30default_config_static_selectorELNS0_4arch9wavefront6targetE0EEEvT1_: ; @_ZN7rocprim17ROCPRIM_400000_NS6detail17trampoline_kernelINS0_14default_configENS1_25partition_config_selectorILNS1_17partition_subalgoE6EiNS0_10empty_typeEbEEZZNS1_14partition_implILS5_6ELb0ES3_mN6thrust23THRUST_200600_302600_NS6detail15normal_iteratorINSA_10device_ptrIiEEEEPS6_SG_NS0_5tupleIJSF_S6_EEENSH_IJSG_SG_EEES6_PlJNSB_9not_fun_tI6is_oddIiEEEEEE10hipError_tPvRmT3_T4_T5_T6_T7_T9_mT8_P12ihipStream_tbDpT10_ENKUlT_T0_E_clISt17integral_constantIbLb1EES18_EEDaS13_S14_EUlS13_E_NS1_11comp_targetILNS1_3genE8ELNS1_11target_archE1030ELNS1_3gpuE2ELNS1_3repE0EEENS1_30default_config_static_selectorELNS0_4arch9wavefront6targetE0EEEvT1_
; %bb.0:
	.section	.rodata,"a",@progbits
	.p2align	6, 0x0
	.amdhsa_kernel _ZN7rocprim17ROCPRIM_400000_NS6detail17trampoline_kernelINS0_14default_configENS1_25partition_config_selectorILNS1_17partition_subalgoE6EiNS0_10empty_typeEbEEZZNS1_14partition_implILS5_6ELb0ES3_mN6thrust23THRUST_200600_302600_NS6detail15normal_iteratorINSA_10device_ptrIiEEEEPS6_SG_NS0_5tupleIJSF_S6_EEENSH_IJSG_SG_EEES6_PlJNSB_9not_fun_tI6is_oddIiEEEEEE10hipError_tPvRmT3_T4_T5_T6_T7_T9_mT8_P12ihipStream_tbDpT10_ENKUlT_T0_E_clISt17integral_constantIbLb1EES18_EEDaS13_S14_EUlS13_E_NS1_11comp_targetILNS1_3genE8ELNS1_11target_archE1030ELNS1_3gpuE2ELNS1_3repE0EEENS1_30default_config_static_selectorELNS0_4arch9wavefront6targetE0EEEvT1_
		.amdhsa_group_segment_fixed_size 0
		.amdhsa_private_segment_fixed_size 0
		.amdhsa_kernarg_size 128
		.amdhsa_user_sgpr_count 2
		.amdhsa_user_sgpr_dispatch_ptr 0
		.amdhsa_user_sgpr_queue_ptr 0
		.amdhsa_user_sgpr_kernarg_segment_ptr 1
		.amdhsa_user_sgpr_dispatch_id 0
		.amdhsa_user_sgpr_private_segment_size 0
		.amdhsa_wavefront_size32 1
		.amdhsa_uses_dynamic_stack 0
		.amdhsa_enable_private_segment 0
		.amdhsa_system_sgpr_workgroup_id_x 1
		.amdhsa_system_sgpr_workgroup_id_y 0
		.amdhsa_system_sgpr_workgroup_id_z 0
		.amdhsa_system_sgpr_workgroup_info 0
		.amdhsa_system_vgpr_workitem_id 0
		.amdhsa_next_free_vgpr 1
		.amdhsa_next_free_sgpr 1
		.amdhsa_reserve_vcc 0
		.amdhsa_float_round_mode_32 0
		.amdhsa_float_round_mode_16_64 0
		.amdhsa_float_denorm_mode_32 3
		.amdhsa_float_denorm_mode_16_64 3
		.amdhsa_fp16_overflow 0
		.amdhsa_workgroup_processor_mode 1
		.amdhsa_memory_ordered 1
		.amdhsa_forward_progress 1
		.amdhsa_inst_pref_size 0
		.amdhsa_round_robin_scheduling 0
		.amdhsa_exception_fp_ieee_invalid_op 0
		.amdhsa_exception_fp_denorm_src 0
		.amdhsa_exception_fp_ieee_div_zero 0
		.amdhsa_exception_fp_ieee_overflow 0
		.amdhsa_exception_fp_ieee_underflow 0
		.amdhsa_exception_fp_ieee_inexact 0
		.amdhsa_exception_int_div_zero 0
	.end_amdhsa_kernel
	.section	.text._ZN7rocprim17ROCPRIM_400000_NS6detail17trampoline_kernelINS0_14default_configENS1_25partition_config_selectorILNS1_17partition_subalgoE6EiNS0_10empty_typeEbEEZZNS1_14partition_implILS5_6ELb0ES3_mN6thrust23THRUST_200600_302600_NS6detail15normal_iteratorINSA_10device_ptrIiEEEEPS6_SG_NS0_5tupleIJSF_S6_EEENSH_IJSG_SG_EEES6_PlJNSB_9not_fun_tI6is_oddIiEEEEEE10hipError_tPvRmT3_T4_T5_T6_T7_T9_mT8_P12ihipStream_tbDpT10_ENKUlT_T0_E_clISt17integral_constantIbLb1EES18_EEDaS13_S14_EUlS13_E_NS1_11comp_targetILNS1_3genE8ELNS1_11target_archE1030ELNS1_3gpuE2ELNS1_3repE0EEENS1_30default_config_static_selectorELNS0_4arch9wavefront6targetE0EEEvT1_,"axG",@progbits,_ZN7rocprim17ROCPRIM_400000_NS6detail17trampoline_kernelINS0_14default_configENS1_25partition_config_selectorILNS1_17partition_subalgoE6EiNS0_10empty_typeEbEEZZNS1_14partition_implILS5_6ELb0ES3_mN6thrust23THRUST_200600_302600_NS6detail15normal_iteratorINSA_10device_ptrIiEEEEPS6_SG_NS0_5tupleIJSF_S6_EEENSH_IJSG_SG_EEES6_PlJNSB_9not_fun_tI6is_oddIiEEEEEE10hipError_tPvRmT3_T4_T5_T6_T7_T9_mT8_P12ihipStream_tbDpT10_ENKUlT_T0_E_clISt17integral_constantIbLb1EES18_EEDaS13_S14_EUlS13_E_NS1_11comp_targetILNS1_3genE8ELNS1_11target_archE1030ELNS1_3gpuE2ELNS1_3repE0EEENS1_30default_config_static_selectorELNS0_4arch9wavefront6targetE0EEEvT1_,comdat
.Lfunc_end98:
	.size	_ZN7rocprim17ROCPRIM_400000_NS6detail17trampoline_kernelINS0_14default_configENS1_25partition_config_selectorILNS1_17partition_subalgoE6EiNS0_10empty_typeEbEEZZNS1_14partition_implILS5_6ELb0ES3_mN6thrust23THRUST_200600_302600_NS6detail15normal_iteratorINSA_10device_ptrIiEEEEPS6_SG_NS0_5tupleIJSF_S6_EEENSH_IJSG_SG_EEES6_PlJNSB_9not_fun_tI6is_oddIiEEEEEE10hipError_tPvRmT3_T4_T5_T6_T7_T9_mT8_P12ihipStream_tbDpT10_ENKUlT_T0_E_clISt17integral_constantIbLb1EES18_EEDaS13_S14_EUlS13_E_NS1_11comp_targetILNS1_3genE8ELNS1_11target_archE1030ELNS1_3gpuE2ELNS1_3repE0EEENS1_30default_config_static_selectorELNS0_4arch9wavefront6targetE0EEEvT1_, .Lfunc_end98-_ZN7rocprim17ROCPRIM_400000_NS6detail17trampoline_kernelINS0_14default_configENS1_25partition_config_selectorILNS1_17partition_subalgoE6EiNS0_10empty_typeEbEEZZNS1_14partition_implILS5_6ELb0ES3_mN6thrust23THRUST_200600_302600_NS6detail15normal_iteratorINSA_10device_ptrIiEEEEPS6_SG_NS0_5tupleIJSF_S6_EEENSH_IJSG_SG_EEES6_PlJNSB_9not_fun_tI6is_oddIiEEEEEE10hipError_tPvRmT3_T4_T5_T6_T7_T9_mT8_P12ihipStream_tbDpT10_ENKUlT_T0_E_clISt17integral_constantIbLb1EES18_EEDaS13_S14_EUlS13_E_NS1_11comp_targetILNS1_3genE8ELNS1_11target_archE1030ELNS1_3gpuE2ELNS1_3repE0EEENS1_30default_config_static_selectorELNS0_4arch9wavefront6targetE0EEEvT1_
                                        ; -- End function
	.set _ZN7rocprim17ROCPRIM_400000_NS6detail17trampoline_kernelINS0_14default_configENS1_25partition_config_selectorILNS1_17partition_subalgoE6EiNS0_10empty_typeEbEEZZNS1_14partition_implILS5_6ELb0ES3_mN6thrust23THRUST_200600_302600_NS6detail15normal_iteratorINSA_10device_ptrIiEEEEPS6_SG_NS0_5tupleIJSF_S6_EEENSH_IJSG_SG_EEES6_PlJNSB_9not_fun_tI6is_oddIiEEEEEE10hipError_tPvRmT3_T4_T5_T6_T7_T9_mT8_P12ihipStream_tbDpT10_ENKUlT_T0_E_clISt17integral_constantIbLb1EES18_EEDaS13_S14_EUlS13_E_NS1_11comp_targetILNS1_3genE8ELNS1_11target_archE1030ELNS1_3gpuE2ELNS1_3repE0EEENS1_30default_config_static_selectorELNS0_4arch9wavefront6targetE0EEEvT1_.num_vgpr, 0
	.set _ZN7rocprim17ROCPRIM_400000_NS6detail17trampoline_kernelINS0_14default_configENS1_25partition_config_selectorILNS1_17partition_subalgoE6EiNS0_10empty_typeEbEEZZNS1_14partition_implILS5_6ELb0ES3_mN6thrust23THRUST_200600_302600_NS6detail15normal_iteratorINSA_10device_ptrIiEEEEPS6_SG_NS0_5tupleIJSF_S6_EEENSH_IJSG_SG_EEES6_PlJNSB_9not_fun_tI6is_oddIiEEEEEE10hipError_tPvRmT3_T4_T5_T6_T7_T9_mT8_P12ihipStream_tbDpT10_ENKUlT_T0_E_clISt17integral_constantIbLb1EES18_EEDaS13_S14_EUlS13_E_NS1_11comp_targetILNS1_3genE8ELNS1_11target_archE1030ELNS1_3gpuE2ELNS1_3repE0EEENS1_30default_config_static_selectorELNS0_4arch9wavefront6targetE0EEEvT1_.num_agpr, 0
	.set _ZN7rocprim17ROCPRIM_400000_NS6detail17trampoline_kernelINS0_14default_configENS1_25partition_config_selectorILNS1_17partition_subalgoE6EiNS0_10empty_typeEbEEZZNS1_14partition_implILS5_6ELb0ES3_mN6thrust23THRUST_200600_302600_NS6detail15normal_iteratorINSA_10device_ptrIiEEEEPS6_SG_NS0_5tupleIJSF_S6_EEENSH_IJSG_SG_EEES6_PlJNSB_9not_fun_tI6is_oddIiEEEEEE10hipError_tPvRmT3_T4_T5_T6_T7_T9_mT8_P12ihipStream_tbDpT10_ENKUlT_T0_E_clISt17integral_constantIbLb1EES18_EEDaS13_S14_EUlS13_E_NS1_11comp_targetILNS1_3genE8ELNS1_11target_archE1030ELNS1_3gpuE2ELNS1_3repE0EEENS1_30default_config_static_selectorELNS0_4arch9wavefront6targetE0EEEvT1_.numbered_sgpr, 0
	.set _ZN7rocprim17ROCPRIM_400000_NS6detail17trampoline_kernelINS0_14default_configENS1_25partition_config_selectorILNS1_17partition_subalgoE6EiNS0_10empty_typeEbEEZZNS1_14partition_implILS5_6ELb0ES3_mN6thrust23THRUST_200600_302600_NS6detail15normal_iteratorINSA_10device_ptrIiEEEEPS6_SG_NS0_5tupleIJSF_S6_EEENSH_IJSG_SG_EEES6_PlJNSB_9not_fun_tI6is_oddIiEEEEEE10hipError_tPvRmT3_T4_T5_T6_T7_T9_mT8_P12ihipStream_tbDpT10_ENKUlT_T0_E_clISt17integral_constantIbLb1EES18_EEDaS13_S14_EUlS13_E_NS1_11comp_targetILNS1_3genE8ELNS1_11target_archE1030ELNS1_3gpuE2ELNS1_3repE0EEENS1_30default_config_static_selectorELNS0_4arch9wavefront6targetE0EEEvT1_.num_named_barrier, 0
	.set _ZN7rocprim17ROCPRIM_400000_NS6detail17trampoline_kernelINS0_14default_configENS1_25partition_config_selectorILNS1_17partition_subalgoE6EiNS0_10empty_typeEbEEZZNS1_14partition_implILS5_6ELb0ES3_mN6thrust23THRUST_200600_302600_NS6detail15normal_iteratorINSA_10device_ptrIiEEEEPS6_SG_NS0_5tupleIJSF_S6_EEENSH_IJSG_SG_EEES6_PlJNSB_9not_fun_tI6is_oddIiEEEEEE10hipError_tPvRmT3_T4_T5_T6_T7_T9_mT8_P12ihipStream_tbDpT10_ENKUlT_T0_E_clISt17integral_constantIbLb1EES18_EEDaS13_S14_EUlS13_E_NS1_11comp_targetILNS1_3genE8ELNS1_11target_archE1030ELNS1_3gpuE2ELNS1_3repE0EEENS1_30default_config_static_selectorELNS0_4arch9wavefront6targetE0EEEvT1_.private_seg_size, 0
	.set _ZN7rocprim17ROCPRIM_400000_NS6detail17trampoline_kernelINS0_14default_configENS1_25partition_config_selectorILNS1_17partition_subalgoE6EiNS0_10empty_typeEbEEZZNS1_14partition_implILS5_6ELb0ES3_mN6thrust23THRUST_200600_302600_NS6detail15normal_iteratorINSA_10device_ptrIiEEEEPS6_SG_NS0_5tupleIJSF_S6_EEENSH_IJSG_SG_EEES6_PlJNSB_9not_fun_tI6is_oddIiEEEEEE10hipError_tPvRmT3_T4_T5_T6_T7_T9_mT8_P12ihipStream_tbDpT10_ENKUlT_T0_E_clISt17integral_constantIbLb1EES18_EEDaS13_S14_EUlS13_E_NS1_11comp_targetILNS1_3genE8ELNS1_11target_archE1030ELNS1_3gpuE2ELNS1_3repE0EEENS1_30default_config_static_selectorELNS0_4arch9wavefront6targetE0EEEvT1_.uses_vcc, 0
	.set _ZN7rocprim17ROCPRIM_400000_NS6detail17trampoline_kernelINS0_14default_configENS1_25partition_config_selectorILNS1_17partition_subalgoE6EiNS0_10empty_typeEbEEZZNS1_14partition_implILS5_6ELb0ES3_mN6thrust23THRUST_200600_302600_NS6detail15normal_iteratorINSA_10device_ptrIiEEEEPS6_SG_NS0_5tupleIJSF_S6_EEENSH_IJSG_SG_EEES6_PlJNSB_9not_fun_tI6is_oddIiEEEEEE10hipError_tPvRmT3_T4_T5_T6_T7_T9_mT8_P12ihipStream_tbDpT10_ENKUlT_T0_E_clISt17integral_constantIbLb1EES18_EEDaS13_S14_EUlS13_E_NS1_11comp_targetILNS1_3genE8ELNS1_11target_archE1030ELNS1_3gpuE2ELNS1_3repE0EEENS1_30default_config_static_selectorELNS0_4arch9wavefront6targetE0EEEvT1_.uses_flat_scratch, 0
	.set _ZN7rocprim17ROCPRIM_400000_NS6detail17trampoline_kernelINS0_14default_configENS1_25partition_config_selectorILNS1_17partition_subalgoE6EiNS0_10empty_typeEbEEZZNS1_14partition_implILS5_6ELb0ES3_mN6thrust23THRUST_200600_302600_NS6detail15normal_iteratorINSA_10device_ptrIiEEEEPS6_SG_NS0_5tupleIJSF_S6_EEENSH_IJSG_SG_EEES6_PlJNSB_9not_fun_tI6is_oddIiEEEEEE10hipError_tPvRmT3_T4_T5_T6_T7_T9_mT8_P12ihipStream_tbDpT10_ENKUlT_T0_E_clISt17integral_constantIbLb1EES18_EEDaS13_S14_EUlS13_E_NS1_11comp_targetILNS1_3genE8ELNS1_11target_archE1030ELNS1_3gpuE2ELNS1_3repE0EEENS1_30default_config_static_selectorELNS0_4arch9wavefront6targetE0EEEvT1_.has_dyn_sized_stack, 0
	.set _ZN7rocprim17ROCPRIM_400000_NS6detail17trampoline_kernelINS0_14default_configENS1_25partition_config_selectorILNS1_17partition_subalgoE6EiNS0_10empty_typeEbEEZZNS1_14partition_implILS5_6ELb0ES3_mN6thrust23THRUST_200600_302600_NS6detail15normal_iteratorINSA_10device_ptrIiEEEEPS6_SG_NS0_5tupleIJSF_S6_EEENSH_IJSG_SG_EEES6_PlJNSB_9not_fun_tI6is_oddIiEEEEEE10hipError_tPvRmT3_T4_T5_T6_T7_T9_mT8_P12ihipStream_tbDpT10_ENKUlT_T0_E_clISt17integral_constantIbLb1EES18_EEDaS13_S14_EUlS13_E_NS1_11comp_targetILNS1_3genE8ELNS1_11target_archE1030ELNS1_3gpuE2ELNS1_3repE0EEENS1_30default_config_static_selectorELNS0_4arch9wavefront6targetE0EEEvT1_.has_recursion, 0
	.set _ZN7rocprim17ROCPRIM_400000_NS6detail17trampoline_kernelINS0_14default_configENS1_25partition_config_selectorILNS1_17partition_subalgoE6EiNS0_10empty_typeEbEEZZNS1_14partition_implILS5_6ELb0ES3_mN6thrust23THRUST_200600_302600_NS6detail15normal_iteratorINSA_10device_ptrIiEEEEPS6_SG_NS0_5tupleIJSF_S6_EEENSH_IJSG_SG_EEES6_PlJNSB_9not_fun_tI6is_oddIiEEEEEE10hipError_tPvRmT3_T4_T5_T6_T7_T9_mT8_P12ihipStream_tbDpT10_ENKUlT_T0_E_clISt17integral_constantIbLb1EES18_EEDaS13_S14_EUlS13_E_NS1_11comp_targetILNS1_3genE8ELNS1_11target_archE1030ELNS1_3gpuE2ELNS1_3repE0EEENS1_30default_config_static_selectorELNS0_4arch9wavefront6targetE0EEEvT1_.has_indirect_call, 0
	.section	.AMDGPU.csdata,"",@progbits
; Kernel info:
; codeLenInByte = 0
; TotalNumSgprs: 0
; NumVgprs: 0
; ScratchSize: 0
; MemoryBound: 0
; FloatMode: 240
; IeeeMode: 1
; LDSByteSize: 0 bytes/workgroup (compile time only)
; SGPRBlocks: 0
; VGPRBlocks: 0
; NumSGPRsForWavesPerEU: 1
; NumVGPRsForWavesPerEU: 1
; Occupancy: 16
; WaveLimiterHint : 0
; COMPUTE_PGM_RSRC2:SCRATCH_EN: 0
; COMPUTE_PGM_RSRC2:USER_SGPR: 2
; COMPUTE_PGM_RSRC2:TRAP_HANDLER: 0
; COMPUTE_PGM_RSRC2:TGID_X_EN: 1
; COMPUTE_PGM_RSRC2:TGID_Y_EN: 0
; COMPUTE_PGM_RSRC2:TGID_Z_EN: 0
; COMPUTE_PGM_RSRC2:TIDIG_COMP_CNT: 0
	.section	.text._ZN7rocprim17ROCPRIM_400000_NS6detail17trampoline_kernelINS0_14default_configENS1_25partition_config_selectorILNS1_17partition_subalgoE6EiNS0_10empty_typeEbEEZZNS1_14partition_implILS5_6ELb0ES3_mN6thrust23THRUST_200600_302600_NS6detail15normal_iteratorINSA_10device_ptrIiEEEEPS6_SG_NS0_5tupleIJSF_S6_EEENSH_IJSG_SG_EEES6_PlJNSB_9not_fun_tI6is_oddIiEEEEEE10hipError_tPvRmT3_T4_T5_T6_T7_T9_mT8_P12ihipStream_tbDpT10_ENKUlT_T0_E_clISt17integral_constantIbLb1EES17_IbLb0EEEEDaS13_S14_EUlS13_E_NS1_11comp_targetILNS1_3genE0ELNS1_11target_archE4294967295ELNS1_3gpuE0ELNS1_3repE0EEENS1_30default_config_static_selectorELNS0_4arch9wavefront6targetE0EEEvT1_,"axG",@progbits,_ZN7rocprim17ROCPRIM_400000_NS6detail17trampoline_kernelINS0_14default_configENS1_25partition_config_selectorILNS1_17partition_subalgoE6EiNS0_10empty_typeEbEEZZNS1_14partition_implILS5_6ELb0ES3_mN6thrust23THRUST_200600_302600_NS6detail15normal_iteratorINSA_10device_ptrIiEEEEPS6_SG_NS0_5tupleIJSF_S6_EEENSH_IJSG_SG_EEES6_PlJNSB_9not_fun_tI6is_oddIiEEEEEE10hipError_tPvRmT3_T4_T5_T6_T7_T9_mT8_P12ihipStream_tbDpT10_ENKUlT_T0_E_clISt17integral_constantIbLb1EES17_IbLb0EEEEDaS13_S14_EUlS13_E_NS1_11comp_targetILNS1_3genE0ELNS1_11target_archE4294967295ELNS1_3gpuE0ELNS1_3repE0EEENS1_30default_config_static_selectorELNS0_4arch9wavefront6targetE0EEEvT1_,comdat
	.protected	_ZN7rocprim17ROCPRIM_400000_NS6detail17trampoline_kernelINS0_14default_configENS1_25partition_config_selectorILNS1_17partition_subalgoE6EiNS0_10empty_typeEbEEZZNS1_14partition_implILS5_6ELb0ES3_mN6thrust23THRUST_200600_302600_NS6detail15normal_iteratorINSA_10device_ptrIiEEEEPS6_SG_NS0_5tupleIJSF_S6_EEENSH_IJSG_SG_EEES6_PlJNSB_9not_fun_tI6is_oddIiEEEEEE10hipError_tPvRmT3_T4_T5_T6_T7_T9_mT8_P12ihipStream_tbDpT10_ENKUlT_T0_E_clISt17integral_constantIbLb1EES17_IbLb0EEEEDaS13_S14_EUlS13_E_NS1_11comp_targetILNS1_3genE0ELNS1_11target_archE4294967295ELNS1_3gpuE0ELNS1_3repE0EEENS1_30default_config_static_selectorELNS0_4arch9wavefront6targetE0EEEvT1_ ; -- Begin function _ZN7rocprim17ROCPRIM_400000_NS6detail17trampoline_kernelINS0_14default_configENS1_25partition_config_selectorILNS1_17partition_subalgoE6EiNS0_10empty_typeEbEEZZNS1_14partition_implILS5_6ELb0ES3_mN6thrust23THRUST_200600_302600_NS6detail15normal_iteratorINSA_10device_ptrIiEEEEPS6_SG_NS0_5tupleIJSF_S6_EEENSH_IJSG_SG_EEES6_PlJNSB_9not_fun_tI6is_oddIiEEEEEE10hipError_tPvRmT3_T4_T5_T6_T7_T9_mT8_P12ihipStream_tbDpT10_ENKUlT_T0_E_clISt17integral_constantIbLb1EES17_IbLb0EEEEDaS13_S14_EUlS13_E_NS1_11comp_targetILNS1_3genE0ELNS1_11target_archE4294967295ELNS1_3gpuE0ELNS1_3repE0EEENS1_30default_config_static_selectorELNS0_4arch9wavefront6targetE0EEEvT1_
	.globl	_ZN7rocprim17ROCPRIM_400000_NS6detail17trampoline_kernelINS0_14default_configENS1_25partition_config_selectorILNS1_17partition_subalgoE6EiNS0_10empty_typeEbEEZZNS1_14partition_implILS5_6ELb0ES3_mN6thrust23THRUST_200600_302600_NS6detail15normal_iteratorINSA_10device_ptrIiEEEEPS6_SG_NS0_5tupleIJSF_S6_EEENSH_IJSG_SG_EEES6_PlJNSB_9not_fun_tI6is_oddIiEEEEEE10hipError_tPvRmT3_T4_T5_T6_T7_T9_mT8_P12ihipStream_tbDpT10_ENKUlT_T0_E_clISt17integral_constantIbLb1EES17_IbLb0EEEEDaS13_S14_EUlS13_E_NS1_11comp_targetILNS1_3genE0ELNS1_11target_archE4294967295ELNS1_3gpuE0ELNS1_3repE0EEENS1_30default_config_static_selectorELNS0_4arch9wavefront6targetE0EEEvT1_
	.p2align	8
	.type	_ZN7rocprim17ROCPRIM_400000_NS6detail17trampoline_kernelINS0_14default_configENS1_25partition_config_selectorILNS1_17partition_subalgoE6EiNS0_10empty_typeEbEEZZNS1_14partition_implILS5_6ELb0ES3_mN6thrust23THRUST_200600_302600_NS6detail15normal_iteratorINSA_10device_ptrIiEEEEPS6_SG_NS0_5tupleIJSF_S6_EEENSH_IJSG_SG_EEES6_PlJNSB_9not_fun_tI6is_oddIiEEEEEE10hipError_tPvRmT3_T4_T5_T6_T7_T9_mT8_P12ihipStream_tbDpT10_ENKUlT_T0_E_clISt17integral_constantIbLb1EES17_IbLb0EEEEDaS13_S14_EUlS13_E_NS1_11comp_targetILNS1_3genE0ELNS1_11target_archE4294967295ELNS1_3gpuE0ELNS1_3repE0EEENS1_30default_config_static_selectorELNS0_4arch9wavefront6targetE0EEEvT1_,@function
_ZN7rocprim17ROCPRIM_400000_NS6detail17trampoline_kernelINS0_14default_configENS1_25partition_config_selectorILNS1_17partition_subalgoE6EiNS0_10empty_typeEbEEZZNS1_14partition_implILS5_6ELb0ES3_mN6thrust23THRUST_200600_302600_NS6detail15normal_iteratorINSA_10device_ptrIiEEEEPS6_SG_NS0_5tupleIJSF_S6_EEENSH_IJSG_SG_EEES6_PlJNSB_9not_fun_tI6is_oddIiEEEEEE10hipError_tPvRmT3_T4_T5_T6_T7_T9_mT8_P12ihipStream_tbDpT10_ENKUlT_T0_E_clISt17integral_constantIbLb1EES17_IbLb0EEEEDaS13_S14_EUlS13_E_NS1_11comp_targetILNS1_3genE0ELNS1_11target_archE4294967295ELNS1_3gpuE0ELNS1_3repE0EEENS1_30default_config_static_selectorELNS0_4arch9wavefront6targetE0EEEvT1_: ; @_ZN7rocprim17ROCPRIM_400000_NS6detail17trampoline_kernelINS0_14default_configENS1_25partition_config_selectorILNS1_17partition_subalgoE6EiNS0_10empty_typeEbEEZZNS1_14partition_implILS5_6ELb0ES3_mN6thrust23THRUST_200600_302600_NS6detail15normal_iteratorINSA_10device_ptrIiEEEEPS6_SG_NS0_5tupleIJSF_S6_EEENSH_IJSG_SG_EEES6_PlJNSB_9not_fun_tI6is_oddIiEEEEEE10hipError_tPvRmT3_T4_T5_T6_T7_T9_mT8_P12ihipStream_tbDpT10_ENKUlT_T0_E_clISt17integral_constantIbLb1EES17_IbLb0EEEEDaS13_S14_EUlS13_E_NS1_11comp_targetILNS1_3genE0ELNS1_11target_archE4294967295ELNS1_3gpuE0ELNS1_3repE0EEENS1_30default_config_static_selectorELNS0_4arch9wavefront6targetE0EEEvT1_
; %bb.0:
	.section	.rodata,"a",@progbits
	.p2align	6, 0x0
	.amdhsa_kernel _ZN7rocprim17ROCPRIM_400000_NS6detail17trampoline_kernelINS0_14default_configENS1_25partition_config_selectorILNS1_17partition_subalgoE6EiNS0_10empty_typeEbEEZZNS1_14partition_implILS5_6ELb0ES3_mN6thrust23THRUST_200600_302600_NS6detail15normal_iteratorINSA_10device_ptrIiEEEEPS6_SG_NS0_5tupleIJSF_S6_EEENSH_IJSG_SG_EEES6_PlJNSB_9not_fun_tI6is_oddIiEEEEEE10hipError_tPvRmT3_T4_T5_T6_T7_T9_mT8_P12ihipStream_tbDpT10_ENKUlT_T0_E_clISt17integral_constantIbLb1EES17_IbLb0EEEEDaS13_S14_EUlS13_E_NS1_11comp_targetILNS1_3genE0ELNS1_11target_archE4294967295ELNS1_3gpuE0ELNS1_3repE0EEENS1_30default_config_static_selectorELNS0_4arch9wavefront6targetE0EEEvT1_
		.amdhsa_group_segment_fixed_size 0
		.amdhsa_private_segment_fixed_size 0
		.amdhsa_kernarg_size 112
		.amdhsa_user_sgpr_count 2
		.amdhsa_user_sgpr_dispatch_ptr 0
		.amdhsa_user_sgpr_queue_ptr 0
		.amdhsa_user_sgpr_kernarg_segment_ptr 1
		.amdhsa_user_sgpr_dispatch_id 0
		.amdhsa_user_sgpr_private_segment_size 0
		.amdhsa_wavefront_size32 1
		.amdhsa_uses_dynamic_stack 0
		.amdhsa_enable_private_segment 0
		.amdhsa_system_sgpr_workgroup_id_x 1
		.amdhsa_system_sgpr_workgroup_id_y 0
		.amdhsa_system_sgpr_workgroup_id_z 0
		.amdhsa_system_sgpr_workgroup_info 0
		.amdhsa_system_vgpr_workitem_id 0
		.amdhsa_next_free_vgpr 1
		.amdhsa_next_free_sgpr 1
		.amdhsa_reserve_vcc 0
		.amdhsa_float_round_mode_32 0
		.amdhsa_float_round_mode_16_64 0
		.amdhsa_float_denorm_mode_32 3
		.amdhsa_float_denorm_mode_16_64 3
		.amdhsa_fp16_overflow 0
		.amdhsa_workgroup_processor_mode 1
		.amdhsa_memory_ordered 1
		.amdhsa_forward_progress 1
		.amdhsa_inst_pref_size 0
		.amdhsa_round_robin_scheduling 0
		.amdhsa_exception_fp_ieee_invalid_op 0
		.amdhsa_exception_fp_denorm_src 0
		.amdhsa_exception_fp_ieee_div_zero 0
		.amdhsa_exception_fp_ieee_overflow 0
		.amdhsa_exception_fp_ieee_underflow 0
		.amdhsa_exception_fp_ieee_inexact 0
		.amdhsa_exception_int_div_zero 0
	.end_amdhsa_kernel
	.section	.text._ZN7rocprim17ROCPRIM_400000_NS6detail17trampoline_kernelINS0_14default_configENS1_25partition_config_selectorILNS1_17partition_subalgoE6EiNS0_10empty_typeEbEEZZNS1_14partition_implILS5_6ELb0ES3_mN6thrust23THRUST_200600_302600_NS6detail15normal_iteratorINSA_10device_ptrIiEEEEPS6_SG_NS0_5tupleIJSF_S6_EEENSH_IJSG_SG_EEES6_PlJNSB_9not_fun_tI6is_oddIiEEEEEE10hipError_tPvRmT3_T4_T5_T6_T7_T9_mT8_P12ihipStream_tbDpT10_ENKUlT_T0_E_clISt17integral_constantIbLb1EES17_IbLb0EEEEDaS13_S14_EUlS13_E_NS1_11comp_targetILNS1_3genE0ELNS1_11target_archE4294967295ELNS1_3gpuE0ELNS1_3repE0EEENS1_30default_config_static_selectorELNS0_4arch9wavefront6targetE0EEEvT1_,"axG",@progbits,_ZN7rocprim17ROCPRIM_400000_NS6detail17trampoline_kernelINS0_14default_configENS1_25partition_config_selectorILNS1_17partition_subalgoE6EiNS0_10empty_typeEbEEZZNS1_14partition_implILS5_6ELb0ES3_mN6thrust23THRUST_200600_302600_NS6detail15normal_iteratorINSA_10device_ptrIiEEEEPS6_SG_NS0_5tupleIJSF_S6_EEENSH_IJSG_SG_EEES6_PlJNSB_9not_fun_tI6is_oddIiEEEEEE10hipError_tPvRmT3_T4_T5_T6_T7_T9_mT8_P12ihipStream_tbDpT10_ENKUlT_T0_E_clISt17integral_constantIbLb1EES17_IbLb0EEEEDaS13_S14_EUlS13_E_NS1_11comp_targetILNS1_3genE0ELNS1_11target_archE4294967295ELNS1_3gpuE0ELNS1_3repE0EEENS1_30default_config_static_selectorELNS0_4arch9wavefront6targetE0EEEvT1_,comdat
.Lfunc_end99:
	.size	_ZN7rocprim17ROCPRIM_400000_NS6detail17trampoline_kernelINS0_14default_configENS1_25partition_config_selectorILNS1_17partition_subalgoE6EiNS0_10empty_typeEbEEZZNS1_14partition_implILS5_6ELb0ES3_mN6thrust23THRUST_200600_302600_NS6detail15normal_iteratorINSA_10device_ptrIiEEEEPS6_SG_NS0_5tupleIJSF_S6_EEENSH_IJSG_SG_EEES6_PlJNSB_9not_fun_tI6is_oddIiEEEEEE10hipError_tPvRmT3_T4_T5_T6_T7_T9_mT8_P12ihipStream_tbDpT10_ENKUlT_T0_E_clISt17integral_constantIbLb1EES17_IbLb0EEEEDaS13_S14_EUlS13_E_NS1_11comp_targetILNS1_3genE0ELNS1_11target_archE4294967295ELNS1_3gpuE0ELNS1_3repE0EEENS1_30default_config_static_selectorELNS0_4arch9wavefront6targetE0EEEvT1_, .Lfunc_end99-_ZN7rocprim17ROCPRIM_400000_NS6detail17trampoline_kernelINS0_14default_configENS1_25partition_config_selectorILNS1_17partition_subalgoE6EiNS0_10empty_typeEbEEZZNS1_14partition_implILS5_6ELb0ES3_mN6thrust23THRUST_200600_302600_NS6detail15normal_iteratorINSA_10device_ptrIiEEEEPS6_SG_NS0_5tupleIJSF_S6_EEENSH_IJSG_SG_EEES6_PlJNSB_9not_fun_tI6is_oddIiEEEEEE10hipError_tPvRmT3_T4_T5_T6_T7_T9_mT8_P12ihipStream_tbDpT10_ENKUlT_T0_E_clISt17integral_constantIbLb1EES17_IbLb0EEEEDaS13_S14_EUlS13_E_NS1_11comp_targetILNS1_3genE0ELNS1_11target_archE4294967295ELNS1_3gpuE0ELNS1_3repE0EEENS1_30default_config_static_selectorELNS0_4arch9wavefront6targetE0EEEvT1_
                                        ; -- End function
	.set _ZN7rocprim17ROCPRIM_400000_NS6detail17trampoline_kernelINS0_14default_configENS1_25partition_config_selectorILNS1_17partition_subalgoE6EiNS0_10empty_typeEbEEZZNS1_14partition_implILS5_6ELb0ES3_mN6thrust23THRUST_200600_302600_NS6detail15normal_iteratorINSA_10device_ptrIiEEEEPS6_SG_NS0_5tupleIJSF_S6_EEENSH_IJSG_SG_EEES6_PlJNSB_9not_fun_tI6is_oddIiEEEEEE10hipError_tPvRmT3_T4_T5_T6_T7_T9_mT8_P12ihipStream_tbDpT10_ENKUlT_T0_E_clISt17integral_constantIbLb1EES17_IbLb0EEEEDaS13_S14_EUlS13_E_NS1_11comp_targetILNS1_3genE0ELNS1_11target_archE4294967295ELNS1_3gpuE0ELNS1_3repE0EEENS1_30default_config_static_selectorELNS0_4arch9wavefront6targetE0EEEvT1_.num_vgpr, 0
	.set _ZN7rocprim17ROCPRIM_400000_NS6detail17trampoline_kernelINS0_14default_configENS1_25partition_config_selectorILNS1_17partition_subalgoE6EiNS0_10empty_typeEbEEZZNS1_14partition_implILS5_6ELb0ES3_mN6thrust23THRUST_200600_302600_NS6detail15normal_iteratorINSA_10device_ptrIiEEEEPS6_SG_NS0_5tupleIJSF_S6_EEENSH_IJSG_SG_EEES6_PlJNSB_9not_fun_tI6is_oddIiEEEEEE10hipError_tPvRmT3_T4_T5_T6_T7_T9_mT8_P12ihipStream_tbDpT10_ENKUlT_T0_E_clISt17integral_constantIbLb1EES17_IbLb0EEEEDaS13_S14_EUlS13_E_NS1_11comp_targetILNS1_3genE0ELNS1_11target_archE4294967295ELNS1_3gpuE0ELNS1_3repE0EEENS1_30default_config_static_selectorELNS0_4arch9wavefront6targetE0EEEvT1_.num_agpr, 0
	.set _ZN7rocprim17ROCPRIM_400000_NS6detail17trampoline_kernelINS0_14default_configENS1_25partition_config_selectorILNS1_17partition_subalgoE6EiNS0_10empty_typeEbEEZZNS1_14partition_implILS5_6ELb0ES3_mN6thrust23THRUST_200600_302600_NS6detail15normal_iteratorINSA_10device_ptrIiEEEEPS6_SG_NS0_5tupleIJSF_S6_EEENSH_IJSG_SG_EEES6_PlJNSB_9not_fun_tI6is_oddIiEEEEEE10hipError_tPvRmT3_T4_T5_T6_T7_T9_mT8_P12ihipStream_tbDpT10_ENKUlT_T0_E_clISt17integral_constantIbLb1EES17_IbLb0EEEEDaS13_S14_EUlS13_E_NS1_11comp_targetILNS1_3genE0ELNS1_11target_archE4294967295ELNS1_3gpuE0ELNS1_3repE0EEENS1_30default_config_static_selectorELNS0_4arch9wavefront6targetE0EEEvT1_.numbered_sgpr, 0
	.set _ZN7rocprim17ROCPRIM_400000_NS6detail17trampoline_kernelINS0_14default_configENS1_25partition_config_selectorILNS1_17partition_subalgoE6EiNS0_10empty_typeEbEEZZNS1_14partition_implILS5_6ELb0ES3_mN6thrust23THRUST_200600_302600_NS6detail15normal_iteratorINSA_10device_ptrIiEEEEPS6_SG_NS0_5tupleIJSF_S6_EEENSH_IJSG_SG_EEES6_PlJNSB_9not_fun_tI6is_oddIiEEEEEE10hipError_tPvRmT3_T4_T5_T6_T7_T9_mT8_P12ihipStream_tbDpT10_ENKUlT_T0_E_clISt17integral_constantIbLb1EES17_IbLb0EEEEDaS13_S14_EUlS13_E_NS1_11comp_targetILNS1_3genE0ELNS1_11target_archE4294967295ELNS1_3gpuE0ELNS1_3repE0EEENS1_30default_config_static_selectorELNS0_4arch9wavefront6targetE0EEEvT1_.num_named_barrier, 0
	.set _ZN7rocprim17ROCPRIM_400000_NS6detail17trampoline_kernelINS0_14default_configENS1_25partition_config_selectorILNS1_17partition_subalgoE6EiNS0_10empty_typeEbEEZZNS1_14partition_implILS5_6ELb0ES3_mN6thrust23THRUST_200600_302600_NS6detail15normal_iteratorINSA_10device_ptrIiEEEEPS6_SG_NS0_5tupleIJSF_S6_EEENSH_IJSG_SG_EEES6_PlJNSB_9not_fun_tI6is_oddIiEEEEEE10hipError_tPvRmT3_T4_T5_T6_T7_T9_mT8_P12ihipStream_tbDpT10_ENKUlT_T0_E_clISt17integral_constantIbLb1EES17_IbLb0EEEEDaS13_S14_EUlS13_E_NS1_11comp_targetILNS1_3genE0ELNS1_11target_archE4294967295ELNS1_3gpuE0ELNS1_3repE0EEENS1_30default_config_static_selectorELNS0_4arch9wavefront6targetE0EEEvT1_.private_seg_size, 0
	.set _ZN7rocprim17ROCPRIM_400000_NS6detail17trampoline_kernelINS0_14default_configENS1_25partition_config_selectorILNS1_17partition_subalgoE6EiNS0_10empty_typeEbEEZZNS1_14partition_implILS5_6ELb0ES3_mN6thrust23THRUST_200600_302600_NS6detail15normal_iteratorINSA_10device_ptrIiEEEEPS6_SG_NS0_5tupleIJSF_S6_EEENSH_IJSG_SG_EEES6_PlJNSB_9not_fun_tI6is_oddIiEEEEEE10hipError_tPvRmT3_T4_T5_T6_T7_T9_mT8_P12ihipStream_tbDpT10_ENKUlT_T0_E_clISt17integral_constantIbLb1EES17_IbLb0EEEEDaS13_S14_EUlS13_E_NS1_11comp_targetILNS1_3genE0ELNS1_11target_archE4294967295ELNS1_3gpuE0ELNS1_3repE0EEENS1_30default_config_static_selectorELNS0_4arch9wavefront6targetE0EEEvT1_.uses_vcc, 0
	.set _ZN7rocprim17ROCPRIM_400000_NS6detail17trampoline_kernelINS0_14default_configENS1_25partition_config_selectorILNS1_17partition_subalgoE6EiNS0_10empty_typeEbEEZZNS1_14partition_implILS5_6ELb0ES3_mN6thrust23THRUST_200600_302600_NS6detail15normal_iteratorINSA_10device_ptrIiEEEEPS6_SG_NS0_5tupleIJSF_S6_EEENSH_IJSG_SG_EEES6_PlJNSB_9not_fun_tI6is_oddIiEEEEEE10hipError_tPvRmT3_T4_T5_T6_T7_T9_mT8_P12ihipStream_tbDpT10_ENKUlT_T0_E_clISt17integral_constantIbLb1EES17_IbLb0EEEEDaS13_S14_EUlS13_E_NS1_11comp_targetILNS1_3genE0ELNS1_11target_archE4294967295ELNS1_3gpuE0ELNS1_3repE0EEENS1_30default_config_static_selectorELNS0_4arch9wavefront6targetE0EEEvT1_.uses_flat_scratch, 0
	.set _ZN7rocprim17ROCPRIM_400000_NS6detail17trampoline_kernelINS0_14default_configENS1_25partition_config_selectorILNS1_17partition_subalgoE6EiNS0_10empty_typeEbEEZZNS1_14partition_implILS5_6ELb0ES3_mN6thrust23THRUST_200600_302600_NS6detail15normal_iteratorINSA_10device_ptrIiEEEEPS6_SG_NS0_5tupleIJSF_S6_EEENSH_IJSG_SG_EEES6_PlJNSB_9not_fun_tI6is_oddIiEEEEEE10hipError_tPvRmT3_T4_T5_T6_T7_T9_mT8_P12ihipStream_tbDpT10_ENKUlT_T0_E_clISt17integral_constantIbLb1EES17_IbLb0EEEEDaS13_S14_EUlS13_E_NS1_11comp_targetILNS1_3genE0ELNS1_11target_archE4294967295ELNS1_3gpuE0ELNS1_3repE0EEENS1_30default_config_static_selectorELNS0_4arch9wavefront6targetE0EEEvT1_.has_dyn_sized_stack, 0
	.set _ZN7rocprim17ROCPRIM_400000_NS6detail17trampoline_kernelINS0_14default_configENS1_25partition_config_selectorILNS1_17partition_subalgoE6EiNS0_10empty_typeEbEEZZNS1_14partition_implILS5_6ELb0ES3_mN6thrust23THRUST_200600_302600_NS6detail15normal_iteratorINSA_10device_ptrIiEEEEPS6_SG_NS0_5tupleIJSF_S6_EEENSH_IJSG_SG_EEES6_PlJNSB_9not_fun_tI6is_oddIiEEEEEE10hipError_tPvRmT3_T4_T5_T6_T7_T9_mT8_P12ihipStream_tbDpT10_ENKUlT_T0_E_clISt17integral_constantIbLb1EES17_IbLb0EEEEDaS13_S14_EUlS13_E_NS1_11comp_targetILNS1_3genE0ELNS1_11target_archE4294967295ELNS1_3gpuE0ELNS1_3repE0EEENS1_30default_config_static_selectorELNS0_4arch9wavefront6targetE0EEEvT1_.has_recursion, 0
	.set _ZN7rocprim17ROCPRIM_400000_NS6detail17trampoline_kernelINS0_14default_configENS1_25partition_config_selectorILNS1_17partition_subalgoE6EiNS0_10empty_typeEbEEZZNS1_14partition_implILS5_6ELb0ES3_mN6thrust23THRUST_200600_302600_NS6detail15normal_iteratorINSA_10device_ptrIiEEEEPS6_SG_NS0_5tupleIJSF_S6_EEENSH_IJSG_SG_EEES6_PlJNSB_9not_fun_tI6is_oddIiEEEEEE10hipError_tPvRmT3_T4_T5_T6_T7_T9_mT8_P12ihipStream_tbDpT10_ENKUlT_T0_E_clISt17integral_constantIbLb1EES17_IbLb0EEEEDaS13_S14_EUlS13_E_NS1_11comp_targetILNS1_3genE0ELNS1_11target_archE4294967295ELNS1_3gpuE0ELNS1_3repE0EEENS1_30default_config_static_selectorELNS0_4arch9wavefront6targetE0EEEvT1_.has_indirect_call, 0
	.section	.AMDGPU.csdata,"",@progbits
; Kernel info:
; codeLenInByte = 0
; TotalNumSgprs: 0
; NumVgprs: 0
; ScratchSize: 0
; MemoryBound: 0
; FloatMode: 240
; IeeeMode: 1
; LDSByteSize: 0 bytes/workgroup (compile time only)
; SGPRBlocks: 0
; VGPRBlocks: 0
; NumSGPRsForWavesPerEU: 1
; NumVGPRsForWavesPerEU: 1
; Occupancy: 16
; WaveLimiterHint : 0
; COMPUTE_PGM_RSRC2:SCRATCH_EN: 0
; COMPUTE_PGM_RSRC2:USER_SGPR: 2
; COMPUTE_PGM_RSRC2:TRAP_HANDLER: 0
; COMPUTE_PGM_RSRC2:TGID_X_EN: 1
; COMPUTE_PGM_RSRC2:TGID_Y_EN: 0
; COMPUTE_PGM_RSRC2:TGID_Z_EN: 0
; COMPUTE_PGM_RSRC2:TIDIG_COMP_CNT: 0
	.section	.text._ZN7rocprim17ROCPRIM_400000_NS6detail17trampoline_kernelINS0_14default_configENS1_25partition_config_selectorILNS1_17partition_subalgoE6EiNS0_10empty_typeEbEEZZNS1_14partition_implILS5_6ELb0ES3_mN6thrust23THRUST_200600_302600_NS6detail15normal_iteratorINSA_10device_ptrIiEEEEPS6_SG_NS0_5tupleIJSF_S6_EEENSH_IJSG_SG_EEES6_PlJNSB_9not_fun_tI6is_oddIiEEEEEE10hipError_tPvRmT3_T4_T5_T6_T7_T9_mT8_P12ihipStream_tbDpT10_ENKUlT_T0_E_clISt17integral_constantIbLb1EES17_IbLb0EEEEDaS13_S14_EUlS13_E_NS1_11comp_targetILNS1_3genE5ELNS1_11target_archE942ELNS1_3gpuE9ELNS1_3repE0EEENS1_30default_config_static_selectorELNS0_4arch9wavefront6targetE0EEEvT1_,"axG",@progbits,_ZN7rocprim17ROCPRIM_400000_NS6detail17trampoline_kernelINS0_14default_configENS1_25partition_config_selectorILNS1_17partition_subalgoE6EiNS0_10empty_typeEbEEZZNS1_14partition_implILS5_6ELb0ES3_mN6thrust23THRUST_200600_302600_NS6detail15normal_iteratorINSA_10device_ptrIiEEEEPS6_SG_NS0_5tupleIJSF_S6_EEENSH_IJSG_SG_EEES6_PlJNSB_9not_fun_tI6is_oddIiEEEEEE10hipError_tPvRmT3_T4_T5_T6_T7_T9_mT8_P12ihipStream_tbDpT10_ENKUlT_T0_E_clISt17integral_constantIbLb1EES17_IbLb0EEEEDaS13_S14_EUlS13_E_NS1_11comp_targetILNS1_3genE5ELNS1_11target_archE942ELNS1_3gpuE9ELNS1_3repE0EEENS1_30default_config_static_selectorELNS0_4arch9wavefront6targetE0EEEvT1_,comdat
	.protected	_ZN7rocprim17ROCPRIM_400000_NS6detail17trampoline_kernelINS0_14default_configENS1_25partition_config_selectorILNS1_17partition_subalgoE6EiNS0_10empty_typeEbEEZZNS1_14partition_implILS5_6ELb0ES3_mN6thrust23THRUST_200600_302600_NS6detail15normal_iteratorINSA_10device_ptrIiEEEEPS6_SG_NS0_5tupleIJSF_S6_EEENSH_IJSG_SG_EEES6_PlJNSB_9not_fun_tI6is_oddIiEEEEEE10hipError_tPvRmT3_T4_T5_T6_T7_T9_mT8_P12ihipStream_tbDpT10_ENKUlT_T0_E_clISt17integral_constantIbLb1EES17_IbLb0EEEEDaS13_S14_EUlS13_E_NS1_11comp_targetILNS1_3genE5ELNS1_11target_archE942ELNS1_3gpuE9ELNS1_3repE0EEENS1_30default_config_static_selectorELNS0_4arch9wavefront6targetE0EEEvT1_ ; -- Begin function _ZN7rocprim17ROCPRIM_400000_NS6detail17trampoline_kernelINS0_14default_configENS1_25partition_config_selectorILNS1_17partition_subalgoE6EiNS0_10empty_typeEbEEZZNS1_14partition_implILS5_6ELb0ES3_mN6thrust23THRUST_200600_302600_NS6detail15normal_iteratorINSA_10device_ptrIiEEEEPS6_SG_NS0_5tupleIJSF_S6_EEENSH_IJSG_SG_EEES6_PlJNSB_9not_fun_tI6is_oddIiEEEEEE10hipError_tPvRmT3_T4_T5_T6_T7_T9_mT8_P12ihipStream_tbDpT10_ENKUlT_T0_E_clISt17integral_constantIbLb1EES17_IbLb0EEEEDaS13_S14_EUlS13_E_NS1_11comp_targetILNS1_3genE5ELNS1_11target_archE942ELNS1_3gpuE9ELNS1_3repE0EEENS1_30default_config_static_selectorELNS0_4arch9wavefront6targetE0EEEvT1_
	.globl	_ZN7rocprim17ROCPRIM_400000_NS6detail17trampoline_kernelINS0_14default_configENS1_25partition_config_selectorILNS1_17partition_subalgoE6EiNS0_10empty_typeEbEEZZNS1_14partition_implILS5_6ELb0ES3_mN6thrust23THRUST_200600_302600_NS6detail15normal_iteratorINSA_10device_ptrIiEEEEPS6_SG_NS0_5tupleIJSF_S6_EEENSH_IJSG_SG_EEES6_PlJNSB_9not_fun_tI6is_oddIiEEEEEE10hipError_tPvRmT3_T4_T5_T6_T7_T9_mT8_P12ihipStream_tbDpT10_ENKUlT_T0_E_clISt17integral_constantIbLb1EES17_IbLb0EEEEDaS13_S14_EUlS13_E_NS1_11comp_targetILNS1_3genE5ELNS1_11target_archE942ELNS1_3gpuE9ELNS1_3repE0EEENS1_30default_config_static_selectorELNS0_4arch9wavefront6targetE0EEEvT1_
	.p2align	8
	.type	_ZN7rocprim17ROCPRIM_400000_NS6detail17trampoline_kernelINS0_14default_configENS1_25partition_config_selectorILNS1_17partition_subalgoE6EiNS0_10empty_typeEbEEZZNS1_14partition_implILS5_6ELb0ES3_mN6thrust23THRUST_200600_302600_NS6detail15normal_iteratorINSA_10device_ptrIiEEEEPS6_SG_NS0_5tupleIJSF_S6_EEENSH_IJSG_SG_EEES6_PlJNSB_9not_fun_tI6is_oddIiEEEEEE10hipError_tPvRmT3_T4_T5_T6_T7_T9_mT8_P12ihipStream_tbDpT10_ENKUlT_T0_E_clISt17integral_constantIbLb1EES17_IbLb0EEEEDaS13_S14_EUlS13_E_NS1_11comp_targetILNS1_3genE5ELNS1_11target_archE942ELNS1_3gpuE9ELNS1_3repE0EEENS1_30default_config_static_selectorELNS0_4arch9wavefront6targetE0EEEvT1_,@function
_ZN7rocprim17ROCPRIM_400000_NS6detail17trampoline_kernelINS0_14default_configENS1_25partition_config_selectorILNS1_17partition_subalgoE6EiNS0_10empty_typeEbEEZZNS1_14partition_implILS5_6ELb0ES3_mN6thrust23THRUST_200600_302600_NS6detail15normal_iteratorINSA_10device_ptrIiEEEEPS6_SG_NS0_5tupleIJSF_S6_EEENSH_IJSG_SG_EEES6_PlJNSB_9not_fun_tI6is_oddIiEEEEEE10hipError_tPvRmT3_T4_T5_T6_T7_T9_mT8_P12ihipStream_tbDpT10_ENKUlT_T0_E_clISt17integral_constantIbLb1EES17_IbLb0EEEEDaS13_S14_EUlS13_E_NS1_11comp_targetILNS1_3genE5ELNS1_11target_archE942ELNS1_3gpuE9ELNS1_3repE0EEENS1_30default_config_static_selectorELNS0_4arch9wavefront6targetE0EEEvT1_: ; @_ZN7rocprim17ROCPRIM_400000_NS6detail17trampoline_kernelINS0_14default_configENS1_25partition_config_selectorILNS1_17partition_subalgoE6EiNS0_10empty_typeEbEEZZNS1_14partition_implILS5_6ELb0ES3_mN6thrust23THRUST_200600_302600_NS6detail15normal_iteratorINSA_10device_ptrIiEEEEPS6_SG_NS0_5tupleIJSF_S6_EEENSH_IJSG_SG_EEES6_PlJNSB_9not_fun_tI6is_oddIiEEEEEE10hipError_tPvRmT3_T4_T5_T6_T7_T9_mT8_P12ihipStream_tbDpT10_ENKUlT_T0_E_clISt17integral_constantIbLb1EES17_IbLb0EEEEDaS13_S14_EUlS13_E_NS1_11comp_targetILNS1_3genE5ELNS1_11target_archE942ELNS1_3gpuE9ELNS1_3repE0EEENS1_30default_config_static_selectorELNS0_4arch9wavefront6targetE0EEEvT1_
; %bb.0:
	.section	.rodata,"a",@progbits
	.p2align	6, 0x0
	.amdhsa_kernel _ZN7rocprim17ROCPRIM_400000_NS6detail17trampoline_kernelINS0_14default_configENS1_25partition_config_selectorILNS1_17partition_subalgoE6EiNS0_10empty_typeEbEEZZNS1_14partition_implILS5_6ELb0ES3_mN6thrust23THRUST_200600_302600_NS6detail15normal_iteratorINSA_10device_ptrIiEEEEPS6_SG_NS0_5tupleIJSF_S6_EEENSH_IJSG_SG_EEES6_PlJNSB_9not_fun_tI6is_oddIiEEEEEE10hipError_tPvRmT3_T4_T5_T6_T7_T9_mT8_P12ihipStream_tbDpT10_ENKUlT_T0_E_clISt17integral_constantIbLb1EES17_IbLb0EEEEDaS13_S14_EUlS13_E_NS1_11comp_targetILNS1_3genE5ELNS1_11target_archE942ELNS1_3gpuE9ELNS1_3repE0EEENS1_30default_config_static_selectorELNS0_4arch9wavefront6targetE0EEEvT1_
		.amdhsa_group_segment_fixed_size 0
		.amdhsa_private_segment_fixed_size 0
		.amdhsa_kernarg_size 112
		.amdhsa_user_sgpr_count 2
		.amdhsa_user_sgpr_dispatch_ptr 0
		.amdhsa_user_sgpr_queue_ptr 0
		.amdhsa_user_sgpr_kernarg_segment_ptr 1
		.amdhsa_user_sgpr_dispatch_id 0
		.amdhsa_user_sgpr_private_segment_size 0
		.amdhsa_wavefront_size32 1
		.amdhsa_uses_dynamic_stack 0
		.amdhsa_enable_private_segment 0
		.amdhsa_system_sgpr_workgroup_id_x 1
		.amdhsa_system_sgpr_workgroup_id_y 0
		.amdhsa_system_sgpr_workgroup_id_z 0
		.amdhsa_system_sgpr_workgroup_info 0
		.amdhsa_system_vgpr_workitem_id 0
		.amdhsa_next_free_vgpr 1
		.amdhsa_next_free_sgpr 1
		.amdhsa_reserve_vcc 0
		.amdhsa_float_round_mode_32 0
		.amdhsa_float_round_mode_16_64 0
		.amdhsa_float_denorm_mode_32 3
		.amdhsa_float_denorm_mode_16_64 3
		.amdhsa_fp16_overflow 0
		.amdhsa_workgroup_processor_mode 1
		.amdhsa_memory_ordered 1
		.amdhsa_forward_progress 1
		.amdhsa_inst_pref_size 0
		.amdhsa_round_robin_scheduling 0
		.amdhsa_exception_fp_ieee_invalid_op 0
		.amdhsa_exception_fp_denorm_src 0
		.amdhsa_exception_fp_ieee_div_zero 0
		.amdhsa_exception_fp_ieee_overflow 0
		.amdhsa_exception_fp_ieee_underflow 0
		.amdhsa_exception_fp_ieee_inexact 0
		.amdhsa_exception_int_div_zero 0
	.end_amdhsa_kernel
	.section	.text._ZN7rocprim17ROCPRIM_400000_NS6detail17trampoline_kernelINS0_14default_configENS1_25partition_config_selectorILNS1_17partition_subalgoE6EiNS0_10empty_typeEbEEZZNS1_14partition_implILS5_6ELb0ES3_mN6thrust23THRUST_200600_302600_NS6detail15normal_iteratorINSA_10device_ptrIiEEEEPS6_SG_NS0_5tupleIJSF_S6_EEENSH_IJSG_SG_EEES6_PlJNSB_9not_fun_tI6is_oddIiEEEEEE10hipError_tPvRmT3_T4_T5_T6_T7_T9_mT8_P12ihipStream_tbDpT10_ENKUlT_T0_E_clISt17integral_constantIbLb1EES17_IbLb0EEEEDaS13_S14_EUlS13_E_NS1_11comp_targetILNS1_3genE5ELNS1_11target_archE942ELNS1_3gpuE9ELNS1_3repE0EEENS1_30default_config_static_selectorELNS0_4arch9wavefront6targetE0EEEvT1_,"axG",@progbits,_ZN7rocprim17ROCPRIM_400000_NS6detail17trampoline_kernelINS0_14default_configENS1_25partition_config_selectorILNS1_17partition_subalgoE6EiNS0_10empty_typeEbEEZZNS1_14partition_implILS5_6ELb0ES3_mN6thrust23THRUST_200600_302600_NS6detail15normal_iteratorINSA_10device_ptrIiEEEEPS6_SG_NS0_5tupleIJSF_S6_EEENSH_IJSG_SG_EEES6_PlJNSB_9not_fun_tI6is_oddIiEEEEEE10hipError_tPvRmT3_T4_T5_T6_T7_T9_mT8_P12ihipStream_tbDpT10_ENKUlT_T0_E_clISt17integral_constantIbLb1EES17_IbLb0EEEEDaS13_S14_EUlS13_E_NS1_11comp_targetILNS1_3genE5ELNS1_11target_archE942ELNS1_3gpuE9ELNS1_3repE0EEENS1_30default_config_static_selectorELNS0_4arch9wavefront6targetE0EEEvT1_,comdat
.Lfunc_end100:
	.size	_ZN7rocprim17ROCPRIM_400000_NS6detail17trampoline_kernelINS0_14default_configENS1_25partition_config_selectorILNS1_17partition_subalgoE6EiNS0_10empty_typeEbEEZZNS1_14partition_implILS5_6ELb0ES3_mN6thrust23THRUST_200600_302600_NS6detail15normal_iteratorINSA_10device_ptrIiEEEEPS6_SG_NS0_5tupleIJSF_S6_EEENSH_IJSG_SG_EEES6_PlJNSB_9not_fun_tI6is_oddIiEEEEEE10hipError_tPvRmT3_T4_T5_T6_T7_T9_mT8_P12ihipStream_tbDpT10_ENKUlT_T0_E_clISt17integral_constantIbLb1EES17_IbLb0EEEEDaS13_S14_EUlS13_E_NS1_11comp_targetILNS1_3genE5ELNS1_11target_archE942ELNS1_3gpuE9ELNS1_3repE0EEENS1_30default_config_static_selectorELNS0_4arch9wavefront6targetE0EEEvT1_, .Lfunc_end100-_ZN7rocprim17ROCPRIM_400000_NS6detail17trampoline_kernelINS0_14default_configENS1_25partition_config_selectorILNS1_17partition_subalgoE6EiNS0_10empty_typeEbEEZZNS1_14partition_implILS5_6ELb0ES3_mN6thrust23THRUST_200600_302600_NS6detail15normal_iteratorINSA_10device_ptrIiEEEEPS6_SG_NS0_5tupleIJSF_S6_EEENSH_IJSG_SG_EEES6_PlJNSB_9not_fun_tI6is_oddIiEEEEEE10hipError_tPvRmT3_T4_T5_T6_T7_T9_mT8_P12ihipStream_tbDpT10_ENKUlT_T0_E_clISt17integral_constantIbLb1EES17_IbLb0EEEEDaS13_S14_EUlS13_E_NS1_11comp_targetILNS1_3genE5ELNS1_11target_archE942ELNS1_3gpuE9ELNS1_3repE0EEENS1_30default_config_static_selectorELNS0_4arch9wavefront6targetE0EEEvT1_
                                        ; -- End function
	.set _ZN7rocprim17ROCPRIM_400000_NS6detail17trampoline_kernelINS0_14default_configENS1_25partition_config_selectorILNS1_17partition_subalgoE6EiNS0_10empty_typeEbEEZZNS1_14partition_implILS5_6ELb0ES3_mN6thrust23THRUST_200600_302600_NS6detail15normal_iteratorINSA_10device_ptrIiEEEEPS6_SG_NS0_5tupleIJSF_S6_EEENSH_IJSG_SG_EEES6_PlJNSB_9not_fun_tI6is_oddIiEEEEEE10hipError_tPvRmT3_T4_T5_T6_T7_T9_mT8_P12ihipStream_tbDpT10_ENKUlT_T0_E_clISt17integral_constantIbLb1EES17_IbLb0EEEEDaS13_S14_EUlS13_E_NS1_11comp_targetILNS1_3genE5ELNS1_11target_archE942ELNS1_3gpuE9ELNS1_3repE0EEENS1_30default_config_static_selectorELNS0_4arch9wavefront6targetE0EEEvT1_.num_vgpr, 0
	.set _ZN7rocprim17ROCPRIM_400000_NS6detail17trampoline_kernelINS0_14default_configENS1_25partition_config_selectorILNS1_17partition_subalgoE6EiNS0_10empty_typeEbEEZZNS1_14partition_implILS5_6ELb0ES3_mN6thrust23THRUST_200600_302600_NS6detail15normal_iteratorINSA_10device_ptrIiEEEEPS6_SG_NS0_5tupleIJSF_S6_EEENSH_IJSG_SG_EEES6_PlJNSB_9not_fun_tI6is_oddIiEEEEEE10hipError_tPvRmT3_T4_T5_T6_T7_T9_mT8_P12ihipStream_tbDpT10_ENKUlT_T0_E_clISt17integral_constantIbLb1EES17_IbLb0EEEEDaS13_S14_EUlS13_E_NS1_11comp_targetILNS1_3genE5ELNS1_11target_archE942ELNS1_3gpuE9ELNS1_3repE0EEENS1_30default_config_static_selectorELNS0_4arch9wavefront6targetE0EEEvT1_.num_agpr, 0
	.set _ZN7rocprim17ROCPRIM_400000_NS6detail17trampoline_kernelINS0_14default_configENS1_25partition_config_selectorILNS1_17partition_subalgoE6EiNS0_10empty_typeEbEEZZNS1_14partition_implILS5_6ELb0ES3_mN6thrust23THRUST_200600_302600_NS6detail15normal_iteratorINSA_10device_ptrIiEEEEPS6_SG_NS0_5tupleIJSF_S6_EEENSH_IJSG_SG_EEES6_PlJNSB_9not_fun_tI6is_oddIiEEEEEE10hipError_tPvRmT3_T4_T5_T6_T7_T9_mT8_P12ihipStream_tbDpT10_ENKUlT_T0_E_clISt17integral_constantIbLb1EES17_IbLb0EEEEDaS13_S14_EUlS13_E_NS1_11comp_targetILNS1_3genE5ELNS1_11target_archE942ELNS1_3gpuE9ELNS1_3repE0EEENS1_30default_config_static_selectorELNS0_4arch9wavefront6targetE0EEEvT1_.numbered_sgpr, 0
	.set _ZN7rocprim17ROCPRIM_400000_NS6detail17trampoline_kernelINS0_14default_configENS1_25partition_config_selectorILNS1_17partition_subalgoE6EiNS0_10empty_typeEbEEZZNS1_14partition_implILS5_6ELb0ES3_mN6thrust23THRUST_200600_302600_NS6detail15normal_iteratorINSA_10device_ptrIiEEEEPS6_SG_NS0_5tupleIJSF_S6_EEENSH_IJSG_SG_EEES6_PlJNSB_9not_fun_tI6is_oddIiEEEEEE10hipError_tPvRmT3_T4_T5_T6_T7_T9_mT8_P12ihipStream_tbDpT10_ENKUlT_T0_E_clISt17integral_constantIbLb1EES17_IbLb0EEEEDaS13_S14_EUlS13_E_NS1_11comp_targetILNS1_3genE5ELNS1_11target_archE942ELNS1_3gpuE9ELNS1_3repE0EEENS1_30default_config_static_selectorELNS0_4arch9wavefront6targetE0EEEvT1_.num_named_barrier, 0
	.set _ZN7rocprim17ROCPRIM_400000_NS6detail17trampoline_kernelINS0_14default_configENS1_25partition_config_selectorILNS1_17partition_subalgoE6EiNS0_10empty_typeEbEEZZNS1_14partition_implILS5_6ELb0ES3_mN6thrust23THRUST_200600_302600_NS6detail15normal_iteratorINSA_10device_ptrIiEEEEPS6_SG_NS0_5tupleIJSF_S6_EEENSH_IJSG_SG_EEES6_PlJNSB_9not_fun_tI6is_oddIiEEEEEE10hipError_tPvRmT3_T4_T5_T6_T7_T9_mT8_P12ihipStream_tbDpT10_ENKUlT_T0_E_clISt17integral_constantIbLb1EES17_IbLb0EEEEDaS13_S14_EUlS13_E_NS1_11comp_targetILNS1_3genE5ELNS1_11target_archE942ELNS1_3gpuE9ELNS1_3repE0EEENS1_30default_config_static_selectorELNS0_4arch9wavefront6targetE0EEEvT1_.private_seg_size, 0
	.set _ZN7rocprim17ROCPRIM_400000_NS6detail17trampoline_kernelINS0_14default_configENS1_25partition_config_selectorILNS1_17partition_subalgoE6EiNS0_10empty_typeEbEEZZNS1_14partition_implILS5_6ELb0ES3_mN6thrust23THRUST_200600_302600_NS6detail15normal_iteratorINSA_10device_ptrIiEEEEPS6_SG_NS0_5tupleIJSF_S6_EEENSH_IJSG_SG_EEES6_PlJNSB_9not_fun_tI6is_oddIiEEEEEE10hipError_tPvRmT3_T4_T5_T6_T7_T9_mT8_P12ihipStream_tbDpT10_ENKUlT_T0_E_clISt17integral_constantIbLb1EES17_IbLb0EEEEDaS13_S14_EUlS13_E_NS1_11comp_targetILNS1_3genE5ELNS1_11target_archE942ELNS1_3gpuE9ELNS1_3repE0EEENS1_30default_config_static_selectorELNS0_4arch9wavefront6targetE0EEEvT1_.uses_vcc, 0
	.set _ZN7rocprim17ROCPRIM_400000_NS6detail17trampoline_kernelINS0_14default_configENS1_25partition_config_selectorILNS1_17partition_subalgoE6EiNS0_10empty_typeEbEEZZNS1_14partition_implILS5_6ELb0ES3_mN6thrust23THRUST_200600_302600_NS6detail15normal_iteratorINSA_10device_ptrIiEEEEPS6_SG_NS0_5tupleIJSF_S6_EEENSH_IJSG_SG_EEES6_PlJNSB_9not_fun_tI6is_oddIiEEEEEE10hipError_tPvRmT3_T4_T5_T6_T7_T9_mT8_P12ihipStream_tbDpT10_ENKUlT_T0_E_clISt17integral_constantIbLb1EES17_IbLb0EEEEDaS13_S14_EUlS13_E_NS1_11comp_targetILNS1_3genE5ELNS1_11target_archE942ELNS1_3gpuE9ELNS1_3repE0EEENS1_30default_config_static_selectorELNS0_4arch9wavefront6targetE0EEEvT1_.uses_flat_scratch, 0
	.set _ZN7rocprim17ROCPRIM_400000_NS6detail17trampoline_kernelINS0_14default_configENS1_25partition_config_selectorILNS1_17partition_subalgoE6EiNS0_10empty_typeEbEEZZNS1_14partition_implILS5_6ELb0ES3_mN6thrust23THRUST_200600_302600_NS6detail15normal_iteratorINSA_10device_ptrIiEEEEPS6_SG_NS0_5tupleIJSF_S6_EEENSH_IJSG_SG_EEES6_PlJNSB_9not_fun_tI6is_oddIiEEEEEE10hipError_tPvRmT3_T4_T5_T6_T7_T9_mT8_P12ihipStream_tbDpT10_ENKUlT_T0_E_clISt17integral_constantIbLb1EES17_IbLb0EEEEDaS13_S14_EUlS13_E_NS1_11comp_targetILNS1_3genE5ELNS1_11target_archE942ELNS1_3gpuE9ELNS1_3repE0EEENS1_30default_config_static_selectorELNS0_4arch9wavefront6targetE0EEEvT1_.has_dyn_sized_stack, 0
	.set _ZN7rocprim17ROCPRIM_400000_NS6detail17trampoline_kernelINS0_14default_configENS1_25partition_config_selectorILNS1_17partition_subalgoE6EiNS0_10empty_typeEbEEZZNS1_14partition_implILS5_6ELb0ES3_mN6thrust23THRUST_200600_302600_NS6detail15normal_iteratorINSA_10device_ptrIiEEEEPS6_SG_NS0_5tupleIJSF_S6_EEENSH_IJSG_SG_EEES6_PlJNSB_9not_fun_tI6is_oddIiEEEEEE10hipError_tPvRmT3_T4_T5_T6_T7_T9_mT8_P12ihipStream_tbDpT10_ENKUlT_T0_E_clISt17integral_constantIbLb1EES17_IbLb0EEEEDaS13_S14_EUlS13_E_NS1_11comp_targetILNS1_3genE5ELNS1_11target_archE942ELNS1_3gpuE9ELNS1_3repE0EEENS1_30default_config_static_selectorELNS0_4arch9wavefront6targetE0EEEvT1_.has_recursion, 0
	.set _ZN7rocprim17ROCPRIM_400000_NS6detail17trampoline_kernelINS0_14default_configENS1_25partition_config_selectorILNS1_17partition_subalgoE6EiNS0_10empty_typeEbEEZZNS1_14partition_implILS5_6ELb0ES3_mN6thrust23THRUST_200600_302600_NS6detail15normal_iteratorINSA_10device_ptrIiEEEEPS6_SG_NS0_5tupleIJSF_S6_EEENSH_IJSG_SG_EEES6_PlJNSB_9not_fun_tI6is_oddIiEEEEEE10hipError_tPvRmT3_T4_T5_T6_T7_T9_mT8_P12ihipStream_tbDpT10_ENKUlT_T0_E_clISt17integral_constantIbLb1EES17_IbLb0EEEEDaS13_S14_EUlS13_E_NS1_11comp_targetILNS1_3genE5ELNS1_11target_archE942ELNS1_3gpuE9ELNS1_3repE0EEENS1_30default_config_static_selectorELNS0_4arch9wavefront6targetE0EEEvT1_.has_indirect_call, 0
	.section	.AMDGPU.csdata,"",@progbits
; Kernel info:
; codeLenInByte = 0
; TotalNumSgprs: 0
; NumVgprs: 0
; ScratchSize: 0
; MemoryBound: 0
; FloatMode: 240
; IeeeMode: 1
; LDSByteSize: 0 bytes/workgroup (compile time only)
; SGPRBlocks: 0
; VGPRBlocks: 0
; NumSGPRsForWavesPerEU: 1
; NumVGPRsForWavesPerEU: 1
; Occupancy: 16
; WaveLimiterHint : 0
; COMPUTE_PGM_RSRC2:SCRATCH_EN: 0
; COMPUTE_PGM_RSRC2:USER_SGPR: 2
; COMPUTE_PGM_RSRC2:TRAP_HANDLER: 0
; COMPUTE_PGM_RSRC2:TGID_X_EN: 1
; COMPUTE_PGM_RSRC2:TGID_Y_EN: 0
; COMPUTE_PGM_RSRC2:TGID_Z_EN: 0
; COMPUTE_PGM_RSRC2:TIDIG_COMP_CNT: 0
	.section	.text._ZN7rocprim17ROCPRIM_400000_NS6detail17trampoline_kernelINS0_14default_configENS1_25partition_config_selectorILNS1_17partition_subalgoE6EiNS0_10empty_typeEbEEZZNS1_14partition_implILS5_6ELb0ES3_mN6thrust23THRUST_200600_302600_NS6detail15normal_iteratorINSA_10device_ptrIiEEEEPS6_SG_NS0_5tupleIJSF_S6_EEENSH_IJSG_SG_EEES6_PlJNSB_9not_fun_tI6is_oddIiEEEEEE10hipError_tPvRmT3_T4_T5_T6_T7_T9_mT8_P12ihipStream_tbDpT10_ENKUlT_T0_E_clISt17integral_constantIbLb1EES17_IbLb0EEEEDaS13_S14_EUlS13_E_NS1_11comp_targetILNS1_3genE4ELNS1_11target_archE910ELNS1_3gpuE8ELNS1_3repE0EEENS1_30default_config_static_selectorELNS0_4arch9wavefront6targetE0EEEvT1_,"axG",@progbits,_ZN7rocprim17ROCPRIM_400000_NS6detail17trampoline_kernelINS0_14default_configENS1_25partition_config_selectorILNS1_17partition_subalgoE6EiNS0_10empty_typeEbEEZZNS1_14partition_implILS5_6ELb0ES3_mN6thrust23THRUST_200600_302600_NS6detail15normal_iteratorINSA_10device_ptrIiEEEEPS6_SG_NS0_5tupleIJSF_S6_EEENSH_IJSG_SG_EEES6_PlJNSB_9not_fun_tI6is_oddIiEEEEEE10hipError_tPvRmT3_T4_T5_T6_T7_T9_mT8_P12ihipStream_tbDpT10_ENKUlT_T0_E_clISt17integral_constantIbLb1EES17_IbLb0EEEEDaS13_S14_EUlS13_E_NS1_11comp_targetILNS1_3genE4ELNS1_11target_archE910ELNS1_3gpuE8ELNS1_3repE0EEENS1_30default_config_static_selectorELNS0_4arch9wavefront6targetE0EEEvT1_,comdat
	.protected	_ZN7rocprim17ROCPRIM_400000_NS6detail17trampoline_kernelINS0_14default_configENS1_25partition_config_selectorILNS1_17partition_subalgoE6EiNS0_10empty_typeEbEEZZNS1_14partition_implILS5_6ELb0ES3_mN6thrust23THRUST_200600_302600_NS6detail15normal_iteratorINSA_10device_ptrIiEEEEPS6_SG_NS0_5tupleIJSF_S6_EEENSH_IJSG_SG_EEES6_PlJNSB_9not_fun_tI6is_oddIiEEEEEE10hipError_tPvRmT3_T4_T5_T6_T7_T9_mT8_P12ihipStream_tbDpT10_ENKUlT_T0_E_clISt17integral_constantIbLb1EES17_IbLb0EEEEDaS13_S14_EUlS13_E_NS1_11comp_targetILNS1_3genE4ELNS1_11target_archE910ELNS1_3gpuE8ELNS1_3repE0EEENS1_30default_config_static_selectorELNS0_4arch9wavefront6targetE0EEEvT1_ ; -- Begin function _ZN7rocprim17ROCPRIM_400000_NS6detail17trampoline_kernelINS0_14default_configENS1_25partition_config_selectorILNS1_17partition_subalgoE6EiNS0_10empty_typeEbEEZZNS1_14partition_implILS5_6ELb0ES3_mN6thrust23THRUST_200600_302600_NS6detail15normal_iteratorINSA_10device_ptrIiEEEEPS6_SG_NS0_5tupleIJSF_S6_EEENSH_IJSG_SG_EEES6_PlJNSB_9not_fun_tI6is_oddIiEEEEEE10hipError_tPvRmT3_T4_T5_T6_T7_T9_mT8_P12ihipStream_tbDpT10_ENKUlT_T0_E_clISt17integral_constantIbLb1EES17_IbLb0EEEEDaS13_S14_EUlS13_E_NS1_11comp_targetILNS1_3genE4ELNS1_11target_archE910ELNS1_3gpuE8ELNS1_3repE0EEENS1_30default_config_static_selectorELNS0_4arch9wavefront6targetE0EEEvT1_
	.globl	_ZN7rocprim17ROCPRIM_400000_NS6detail17trampoline_kernelINS0_14default_configENS1_25partition_config_selectorILNS1_17partition_subalgoE6EiNS0_10empty_typeEbEEZZNS1_14partition_implILS5_6ELb0ES3_mN6thrust23THRUST_200600_302600_NS6detail15normal_iteratorINSA_10device_ptrIiEEEEPS6_SG_NS0_5tupleIJSF_S6_EEENSH_IJSG_SG_EEES6_PlJNSB_9not_fun_tI6is_oddIiEEEEEE10hipError_tPvRmT3_T4_T5_T6_T7_T9_mT8_P12ihipStream_tbDpT10_ENKUlT_T0_E_clISt17integral_constantIbLb1EES17_IbLb0EEEEDaS13_S14_EUlS13_E_NS1_11comp_targetILNS1_3genE4ELNS1_11target_archE910ELNS1_3gpuE8ELNS1_3repE0EEENS1_30default_config_static_selectorELNS0_4arch9wavefront6targetE0EEEvT1_
	.p2align	8
	.type	_ZN7rocprim17ROCPRIM_400000_NS6detail17trampoline_kernelINS0_14default_configENS1_25partition_config_selectorILNS1_17partition_subalgoE6EiNS0_10empty_typeEbEEZZNS1_14partition_implILS5_6ELb0ES3_mN6thrust23THRUST_200600_302600_NS6detail15normal_iteratorINSA_10device_ptrIiEEEEPS6_SG_NS0_5tupleIJSF_S6_EEENSH_IJSG_SG_EEES6_PlJNSB_9not_fun_tI6is_oddIiEEEEEE10hipError_tPvRmT3_T4_T5_T6_T7_T9_mT8_P12ihipStream_tbDpT10_ENKUlT_T0_E_clISt17integral_constantIbLb1EES17_IbLb0EEEEDaS13_S14_EUlS13_E_NS1_11comp_targetILNS1_3genE4ELNS1_11target_archE910ELNS1_3gpuE8ELNS1_3repE0EEENS1_30default_config_static_selectorELNS0_4arch9wavefront6targetE0EEEvT1_,@function
_ZN7rocprim17ROCPRIM_400000_NS6detail17trampoline_kernelINS0_14default_configENS1_25partition_config_selectorILNS1_17partition_subalgoE6EiNS0_10empty_typeEbEEZZNS1_14partition_implILS5_6ELb0ES3_mN6thrust23THRUST_200600_302600_NS6detail15normal_iteratorINSA_10device_ptrIiEEEEPS6_SG_NS0_5tupleIJSF_S6_EEENSH_IJSG_SG_EEES6_PlJNSB_9not_fun_tI6is_oddIiEEEEEE10hipError_tPvRmT3_T4_T5_T6_T7_T9_mT8_P12ihipStream_tbDpT10_ENKUlT_T0_E_clISt17integral_constantIbLb1EES17_IbLb0EEEEDaS13_S14_EUlS13_E_NS1_11comp_targetILNS1_3genE4ELNS1_11target_archE910ELNS1_3gpuE8ELNS1_3repE0EEENS1_30default_config_static_selectorELNS0_4arch9wavefront6targetE0EEEvT1_: ; @_ZN7rocprim17ROCPRIM_400000_NS6detail17trampoline_kernelINS0_14default_configENS1_25partition_config_selectorILNS1_17partition_subalgoE6EiNS0_10empty_typeEbEEZZNS1_14partition_implILS5_6ELb0ES3_mN6thrust23THRUST_200600_302600_NS6detail15normal_iteratorINSA_10device_ptrIiEEEEPS6_SG_NS0_5tupleIJSF_S6_EEENSH_IJSG_SG_EEES6_PlJNSB_9not_fun_tI6is_oddIiEEEEEE10hipError_tPvRmT3_T4_T5_T6_T7_T9_mT8_P12ihipStream_tbDpT10_ENKUlT_T0_E_clISt17integral_constantIbLb1EES17_IbLb0EEEEDaS13_S14_EUlS13_E_NS1_11comp_targetILNS1_3genE4ELNS1_11target_archE910ELNS1_3gpuE8ELNS1_3repE0EEENS1_30default_config_static_selectorELNS0_4arch9wavefront6targetE0EEEvT1_
; %bb.0:
	.section	.rodata,"a",@progbits
	.p2align	6, 0x0
	.amdhsa_kernel _ZN7rocprim17ROCPRIM_400000_NS6detail17trampoline_kernelINS0_14default_configENS1_25partition_config_selectorILNS1_17partition_subalgoE6EiNS0_10empty_typeEbEEZZNS1_14partition_implILS5_6ELb0ES3_mN6thrust23THRUST_200600_302600_NS6detail15normal_iteratorINSA_10device_ptrIiEEEEPS6_SG_NS0_5tupleIJSF_S6_EEENSH_IJSG_SG_EEES6_PlJNSB_9not_fun_tI6is_oddIiEEEEEE10hipError_tPvRmT3_T4_T5_T6_T7_T9_mT8_P12ihipStream_tbDpT10_ENKUlT_T0_E_clISt17integral_constantIbLb1EES17_IbLb0EEEEDaS13_S14_EUlS13_E_NS1_11comp_targetILNS1_3genE4ELNS1_11target_archE910ELNS1_3gpuE8ELNS1_3repE0EEENS1_30default_config_static_selectorELNS0_4arch9wavefront6targetE0EEEvT1_
		.amdhsa_group_segment_fixed_size 0
		.amdhsa_private_segment_fixed_size 0
		.amdhsa_kernarg_size 112
		.amdhsa_user_sgpr_count 2
		.amdhsa_user_sgpr_dispatch_ptr 0
		.amdhsa_user_sgpr_queue_ptr 0
		.amdhsa_user_sgpr_kernarg_segment_ptr 1
		.amdhsa_user_sgpr_dispatch_id 0
		.amdhsa_user_sgpr_private_segment_size 0
		.amdhsa_wavefront_size32 1
		.amdhsa_uses_dynamic_stack 0
		.amdhsa_enable_private_segment 0
		.amdhsa_system_sgpr_workgroup_id_x 1
		.amdhsa_system_sgpr_workgroup_id_y 0
		.amdhsa_system_sgpr_workgroup_id_z 0
		.amdhsa_system_sgpr_workgroup_info 0
		.amdhsa_system_vgpr_workitem_id 0
		.amdhsa_next_free_vgpr 1
		.amdhsa_next_free_sgpr 1
		.amdhsa_reserve_vcc 0
		.amdhsa_float_round_mode_32 0
		.amdhsa_float_round_mode_16_64 0
		.amdhsa_float_denorm_mode_32 3
		.amdhsa_float_denorm_mode_16_64 3
		.amdhsa_fp16_overflow 0
		.amdhsa_workgroup_processor_mode 1
		.amdhsa_memory_ordered 1
		.amdhsa_forward_progress 1
		.amdhsa_inst_pref_size 0
		.amdhsa_round_robin_scheduling 0
		.amdhsa_exception_fp_ieee_invalid_op 0
		.amdhsa_exception_fp_denorm_src 0
		.amdhsa_exception_fp_ieee_div_zero 0
		.amdhsa_exception_fp_ieee_overflow 0
		.amdhsa_exception_fp_ieee_underflow 0
		.amdhsa_exception_fp_ieee_inexact 0
		.amdhsa_exception_int_div_zero 0
	.end_amdhsa_kernel
	.section	.text._ZN7rocprim17ROCPRIM_400000_NS6detail17trampoline_kernelINS0_14default_configENS1_25partition_config_selectorILNS1_17partition_subalgoE6EiNS0_10empty_typeEbEEZZNS1_14partition_implILS5_6ELb0ES3_mN6thrust23THRUST_200600_302600_NS6detail15normal_iteratorINSA_10device_ptrIiEEEEPS6_SG_NS0_5tupleIJSF_S6_EEENSH_IJSG_SG_EEES6_PlJNSB_9not_fun_tI6is_oddIiEEEEEE10hipError_tPvRmT3_T4_T5_T6_T7_T9_mT8_P12ihipStream_tbDpT10_ENKUlT_T0_E_clISt17integral_constantIbLb1EES17_IbLb0EEEEDaS13_S14_EUlS13_E_NS1_11comp_targetILNS1_3genE4ELNS1_11target_archE910ELNS1_3gpuE8ELNS1_3repE0EEENS1_30default_config_static_selectorELNS0_4arch9wavefront6targetE0EEEvT1_,"axG",@progbits,_ZN7rocprim17ROCPRIM_400000_NS6detail17trampoline_kernelINS0_14default_configENS1_25partition_config_selectorILNS1_17partition_subalgoE6EiNS0_10empty_typeEbEEZZNS1_14partition_implILS5_6ELb0ES3_mN6thrust23THRUST_200600_302600_NS6detail15normal_iteratorINSA_10device_ptrIiEEEEPS6_SG_NS0_5tupleIJSF_S6_EEENSH_IJSG_SG_EEES6_PlJNSB_9not_fun_tI6is_oddIiEEEEEE10hipError_tPvRmT3_T4_T5_T6_T7_T9_mT8_P12ihipStream_tbDpT10_ENKUlT_T0_E_clISt17integral_constantIbLb1EES17_IbLb0EEEEDaS13_S14_EUlS13_E_NS1_11comp_targetILNS1_3genE4ELNS1_11target_archE910ELNS1_3gpuE8ELNS1_3repE0EEENS1_30default_config_static_selectorELNS0_4arch9wavefront6targetE0EEEvT1_,comdat
.Lfunc_end101:
	.size	_ZN7rocprim17ROCPRIM_400000_NS6detail17trampoline_kernelINS0_14default_configENS1_25partition_config_selectorILNS1_17partition_subalgoE6EiNS0_10empty_typeEbEEZZNS1_14partition_implILS5_6ELb0ES3_mN6thrust23THRUST_200600_302600_NS6detail15normal_iteratorINSA_10device_ptrIiEEEEPS6_SG_NS0_5tupleIJSF_S6_EEENSH_IJSG_SG_EEES6_PlJNSB_9not_fun_tI6is_oddIiEEEEEE10hipError_tPvRmT3_T4_T5_T6_T7_T9_mT8_P12ihipStream_tbDpT10_ENKUlT_T0_E_clISt17integral_constantIbLb1EES17_IbLb0EEEEDaS13_S14_EUlS13_E_NS1_11comp_targetILNS1_3genE4ELNS1_11target_archE910ELNS1_3gpuE8ELNS1_3repE0EEENS1_30default_config_static_selectorELNS0_4arch9wavefront6targetE0EEEvT1_, .Lfunc_end101-_ZN7rocprim17ROCPRIM_400000_NS6detail17trampoline_kernelINS0_14default_configENS1_25partition_config_selectorILNS1_17partition_subalgoE6EiNS0_10empty_typeEbEEZZNS1_14partition_implILS5_6ELb0ES3_mN6thrust23THRUST_200600_302600_NS6detail15normal_iteratorINSA_10device_ptrIiEEEEPS6_SG_NS0_5tupleIJSF_S6_EEENSH_IJSG_SG_EEES6_PlJNSB_9not_fun_tI6is_oddIiEEEEEE10hipError_tPvRmT3_T4_T5_T6_T7_T9_mT8_P12ihipStream_tbDpT10_ENKUlT_T0_E_clISt17integral_constantIbLb1EES17_IbLb0EEEEDaS13_S14_EUlS13_E_NS1_11comp_targetILNS1_3genE4ELNS1_11target_archE910ELNS1_3gpuE8ELNS1_3repE0EEENS1_30default_config_static_selectorELNS0_4arch9wavefront6targetE0EEEvT1_
                                        ; -- End function
	.set _ZN7rocprim17ROCPRIM_400000_NS6detail17trampoline_kernelINS0_14default_configENS1_25partition_config_selectorILNS1_17partition_subalgoE6EiNS0_10empty_typeEbEEZZNS1_14partition_implILS5_6ELb0ES3_mN6thrust23THRUST_200600_302600_NS6detail15normal_iteratorINSA_10device_ptrIiEEEEPS6_SG_NS0_5tupleIJSF_S6_EEENSH_IJSG_SG_EEES6_PlJNSB_9not_fun_tI6is_oddIiEEEEEE10hipError_tPvRmT3_T4_T5_T6_T7_T9_mT8_P12ihipStream_tbDpT10_ENKUlT_T0_E_clISt17integral_constantIbLb1EES17_IbLb0EEEEDaS13_S14_EUlS13_E_NS1_11comp_targetILNS1_3genE4ELNS1_11target_archE910ELNS1_3gpuE8ELNS1_3repE0EEENS1_30default_config_static_selectorELNS0_4arch9wavefront6targetE0EEEvT1_.num_vgpr, 0
	.set _ZN7rocprim17ROCPRIM_400000_NS6detail17trampoline_kernelINS0_14default_configENS1_25partition_config_selectorILNS1_17partition_subalgoE6EiNS0_10empty_typeEbEEZZNS1_14partition_implILS5_6ELb0ES3_mN6thrust23THRUST_200600_302600_NS6detail15normal_iteratorINSA_10device_ptrIiEEEEPS6_SG_NS0_5tupleIJSF_S6_EEENSH_IJSG_SG_EEES6_PlJNSB_9not_fun_tI6is_oddIiEEEEEE10hipError_tPvRmT3_T4_T5_T6_T7_T9_mT8_P12ihipStream_tbDpT10_ENKUlT_T0_E_clISt17integral_constantIbLb1EES17_IbLb0EEEEDaS13_S14_EUlS13_E_NS1_11comp_targetILNS1_3genE4ELNS1_11target_archE910ELNS1_3gpuE8ELNS1_3repE0EEENS1_30default_config_static_selectorELNS0_4arch9wavefront6targetE0EEEvT1_.num_agpr, 0
	.set _ZN7rocprim17ROCPRIM_400000_NS6detail17trampoline_kernelINS0_14default_configENS1_25partition_config_selectorILNS1_17partition_subalgoE6EiNS0_10empty_typeEbEEZZNS1_14partition_implILS5_6ELb0ES3_mN6thrust23THRUST_200600_302600_NS6detail15normal_iteratorINSA_10device_ptrIiEEEEPS6_SG_NS0_5tupleIJSF_S6_EEENSH_IJSG_SG_EEES6_PlJNSB_9not_fun_tI6is_oddIiEEEEEE10hipError_tPvRmT3_T4_T5_T6_T7_T9_mT8_P12ihipStream_tbDpT10_ENKUlT_T0_E_clISt17integral_constantIbLb1EES17_IbLb0EEEEDaS13_S14_EUlS13_E_NS1_11comp_targetILNS1_3genE4ELNS1_11target_archE910ELNS1_3gpuE8ELNS1_3repE0EEENS1_30default_config_static_selectorELNS0_4arch9wavefront6targetE0EEEvT1_.numbered_sgpr, 0
	.set _ZN7rocprim17ROCPRIM_400000_NS6detail17trampoline_kernelINS0_14default_configENS1_25partition_config_selectorILNS1_17partition_subalgoE6EiNS0_10empty_typeEbEEZZNS1_14partition_implILS5_6ELb0ES3_mN6thrust23THRUST_200600_302600_NS6detail15normal_iteratorINSA_10device_ptrIiEEEEPS6_SG_NS0_5tupleIJSF_S6_EEENSH_IJSG_SG_EEES6_PlJNSB_9not_fun_tI6is_oddIiEEEEEE10hipError_tPvRmT3_T4_T5_T6_T7_T9_mT8_P12ihipStream_tbDpT10_ENKUlT_T0_E_clISt17integral_constantIbLb1EES17_IbLb0EEEEDaS13_S14_EUlS13_E_NS1_11comp_targetILNS1_3genE4ELNS1_11target_archE910ELNS1_3gpuE8ELNS1_3repE0EEENS1_30default_config_static_selectorELNS0_4arch9wavefront6targetE0EEEvT1_.num_named_barrier, 0
	.set _ZN7rocprim17ROCPRIM_400000_NS6detail17trampoline_kernelINS0_14default_configENS1_25partition_config_selectorILNS1_17partition_subalgoE6EiNS0_10empty_typeEbEEZZNS1_14partition_implILS5_6ELb0ES3_mN6thrust23THRUST_200600_302600_NS6detail15normal_iteratorINSA_10device_ptrIiEEEEPS6_SG_NS0_5tupleIJSF_S6_EEENSH_IJSG_SG_EEES6_PlJNSB_9not_fun_tI6is_oddIiEEEEEE10hipError_tPvRmT3_T4_T5_T6_T7_T9_mT8_P12ihipStream_tbDpT10_ENKUlT_T0_E_clISt17integral_constantIbLb1EES17_IbLb0EEEEDaS13_S14_EUlS13_E_NS1_11comp_targetILNS1_3genE4ELNS1_11target_archE910ELNS1_3gpuE8ELNS1_3repE0EEENS1_30default_config_static_selectorELNS0_4arch9wavefront6targetE0EEEvT1_.private_seg_size, 0
	.set _ZN7rocprim17ROCPRIM_400000_NS6detail17trampoline_kernelINS0_14default_configENS1_25partition_config_selectorILNS1_17partition_subalgoE6EiNS0_10empty_typeEbEEZZNS1_14partition_implILS5_6ELb0ES3_mN6thrust23THRUST_200600_302600_NS6detail15normal_iteratorINSA_10device_ptrIiEEEEPS6_SG_NS0_5tupleIJSF_S6_EEENSH_IJSG_SG_EEES6_PlJNSB_9not_fun_tI6is_oddIiEEEEEE10hipError_tPvRmT3_T4_T5_T6_T7_T9_mT8_P12ihipStream_tbDpT10_ENKUlT_T0_E_clISt17integral_constantIbLb1EES17_IbLb0EEEEDaS13_S14_EUlS13_E_NS1_11comp_targetILNS1_3genE4ELNS1_11target_archE910ELNS1_3gpuE8ELNS1_3repE0EEENS1_30default_config_static_selectorELNS0_4arch9wavefront6targetE0EEEvT1_.uses_vcc, 0
	.set _ZN7rocprim17ROCPRIM_400000_NS6detail17trampoline_kernelINS0_14default_configENS1_25partition_config_selectorILNS1_17partition_subalgoE6EiNS0_10empty_typeEbEEZZNS1_14partition_implILS5_6ELb0ES3_mN6thrust23THRUST_200600_302600_NS6detail15normal_iteratorINSA_10device_ptrIiEEEEPS6_SG_NS0_5tupleIJSF_S6_EEENSH_IJSG_SG_EEES6_PlJNSB_9not_fun_tI6is_oddIiEEEEEE10hipError_tPvRmT3_T4_T5_T6_T7_T9_mT8_P12ihipStream_tbDpT10_ENKUlT_T0_E_clISt17integral_constantIbLb1EES17_IbLb0EEEEDaS13_S14_EUlS13_E_NS1_11comp_targetILNS1_3genE4ELNS1_11target_archE910ELNS1_3gpuE8ELNS1_3repE0EEENS1_30default_config_static_selectorELNS0_4arch9wavefront6targetE0EEEvT1_.uses_flat_scratch, 0
	.set _ZN7rocprim17ROCPRIM_400000_NS6detail17trampoline_kernelINS0_14default_configENS1_25partition_config_selectorILNS1_17partition_subalgoE6EiNS0_10empty_typeEbEEZZNS1_14partition_implILS5_6ELb0ES3_mN6thrust23THRUST_200600_302600_NS6detail15normal_iteratorINSA_10device_ptrIiEEEEPS6_SG_NS0_5tupleIJSF_S6_EEENSH_IJSG_SG_EEES6_PlJNSB_9not_fun_tI6is_oddIiEEEEEE10hipError_tPvRmT3_T4_T5_T6_T7_T9_mT8_P12ihipStream_tbDpT10_ENKUlT_T0_E_clISt17integral_constantIbLb1EES17_IbLb0EEEEDaS13_S14_EUlS13_E_NS1_11comp_targetILNS1_3genE4ELNS1_11target_archE910ELNS1_3gpuE8ELNS1_3repE0EEENS1_30default_config_static_selectorELNS0_4arch9wavefront6targetE0EEEvT1_.has_dyn_sized_stack, 0
	.set _ZN7rocprim17ROCPRIM_400000_NS6detail17trampoline_kernelINS0_14default_configENS1_25partition_config_selectorILNS1_17partition_subalgoE6EiNS0_10empty_typeEbEEZZNS1_14partition_implILS5_6ELb0ES3_mN6thrust23THRUST_200600_302600_NS6detail15normal_iteratorINSA_10device_ptrIiEEEEPS6_SG_NS0_5tupleIJSF_S6_EEENSH_IJSG_SG_EEES6_PlJNSB_9not_fun_tI6is_oddIiEEEEEE10hipError_tPvRmT3_T4_T5_T6_T7_T9_mT8_P12ihipStream_tbDpT10_ENKUlT_T0_E_clISt17integral_constantIbLb1EES17_IbLb0EEEEDaS13_S14_EUlS13_E_NS1_11comp_targetILNS1_3genE4ELNS1_11target_archE910ELNS1_3gpuE8ELNS1_3repE0EEENS1_30default_config_static_selectorELNS0_4arch9wavefront6targetE0EEEvT1_.has_recursion, 0
	.set _ZN7rocprim17ROCPRIM_400000_NS6detail17trampoline_kernelINS0_14default_configENS1_25partition_config_selectorILNS1_17partition_subalgoE6EiNS0_10empty_typeEbEEZZNS1_14partition_implILS5_6ELb0ES3_mN6thrust23THRUST_200600_302600_NS6detail15normal_iteratorINSA_10device_ptrIiEEEEPS6_SG_NS0_5tupleIJSF_S6_EEENSH_IJSG_SG_EEES6_PlJNSB_9not_fun_tI6is_oddIiEEEEEE10hipError_tPvRmT3_T4_T5_T6_T7_T9_mT8_P12ihipStream_tbDpT10_ENKUlT_T0_E_clISt17integral_constantIbLb1EES17_IbLb0EEEEDaS13_S14_EUlS13_E_NS1_11comp_targetILNS1_3genE4ELNS1_11target_archE910ELNS1_3gpuE8ELNS1_3repE0EEENS1_30default_config_static_selectorELNS0_4arch9wavefront6targetE0EEEvT1_.has_indirect_call, 0
	.section	.AMDGPU.csdata,"",@progbits
; Kernel info:
; codeLenInByte = 0
; TotalNumSgprs: 0
; NumVgprs: 0
; ScratchSize: 0
; MemoryBound: 0
; FloatMode: 240
; IeeeMode: 1
; LDSByteSize: 0 bytes/workgroup (compile time only)
; SGPRBlocks: 0
; VGPRBlocks: 0
; NumSGPRsForWavesPerEU: 1
; NumVGPRsForWavesPerEU: 1
; Occupancy: 16
; WaveLimiterHint : 0
; COMPUTE_PGM_RSRC2:SCRATCH_EN: 0
; COMPUTE_PGM_RSRC2:USER_SGPR: 2
; COMPUTE_PGM_RSRC2:TRAP_HANDLER: 0
; COMPUTE_PGM_RSRC2:TGID_X_EN: 1
; COMPUTE_PGM_RSRC2:TGID_Y_EN: 0
; COMPUTE_PGM_RSRC2:TGID_Z_EN: 0
; COMPUTE_PGM_RSRC2:TIDIG_COMP_CNT: 0
	.section	.text._ZN7rocprim17ROCPRIM_400000_NS6detail17trampoline_kernelINS0_14default_configENS1_25partition_config_selectorILNS1_17partition_subalgoE6EiNS0_10empty_typeEbEEZZNS1_14partition_implILS5_6ELb0ES3_mN6thrust23THRUST_200600_302600_NS6detail15normal_iteratorINSA_10device_ptrIiEEEEPS6_SG_NS0_5tupleIJSF_S6_EEENSH_IJSG_SG_EEES6_PlJNSB_9not_fun_tI6is_oddIiEEEEEE10hipError_tPvRmT3_T4_T5_T6_T7_T9_mT8_P12ihipStream_tbDpT10_ENKUlT_T0_E_clISt17integral_constantIbLb1EES17_IbLb0EEEEDaS13_S14_EUlS13_E_NS1_11comp_targetILNS1_3genE3ELNS1_11target_archE908ELNS1_3gpuE7ELNS1_3repE0EEENS1_30default_config_static_selectorELNS0_4arch9wavefront6targetE0EEEvT1_,"axG",@progbits,_ZN7rocprim17ROCPRIM_400000_NS6detail17trampoline_kernelINS0_14default_configENS1_25partition_config_selectorILNS1_17partition_subalgoE6EiNS0_10empty_typeEbEEZZNS1_14partition_implILS5_6ELb0ES3_mN6thrust23THRUST_200600_302600_NS6detail15normal_iteratorINSA_10device_ptrIiEEEEPS6_SG_NS0_5tupleIJSF_S6_EEENSH_IJSG_SG_EEES6_PlJNSB_9not_fun_tI6is_oddIiEEEEEE10hipError_tPvRmT3_T4_T5_T6_T7_T9_mT8_P12ihipStream_tbDpT10_ENKUlT_T0_E_clISt17integral_constantIbLb1EES17_IbLb0EEEEDaS13_S14_EUlS13_E_NS1_11comp_targetILNS1_3genE3ELNS1_11target_archE908ELNS1_3gpuE7ELNS1_3repE0EEENS1_30default_config_static_selectorELNS0_4arch9wavefront6targetE0EEEvT1_,comdat
	.protected	_ZN7rocprim17ROCPRIM_400000_NS6detail17trampoline_kernelINS0_14default_configENS1_25partition_config_selectorILNS1_17partition_subalgoE6EiNS0_10empty_typeEbEEZZNS1_14partition_implILS5_6ELb0ES3_mN6thrust23THRUST_200600_302600_NS6detail15normal_iteratorINSA_10device_ptrIiEEEEPS6_SG_NS0_5tupleIJSF_S6_EEENSH_IJSG_SG_EEES6_PlJNSB_9not_fun_tI6is_oddIiEEEEEE10hipError_tPvRmT3_T4_T5_T6_T7_T9_mT8_P12ihipStream_tbDpT10_ENKUlT_T0_E_clISt17integral_constantIbLb1EES17_IbLb0EEEEDaS13_S14_EUlS13_E_NS1_11comp_targetILNS1_3genE3ELNS1_11target_archE908ELNS1_3gpuE7ELNS1_3repE0EEENS1_30default_config_static_selectorELNS0_4arch9wavefront6targetE0EEEvT1_ ; -- Begin function _ZN7rocprim17ROCPRIM_400000_NS6detail17trampoline_kernelINS0_14default_configENS1_25partition_config_selectorILNS1_17partition_subalgoE6EiNS0_10empty_typeEbEEZZNS1_14partition_implILS5_6ELb0ES3_mN6thrust23THRUST_200600_302600_NS6detail15normal_iteratorINSA_10device_ptrIiEEEEPS6_SG_NS0_5tupleIJSF_S6_EEENSH_IJSG_SG_EEES6_PlJNSB_9not_fun_tI6is_oddIiEEEEEE10hipError_tPvRmT3_T4_T5_T6_T7_T9_mT8_P12ihipStream_tbDpT10_ENKUlT_T0_E_clISt17integral_constantIbLb1EES17_IbLb0EEEEDaS13_S14_EUlS13_E_NS1_11comp_targetILNS1_3genE3ELNS1_11target_archE908ELNS1_3gpuE7ELNS1_3repE0EEENS1_30default_config_static_selectorELNS0_4arch9wavefront6targetE0EEEvT1_
	.globl	_ZN7rocprim17ROCPRIM_400000_NS6detail17trampoline_kernelINS0_14default_configENS1_25partition_config_selectorILNS1_17partition_subalgoE6EiNS0_10empty_typeEbEEZZNS1_14partition_implILS5_6ELb0ES3_mN6thrust23THRUST_200600_302600_NS6detail15normal_iteratorINSA_10device_ptrIiEEEEPS6_SG_NS0_5tupleIJSF_S6_EEENSH_IJSG_SG_EEES6_PlJNSB_9not_fun_tI6is_oddIiEEEEEE10hipError_tPvRmT3_T4_T5_T6_T7_T9_mT8_P12ihipStream_tbDpT10_ENKUlT_T0_E_clISt17integral_constantIbLb1EES17_IbLb0EEEEDaS13_S14_EUlS13_E_NS1_11comp_targetILNS1_3genE3ELNS1_11target_archE908ELNS1_3gpuE7ELNS1_3repE0EEENS1_30default_config_static_selectorELNS0_4arch9wavefront6targetE0EEEvT1_
	.p2align	8
	.type	_ZN7rocprim17ROCPRIM_400000_NS6detail17trampoline_kernelINS0_14default_configENS1_25partition_config_selectorILNS1_17partition_subalgoE6EiNS0_10empty_typeEbEEZZNS1_14partition_implILS5_6ELb0ES3_mN6thrust23THRUST_200600_302600_NS6detail15normal_iteratorINSA_10device_ptrIiEEEEPS6_SG_NS0_5tupleIJSF_S6_EEENSH_IJSG_SG_EEES6_PlJNSB_9not_fun_tI6is_oddIiEEEEEE10hipError_tPvRmT3_T4_T5_T6_T7_T9_mT8_P12ihipStream_tbDpT10_ENKUlT_T0_E_clISt17integral_constantIbLb1EES17_IbLb0EEEEDaS13_S14_EUlS13_E_NS1_11comp_targetILNS1_3genE3ELNS1_11target_archE908ELNS1_3gpuE7ELNS1_3repE0EEENS1_30default_config_static_selectorELNS0_4arch9wavefront6targetE0EEEvT1_,@function
_ZN7rocprim17ROCPRIM_400000_NS6detail17trampoline_kernelINS0_14default_configENS1_25partition_config_selectorILNS1_17partition_subalgoE6EiNS0_10empty_typeEbEEZZNS1_14partition_implILS5_6ELb0ES3_mN6thrust23THRUST_200600_302600_NS6detail15normal_iteratorINSA_10device_ptrIiEEEEPS6_SG_NS0_5tupleIJSF_S6_EEENSH_IJSG_SG_EEES6_PlJNSB_9not_fun_tI6is_oddIiEEEEEE10hipError_tPvRmT3_T4_T5_T6_T7_T9_mT8_P12ihipStream_tbDpT10_ENKUlT_T0_E_clISt17integral_constantIbLb1EES17_IbLb0EEEEDaS13_S14_EUlS13_E_NS1_11comp_targetILNS1_3genE3ELNS1_11target_archE908ELNS1_3gpuE7ELNS1_3repE0EEENS1_30default_config_static_selectorELNS0_4arch9wavefront6targetE0EEEvT1_: ; @_ZN7rocprim17ROCPRIM_400000_NS6detail17trampoline_kernelINS0_14default_configENS1_25partition_config_selectorILNS1_17partition_subalgoE6EiNS0_10empty_typeEbEEZZNS1_14partition_implILS5_6ELb0ES3_mN6thrust23THRUST_200600_302600_NS6detail15normal_iteratorINSA_10device_ptrIiEEEEPS6_SG_NS0_5tupleIJSF_S6_EEENSH_IJSG_SG_EEES6_PlJNSB_9not_fun_tI6is_oddIiEEEEEE10hipError_tPvRmT3_T4_T5_T6_T7_T9_mT8_P12ihipStream_tbDpT10_ENKUlT_T0_E_clISt17integral_constantIbLb1EES17_IbLb0EEEEDaS13_S14_EUlS13_E_NS1_11comp_targetILNS1_3genE3ELNS1_11target_archE908ELNS1_3gpuE7ELNS1_3repE0EEENS1_30default_config_static_selectorELNS0_4arch9wavefront6targetE0EEEvT1_
; %bb.0:
	.section	.rodata,"a",@progbits
	.p2align	6, 0x0
	.amdhsa_kernel _ZN7rocprim17ROCPRIM_400000_NS6detail17trampoline_kernelINS0_14default_configENS1_25partition_config_selectorILNS1_17partition_subalgoE6EiNS0_10empty_typeEbEEZZNS1_14partition_implILS5_6ELb0ES3_mN6thrust23THRUST_200600_302600_NS6detail15normal_iteratorINSA_10device_ptrIiEEEEPS6_SG_NS0_5tupleIJSF_S6_EEENSH_IJSG_SG_EEES6_PlJNSB_9not_fun_tI6is_oddIiEEEEEE10hipError_tPvRmT3_T4_T5_T6_T7_T9_mT8_P12ihipStream_tbDpT10_ENKUlT_T0_E_clISt17integral_constantIbLb1EES17_IbLb0EEEEDaS13_S14_EUlS13_E_NS1_11comp_targetILNS1_3genE3ELNS1_11target_archE908ELNS1_3gpuE7ELNS1_3repE0EEENS1_30default_config_static_selectorELNS0_4arch9wavefront6targetE0EEEvT1_
		.amdhsa_group_segment_fixed_size 0
		.amdhsa_private_segment_fixed_size 0
		.amdhsa_kernarg_size 112
		.amdhsa_user_sgpr_count 2
		.amdhsa_user_sgpr_dispatch_ptr 0
		.amdhsa_user_sgpr_queue_ptr 0
		.amdhsa_user_sgpr_kernarg_segment_ptr 1
		.amdhsa_user_sgpr_dispatch_id 0
		.amdhsa_user_sgpr_private_segment_size 0
		.amdhsa_wavefront_size32 1
		.amdhsa_uses_dynamic_stack 0
		.amdhsa_enable_private_segment 0
		.amdhsa_system_sgpr_workgroup_id_x 1
		.amdhsa_system_sgpr_workgroup_id_y 0
		.amdhsa_system_sgpr_workgroup_id_z 0
		.amdhsa_system_sgpr_workgroup_info 0
		.amdhsa_system_vgpr_workitem_id 0
		.amdhsa_next_free_vgpr 1
		.amdhsa_next_free_sgpr 1
		.amdhsa_reserve_vcc 0
		.amdhsa_float_round_mode_32 0
		.amdhsa_float_round_mode_16_64 0
		.amdhsa_float_denorm_mode_32 3
		.amdhsa_float_denorm_mode_16_64 3
		.amdhsa_fp16_overflow 0
		.amdhsa_workgroup_processor_mode 1
		.amdhsa_memory_ordered 1
		.amdhsa_forward_progress 1
		.amdhsa_inst_pref_size 0
		.amdhsa_round_robin_scheduling 0
		.amdhsa_exception_fp_ieee_invalid_op 0
		.amdhsa_exception_fp_denorm_src 0
		.amdhsa_exception_fp_ieee_div_zero 0
		.amdhsa_exception_fp_ieee_overflow 0
		.amdhsa_exception_fp_ieee_underflow 0
		.amdhsa_exception_fp_ieee_inexact 0
		.amdhsa_exception_int_div_zero 0
	.end_amdhsa_kernel
	.section	.text._ZN7rocprim17ROCPRIM_400000_NS6detail17trampoline_kernelINS0_14default_configENS1_25partition_config_selectorILNS1_17partition_subalgoE6EiNS0_10empty_typeEbEEZZNS1_14partition_implILS5_6ELb0ES3_mN6thrust23THRUST_200600_302600_NS6detail15normal_iteratorINSA_10device_ptrIiEEEEPS6_SG_NS0_5tupleIJSF_S6_EEENSH_IJSG_SG_EEES6_PlJNSB_9not_fun_tI6is_oddIiEEEEEE10hipError_tPvRmT3_T4_T5_T6_T7_T9_mT8_P12ihipStream_tbDpT10_ENKUlT_T0_E_clISt17integral_constantIbLb1EES17_IbLb0EEEEDaS13_S14_EUlS13_E_NS1_11comp_targetILNS1_3genE3ELNS1_11target_archE908ELNS1_3gpuE7ELNS1_3repE0EEENS1_30default_config_static_selectorELNS0_4arch9wavefront6targetE0EEEvT1_,"axG",@progbits,_ZN7rocprim17ROCPRIM_400000_NS6detail17trampoline_kernelINS0_14default_configENS1_25partition_config_selectorILNS1_17partition_subalgoE6EiNS0_10empty_typeEbEEZZNS1_14partition_implILS5_6ELb0ES3_mN6thrust23THRUST_200600_302600_NS6detail15normal_iteratorINSA_10device_ptrIiEEEEPS6_SG_NS0_5tupleIJSF_S6_EEENSH_IJSG_SG_EEES6_PlJNSB_9not_fun_tI6is_oddIiEEEEEE10hipError_tPvRmT3_T4_T5_T6_T7_T9_mT8_P12ihipStream_tbDpT10_ENKUlT_T0_E_clISt17integral_constantIbLb1EES17_IbLb0EEEEDaS13_S14_EUlS13_E_NS1_11comp_targetILNS1_3genE3ELNS1_11target_archE908ELNS1_3gpuE7ELNS1_3repE0EEENS1_30default_config_static_selectorELNS0_4arch9wavefront6targetE0EEEvT1_,comdat
.Lfunc_end102:
	.size	_ZN7rocprim17ROCPRIM_400000_NS6detail17trampoline_kernelINS0_14default_configENS1_25partition_config_selectorILNS1_17partition_subalgoE6EiNS0_10empty_typeEbEEZZNS1_14partition_implILS5_6ELb0ES3_mN6thrust23THRUST_200600_302600_NS6detail15normal_iteratorINSA_10device_ptrIiEEEEPS6_SG_NS0_5tupleIJSF_S6_EEENSH_IJSG_SG_EEES6_PlJNSB_9not_fun_tI6is_oddIiEEEEEE10hipError_tPvRmT3_T4_T5_T6_T7_T9_mT8_P12ihipStream_tbDpT10_ENKUlT_T0_E_clISt17integral_constantIbLb1EES17_IbLb0EEEEDaS13_S14_EUlS13_E_NS1_11comp_targetILNS1_3genE3ELNS1_11target_archE908ELNS1_3gpuE7ELNS1_3repE0EEENS1_30default_config_static_selectorELNS0_4arch9wavefront6targetE0EEEvT1_, .Lfunc_end102-_ZN7rocprim17ROCPRIM_400000_NS6detail17trampoline_kernelINS0_14default_configENS1_25partition_config_selectorILNS1_17partition_subalgoE6EiNS0_10empty_typeEbEEZZNS1_14partition_implILS5_6ELb0ES3_mN6thrust23THRUST_200600_302600_NS6detail15normal_iteratorINSA_10device_ptrIiEEEEPS6_SG_NS0_5tupleIJSF_S6_EEENSH_IJSG_SG_EEES6_PlJNSB_9not_fun_tI6is_oddIiEEEEEE10hipError_tPvRmT3_T4_T5_T6_T7_T9_mT8_P12ihipStream_tbDpT10_ENKUlT_T0_E_clISt17integral_constantIbLb1EES17_IbLb0EEEEDaS13_S14_EUlS13_E_NS1_11comp_targetILNS1_3genE3ELNS1_11target_archE908ELNS1_3gpuE7ELNS1_3repE0EEENS1_30default_config_static_selectorELNS0_4arch9wavefront6targetE0EEEvT1_
                                        ; -- End function
	.set _ZN7rocprim17ROCPRIM_400000_NS6detail17trampoline_kernelINS0_14default_configENS1_25partition_config_selectorILNS1_17partition_subalgoE6EiNS0_10empty_typeEbEEZZNS1_14partition_implILS5_6ELb0ES3_mN6thrust23THRUST_200600_302600_NS6detail15normal_iteratorINSA_10device_ptrIiEEEEPS6_SG_NS0_5tupleIJSF_S6_EEENSH_IJSG_SG_EEES6_PlJNSB_9not_fun_tI6is_oddIiEEEEEE10hipError_tPvRmT3_T4_T5_T6_T7_T9_mT8_P12ihipStream_tbDpT10_ENKUlT_T0_E_clISt17integral_constantIbLb1EES17_IbLb0EEEEDaS13_S14_EUlS13_E_NS1_11comp_targetILNS1_3genE3ELNS1_11target_archE908ELNS1_3gpuE7ELNS1_3repE0EEENS1_30default_config_static_selectorELNS0_4arch9wavefront6targetE0EEEvT1_.num_vgpr, 0
	.set _ZN7rocprim17ROCPRIM_400000_NS6detail17trampoline_kernelINS0_14default_configENS1_25partition_config_selectorILNS1_17partition_subalgoE6EiNS0_10empty_typeEbEEZZNS1_14partition_implILS5_6ELb0ES3_mN6thrust23THRUST_200600_302600_NS6detail15normal_iteratorINSA_10device_ptrIiEEEEPS6_SG_NS0_5tupleIJSF_S6_EEENSH_IJSG_SG_EEES6_PlJNSB_9not_fun_tI6is_oddIiEEEEEE10hipError_tPvRmT3_T4_T5_T6_T7_T9_mT8_P12ihipStream_tbDpT10_ENKUlT_T0_E_clISt17integral_constantIbLb1EES17_IbLb0EEEEDaS13_S14_EUlS13_E_NS1_11comp_targetILNS1_3genE3ELNS1_11target_archE908ELNS1_3gpuE7ELNS1_3repE0EEENS1_30default_config_static_selectorELNS0_4arch9wavefront6targetE0EEEvT1_.num_agpr, 0
	.set _ZN7rocprim17ROCPRIM_400000_NS6detail17trampoline_kernelINS0_14default_configENS1_25partition_config_selectorILNS1_17partition_subalgoE6EiNS0_10empty_typeEbEEZZNS1_14partition_implILS5_6ELb0ES3_mN6thrust23THRUST_200600_302600_NS6detail15normal_iteratorINSA_10device_ptrIiEEEEPS6_SG_NS0_5tupleIJSF_S6_EEENSH_IJSG_SG_EEES6_PlJNSB_9not_fun_tI6is_oddIiEEEEEE10hipError_tPvRmT3_T4_T5_T6_T7_T9_mT8_P12ihipStream_tbDpT10_ENKUlT_T0_E_clISt17integral_constantIbLb1EES17_IbLb0EEEEDaS13_S14_EUlS13_E_NS1_11comp_targetILNS1_3genE3ELNS1_11target_archE908ELNS1_3gpuE7ELNS1_3repE0EEENS1_30default_config_static_selectorELNS0_4arch9wavefront6targetE0EEEvT1_.numbered_sgpr, 0
	.set _ZN7rocprim17ROCPRIM_400000_NS6detail17trampoline_kernelINS0_14default_configENS1_25partition_config_selectorILNS1_17partition_subalgoE6EiNS0_10empty_typeEbEEZZNS1_14partition_implILS5_6ELb0ES3_mN6thrust23THRUST_200600_302600_NS6detail15normal_iteratorINSA_10device_ptrIiEEEEPS6_SG_NS0_5tupleIJSF_S6_EEENSH_IJSG_SG_EEES6_PlJNSB_9not_fun_tI6is_oddIiEEEEEE10hipError_tPvRmT3_T4_T5_T6_T7_T9_mT8_P12ihipStream_tbDpT10_ENKUlT_T0_E_clISt17integral_constantIbLb1EES17_IbLb0EEEEDaS13_S14_EUlS13_E_NS1_11comp_targetILNS1_3genE3ELNS1_11target_archE908ELNS1_3gpuE7ELNS1_3repE0EEENS1_30default_config_static_selectorELNS0_4arch9wavefront6targetE0EEEvT1_.num_named_barrier, 0
	.set _ZN7rocprim17ROCPRIM_400000_NS6detail17trampoline_kernelINS0_14default_configENS1_25partition_config_selectorILNS1_17partition_subalgoE6EiNS0_10empty_typeEbEEZZNS1_14partition_implILS5_6ELb0ES3_mN6thrust23THRUST_200600_302600_NS6detail15normal_iteratorINSA_10device_ptrIiEEEEPS6_SG_NS0_5tupleIJSF_S6_EEENSH_IJSG_SG_EEES6_PlJNSB_9not_fun_tI6is_oddIiEEEEEE10hipError_tPvRmT3_T4_T5_T6_T7_T9_mT8_P12ihipStream_tbDpT10_ENKUlT_T0_E_clISt17integral_constantIbLb1EES17_IbLb0EEEEDaS13_S14_EUlS13_E_NS1_11comp_targetILNS1_3genE3ELNS1_11target_archE908ELNS1_3gpuE7ELNS1_3repE0EEENS1_30default_config_static_selectorELNS0_4arch9wavefront6targetE0EEEvT1_.private_seg_size, 0
	.set _ZN7rocprim17ROCPRIM_400000_NS6detail17trampoline_kernelINS0_14default_configENS1_25partition_config_selectorILNS1_17partition_subalgoE6EiNS0_10empty_typeEbEEZZNS1_14partition_implILS5_6ELb0ES3_mN6thrust23THRUST_200600_302600_NS6detail15normal_iteratorINSA_10device_ptrIiEEEEPS6_SG_NS0_5tupleIJSF_S6_EEENSH_IJSG_SG_EEES6_PlJNSB_9not_fun_tI6is_oddIiEEEEEE10hipError_tPvRmT3_T4_T5_T6_T7_T9_mT8_P12ihipStream_tbDpT10_ENKUlT_T0_E_clISt17integral_constantIbLb1EES17_IbLb0EEEEDaS13_S14_EUlS13_E_NS1_11comp_targetILNS1_3genE3ELNS1_11target_archE908ELNS1_3gpuE7ELNS1_3repE0EEENS1_30default_config_static_selectorELNS0_4arch9wavefront6targetE0EEEvT1_.uses_vcc, 0
	.set _ZN7rocprim17ROCPRIM_400000_NS6detail17trampoline_kernelINS0_14default_configENS1_25partition_config_selectorILNS1_17partition_subalgoE6EiNS0_10empty_typeEbEEZZNS1_14partition_implILS5_6ELb0ES3_mN6thrust23THRUST_200600_302600_NS6detail15normal_iteratorINSA_10device_ptrIiEEEEPS6_SG_NS0_5tupleIJSF_S6_EEENSH_IJSG_SG_EEES6_PlJNSB_9not_fun_tI6is_oddIiEEEEEE10hipError_tPvRmT3_T4_T5_T6_T7_T9_mT8_P12ihipStream_tbDpT10_ENKUlT_T0_E_clISt17integral_constantIbLb1EES17_IbLb0EEEEDaS13_S14_EUlS13_E_NS1_11comp_targetILNS1_3genE3ELNS1_11target_archE908ELNS1_3gpuE7ELNS1_3repE0EEENS1_30default_config_static_selectorELNS0_4arch9wavefront6targetE0EEEvT1_.uses_flat_scratch, 0
	.set _ZN7rocprim17ROCPRIM_400000_NS6detail17trampoline_kernelINS0_14default_configENS1_25partition_config_selectorILNS1_17partition_subalgoE6EiNS0_10empty_typeEbEEZZNS1_14partition_implILS5_6ELb0ES3_mN6thrust23THRUST_200600_302600_NS6detail15normal_iteratorINSA_10device_ptrIiEEEEPS6_SG_NS0_5tupleIJSF_S6_EEENSH_IJSG_SG_EEES6_PlJNSB_9not_fun_tI6is_oddIiEEEEEE10hipError_tPvRmT3_T4_T5_T6_T7_T9_mT8_P12ihipStream_tbDpT10_ENKUlT_T0_E_clISt17integral_constantIbLb1EES17_IbLb0EEEEDaS13_S14_EUlS13_E_NS1_11comp_targetILNS1_3genE3ELNS1_11target_archE908ELNS1_3gpuE7ELNS1_3repE0EEENS1_30default_config_static_selectorELNS0_4arch9wavefront6targetE0EEEvT1_.has_dyn_sized_stack, 0
	.set _ZN7rocprim17ROCPRIM_400000_NS6detail17trampoline_kernelINS0_14default_configENS1_25partition_config_selectorILNS1_17partition_subalgoE6EiNS0_10empty_typeEbEEZZNS1_14partition_implILS5_6ELb0ES3_mN6thrust23THRUST_200600_302600_NS6detail15normal_iteratorINSA_10device_ptrIiEEEEPS6_SG_NS0_5tupleIJSF_S6_EEENSH_IJSG_SG_EEES6_PlJNSB_9not_fun_tI6is_oddIiEEEEEE10hipError_tPvRmT3_T4_T5_T6_T7_T9_mT8_P12ihipStream_tbDpT10_ENKUlT_T0_E_clISt17integral_constantIbLb1EES17_IbLb0EEEEDaS13_S14_EUlS13_E_NS1_11comp_targetILNS1_3genE3ELNS1_11target_archE908ELNS1_3gpuE7ELNS1_3repE0EEENS1_30default_config_static_selectorELNS0_4arch9wavefront6targetE0EEEvT1_.has_recursion, 0
	.set _ZN7rocprim17ROCPRIM_400000_NS6detail17trampoline_kernelINS0_14default_configENS1_25partition_config_selectorILNS1_17partition_subalgoE6EiNS0_10empty_typeEbEEZZNS1_14partition_implILS5_6ELb0ES3_mN6thrust23THRUST_200600_302600_NS6detail15normal_iteratorINSA_10device_ptrIiEEEEPS6_SG_NS0_5tupleIJSF_S6_EEENSH_IJSG_SG_EEES6_PlJNSB_9not_fun_tI6is_oddIiEEEEEE10hipError_tPvRmT3_T4_T5_T6_T7_T9_mT8_P12ihipStream_tbDpT10_ENKUlT_T0_E_clISt17integral_constantIbLb1EES17_IbLb0EEEEDaS13_S14_EUlS13_E_NS1_11comp_targetILNS1_3genE3ELNS1_11target_archE908ELNS1_3gpuE7ELNS1_3repE0EEENS1_30default_config_static_selectorELNS0_4arch9wavefront6targetE0EEEvT1_.has_indirect_call, 0
	.section	.AMDGPU.csdata,"",@progbits
; Kernel info:
; codeLenInByte = 0
; TotalNumSgprs: 0
; NumVgprs: 0
; ScratchSize: 0
; MemoryBound: 0
; FloatMode: 240
; IeeeMode: 1
; LDSByteSize: 0 bytes/workgroup (compile time only)
; SGPRBlocks: 0
; VGPRBlocks: 0
; NumSGPRsForWavesPerEU: 1
; NumVGPRsForWavesPerEU: 1
; Occupancy: 16
; WaveLimiterHint : 0
; COMPUTE_PGM_RSRC2:SCRATCH_EN: 0
; COMPUTE_PGM_RSRC2:USER_SGPR: 2
; COMPUTE_PGM_RSRC2:TRAP_HANDLER: 0
; COMPUTE_PGM_RSRC2:TGID_X_EN: 1
; COMPUTE_PGM_RSRC2:TGID_Y_EN: 0
; COMPUTE_PGM_RSRC2:TGID_Z_EN: 0
; COMPUTE_PGM_RSRC2:TIDIG_COMP_CNT: 0
	.section	.text._ZN7rocprim17ROCPRIM_400000_NS6detail17trampoline_kernelINS0_14default_configENS1_25partition_config_selectorILNS1_17partition_subalgoE6EiNS0_10empty_typeEbEEZZNS1_14partition_implILS5_6ELb0ES3_mN6thrust23THRUST_200600_302600_NS6detail15normal_iteratorINSA_10device_ptrIiEEEEPS6_SG_NS0_5tupleIJSF_S6_EEENSH_IJSG_SG_EEES6_PlJNSB_9not_fun_tI6is_oddIiEEEEEE10hipError_tPvRmT3_T4_T5_T6_T7_T9_mT8_P12ihipStream_tbDpT10_ENKUlT_T0_E_clISt17integral_constantIbLb1EES17_IbLb0EEEEDaS13_S14_EUlS13_E_NS1_11comp_targetILNS1_3genE2ELNS1_11target_archE906ELNS1_3gpuE6ELNS1_3repE0EEENS1_30default_config_static_selectorELNS0_4arch9wavefront6targetE0EEEvT1_,"axG",@progbits,_ZN7rocprim17ROCPRIM_400000_NS6detail17trampoline_kernelINS0_14default_configENS1_25partition_config_selectorILNS1_17partition_subalgoE6EiNS0_10empty_typeEbEEZZNS1_14partition_implILS5_6ELb0ES3_mN6thrust23THRUST_200600_302600_NS6detail15normal_iteratorINSA_10device_ptrIiEEEEPS6_SG_NS0_5tupleIJSF_S6_EEENSH_IJSG_SG_EEES6_PlJNSB_9not_fun_tI6is_oddIiEEEEEE10hipError_tPvRmT3_T4_T5_T6_T7_T9_mT8_P12ihipStream_tbDpT10_ENKUlT_T0_E_clISt17integral_constantIbLb1EES17_IbLb0EEEEDaS13_S14_EUlS13_E_NS1_11comp_targetILNS1_3genE2ELNS1_11target_archE906ELNS1_3gpuE6ELNS1_3repE0EEENS1_30default_config_static_selectorELNS0_4arch9wavefront6targetE0EEEvT1_,comdat
	.protected	_ZN7rocprim17ROCPRIM_400000_NS6detail17trampoline_kernelINS0_14default_configENS1_25partition_config_selectorILNS1_17partition_subalgoE6EiNS0_10empty_typeEbEEZZNS1_14partition_implILS5_6ELb0ES3_mN6thrust23THRUST_200600_302600_NS6detail15normal_iteratorINSA_10device_ptrIiEEEEPS6_SG_NS0_5tupleIJSF_S6_EEENSH_IJSG_SG_EEES6_PlJNSB_9not_fun_tI6is_oddIiEEEEEE10hipError_tPvRmT3_T4_T5_T6_T7_T9_mT8_P12ihipStream_tbDpT10_ENKUlT_T0_E_clISt17integral_constantIbLb1EES17_IbLb0EEEEDaS13_S14_EUlS13_E_NS1_11comp_targetILNS1_3genE2ELNS1_11target_archE906ELNS1_3gpuE6ELNS1_3repE0EEENS1_30default_config_static_selectorELNS0_4arch9wavefront6targetE0EEEvT1_ ; -- Begin function _ZN7rocprim17ROCPRIM_400000_NS6detail17trampoline_kernelINS0_14default_configENS1_25partition_config_selectorILNS1_17partition_subalgoE6EiNS0_10empty_typeEbEEZZNS1_14partition_implILS5_6ELb0ES3_mN6thrust23THRUST_200600_302600_NS6detail15normal_iteratorINSA_10device_ptrIiEEEEPS6_SG_NS0_5tupleIJSF_S6_EEENSH_IJSG_SG_EEES6_PlJNSB_9not_fun_tI6is_oddIiEEEEEE10hipError_tPvRmT3_T4_T5_T6_T7_T9_mT8_P12ihipStream_tbDpT10_ENKUlT_T0_E_clISt17integral_constantIbLb1EES17_IbLb0EEEEDaS13_S14_EUlS13_E_NS1_11comp_targetILNS1_3genE2ELNS1_11target_archE906ELNS1_3gpuE6ELNS1_3repE0EEENS1_30default_config_static_selectorELNS0_4arch9wavefront6targetE0EEEvT1_
	.globl	_ZN7rocprim17ROCPRIM_400000_NS6detail17trampoline_kernelINS0_14default_configENS1_25partition_config_selectorILNS1_17partition_subalgoE6EiNS0_10empty_typeEbEEZZNS1_14partition_implILS5_6ELb0ES3_mN6thrust23THRUST_200600_302600_NS6detail15normal_iteratorINSA_10device_ptrIiEEEEPS6_SG_NS0_5tupleIJSF_S6_EEENSH_IJSG_SG_EEES6_PlJNSB_9not_fun_tI6is_oddIiEEEEEE10hipError_tPvRmT3_T4_T5_T6_T7_T9_mT8_P12ihipStream_tbDpT10_ENKUlT_T0_E_clISt17integral_constantIbLb1EES17_IbLb0EEEEDaS13_S14_EUlS13_E_NS1_11comp_targetILNS1_3genE2ELNS1_11target_archE906ELNS1_3gpuE6ELNS1_3repE0EEENS1_30default_config_static_selectorELNS0_4arch9wavefront6targetE0EEEvT1_
	.p2align	8
	.type	_ZN7rocprim17ROCPRIM_400000_NS6detail17trampoline_kernelINS0_14default_configENS1_25partition_config_selectorILNS1_17partition_subalgoE6EiNS0_10empty_typeEbEEZZNS1_14partition_implILS5_6ELb0ES3_mN6thrust23THRUST_200600_302600_NS6detail15normal_iteratorINSA_10device_ptrIiEEEEPS6_SG_NS0_5tupleIJSF_S6_EEENSH_IJSG_SG_EEES6_PlJNSB_9not_fun_tI6is_oddIiEEEEEE10hipError_tPvRmT3_T4_T5_T6_T7_T9_mT8_P12ihipStream_tbDpT10_ENKUlT_T0_E_clISt17integral_constantIbLb1EES17_IbLb0EEEEDaS13_S14_EUlS13_E_NS1_11comp_targetILNS1_3genE2ELNS1_11target_archE906ELNS1_3gpuE6ELNS1_3repE0EEENS1_30default_config_static_selectorELNS0_4arch9wavefront6targetE0EEEvT1_,@function
_ZN7rocprim17ROCPRIM_400000_NS6detail17trampoline_kernelINS0_14default_configENS1_25partition_config_selectorILNS1_17partition_subalgoE6EiNS0_10empty_typeEbEEZZNS1_14partition_implILS5_6ELb0ES3_mN6thrust23THRUST_200600_302600_NS6detail15normal_iteratorINSA_10device_ptrIiEEEEPS6_SG_NS0_5tupleIJSF_S6_EEENSH_IJSG_SG_EEES6_PlJNSB_9not_fun_tI6is_oddIiEEEEEE10hipError_tPvRmT3_T4_T5_T6_T7_T9_mT8_P12ihipStream_tbDpT10_ENKUlT_T0_E_clISt17integral_constantIbLb1EES17_IbLb0EEEEDaS13_S14_EUlS13_E_NS1_11comp_targetILNS1_3genE2ELNS1_11target_archE906ELNS1_3gpuE6ELNS1_3repE0EEENS1_30default_config_static_selectorELNS0_4arch9wavefront6targetE0EEEvT1_: ; @_ZN7rocprim17ROCPRIM_400000_NS6detail17trampoline_kernelINS0_14default_configENS1_25partition_config_selectorILNS1_17partition_subalgoE6EiNS0_10empty_typeEbEEZZNS1_14partition_implILS5_6ELb0ES3_mN6thrust23THRUST_200600_302600_NS6detail15normal_iteratorINSA_10device_ptrIiEEEEPS6_SG_NS0_5tupleIJSF_S6_EEENSH_IJSG_SG_EEES6_PlJNSB_9not_fun_tI6is_oddIiEEEEEE10hipError_tPvRmT3_T4_T5_T6_T7_T9_mT8_P12ihipStream_tbDpT10_ENKUlT_T0_E_clISt17integral_constantIbLb1EES17_IbLb0EEEEDaS13_S14_EUlS13_E_NS1_11comp_targetILNS1_3genE2ELNS1_11target_archE906ELNS1_3gpuE6ELNS1_3repE0EEENS1_30default_config_static_selectorELNS0_4arch9wavefront6targetE0EEEvT1_
; %bb.0:
	.section	.rodata,"a",@progbits
	.p2align	6, 0x0
	.amdhsa_kernel _ZN7rocprim17ROCPRIM_400000_NS6detail17trampoline_kernelINS0_14default_configENS1_25partition_config_selectorILNS1_17partition_subalgoE6EiNS0_10empty_typeEbEEZZNS1_14partition_implILS5_6ELb0ES3_mN6thrust23THRUST_200600_302600_NS6detail15normal_iteratorINSA_10device_ptrIiEEEEPS6_SG_NS0_5tupleIJSF_S6_EEENSH_IJSG_SG_EEES6_PlJNSB_9not_fun_tI6is_oddIiEEEEEE10hipError_tPvRmT3_T4_T5_T6_T7_T9_mT8_P12ihipStream_tbDpT10_ENKUlT_T0_E_clISt17integral_constantIbLb1EES17_IbLb0EEEEDaS13_S14_EUlS13_E_NS1_11comp_targetILNS1_3genE2ELNS1_11target_archE906ELNS1_3gpuE6ELNS1_3repE0EEENS1_30default_config_static_selectorELNS0_4arch9wavefront6targetE0EEEvT1_
		.amdhsa_group_segment_fixed_size 0
		.amdhsa_private_segment_fixed_size 0
		.amdhsa_kernarg_size 112
		.amdhsa_user_sgpr_count 2
		.amdhsa_user_sgpr_dispatch_ptr 0
		.amdhsa_user_sgpr_queue_ptr 0
		.amdhsa_user_sgpr_kernarg_segment_ptr 1
		.amdhsa_user_sgpr_dispatch_id 0
		.amdhsa_user_sgpr_private_segment_size 0
		.amdhsa_wavefront_size32 1
		.amdhsa_uses_dynamic_stack 0
		.amdhsa_enable_private_segment 0
		.amdhsa_system_sgpr_workgroup_id_x 1
		.amdhsa_system_sgpr_workgroup_id_y 0
		.amdhsa_system_sgpr_workgroup_id_z 0
		.amdhsa_system_sgpr_workgroup_info 0
		.amdhsa_system_vgpr_workitem_id 0
		.amdhsa_next_free_vgpr 1
		.amdhsa_next_free_sgpr 1
		.amdhsa_reserve_vcc 0
		.amdhsa_float_round_mode_32 0
		.amdhsa_float_round_mode_16_64 0
		.amdhsa_float_denorm_mode_32 3
		.amdhsa_float_denorm_mode_16_64 3
		.amdhsa_fp16_overflow 0
		.amdhsa_workgroup_processor_mode 1
		.amdhsa_memory_ordered 1
		.amdhsa_forward_progress 1
		.amdhsa_inst_pref_size 0
		.amdhsa_round_robin_scheduling 0
		.amdhsa_exception_fp_ieee_invalid_op 0
		.amdhsa_exception_fp_denorm_src 0
		.amdhsa_exception_fp_ieee_div_zero 0
		.amdhsa_exception_fp_ieee_overflow 0
		.amdhsa_exception_fp_ieee_underflow 0
		.amdhsa_exception_fp_ieee_inexact 0
		.amdhsa_exception_int_div_zero 0
	.end_amdhsa_kernel
	.section	.text._ZN7rocprim17ROCPRIM_400000_NS6detail17trampoline_kernelINS0_14default_configENS1_25partition_config_selectorILNS1_17partition_subalgoE6EiNS0_10empty_typeEbEEZZNS1_14partition_implILS5_6ELb0ES3_mN6thrust23THRUST_200600_302600_NS6detail15normal_iteratorINSA_10device_ptrIiEEEEPS6_SG_NS0_5tupleIJSF_S6_EEENSH_IJSG_SG_EEES6_PlJNSB_9not_fun_tI6is_oddIiEEEEEE10hipError_tPvRmT3_T4_T5_T6_T7_T9_mT8_P12ihipStream_tbDpT10_ENKUlT_T0_E_clISt17integral_constantIbLb1EES17_IbLb0EEEEDaS13_S14_EUlS13_E_NS1_11comp_targetILNS1_3genE2ELNS1_11target_archE906ELNS1_3gpuE6ELNS1_3repE0EEENS1_30default_config_static_selectorELNS0_4arch9wavefront6targetE0EEEvT1_,"axG",@progbits,_ZN7rocprim17ROCPRIM_400000_NS6detail17trampoline_kernelINS0_14default_configENS1_25partition_config_selectorILNS1_17partition_subalgoE6EiNS0_10empty_typeEbEEZZNS1_14partition_implILS5_6ELb0ES3_mN6thrust23THRUST_200600_302600_NS6detail15normal_iteratorINSA_10device_ptrIiEEEEPS6_SG_NS0_5tupleIJSF_S6_EEENSH_IJSG_SG_EEES6_PlJNSB_9not_fun_tI6is_oddIiEEEEEE10hipError_tPvRmT3_T4_T5_T6_T7_T9_mT8_P12ihipStream_tbDpT10_ENKUlT_T0_E_clISt17integral_constantIbLb1EES17_IbLb0EEEEDaS13_S14_EUlS13_E_NS1_11comp_targetILNS1_3genE2ELNS1_11target_archE906ELNS1_3gpuE6ELNS1_3repE0EEENS1_30default_config_static_selectorELNS0_4arch9wavefront6targetE0EEEvT1_,comdat
.Lfunc_end103:
	.size	_ZN7rocprim17ROCPRIM_400000_NS6detail17trampoline_kernelINS0_14default_configENS1_25partition_config_selectorILNS1_17partition_subalgoE6EiNS0_10empty_typeEbEEZZNS1_14partition_implILS5_6ELb0ES3_mN6thrust23THRUST_200600_302600_NS6detail15normal_iteratorINSA_10device_ptrIiEEEEPS6_SG_NS0_5tupleIJSF_S6_EEENSH_IJSG_SG_EEES6_PlJNSB_9not_fun_tI6is_oddIiEEEEEE10hipError_tPvRmT3_T4_T5_T6_T7_T9_mT8_P12ihipStream_tbDpT10_ENKUlT_T0_E_clISt17integral_constantIbLb1EES17_IbLb0EEEEDaS13_S14_EUlS13_E_NS1_11comp_targetILNS1_3genE2ELNS1_11target_archE906ELNS1_3gpuE6ELNS1_3repE0EEENS1_30default_config_static_selectorELNS0_4arch9wavefront6targetE0EEEvT1_, .Lfunc_end103-_ZN7rocprim17ROCPRIM_400000_NS6detail17trampoline_kernelINS0_14default_configENS1_25partition_config_selectorILNS1_17partition_subalgoE6EiNS0_10empty_typeEbEEZZNS1_14partition_implILS5_6ELb0ES3_mN6thrust23THRUST_200600_302600_NS6detail15normal_iteratorINSA_10device_ptrIiEEEEPS6_SG_NS0_5tupleIJSF_S6_EEENSH_IJSG_SG_EEES6_PlJNSB_9not_fun_tI6is_oddIiEEEEEE10hipError_tPvRmT3_T4_T5_T6_T7_T9_mT8_P12ihipStream_tbDpT10_ENKUlT_T0_E_clISt17integral_constantIbLb1EES17_IbLb0EEEEDaS13_S14_EUlS13_E_NS1_11comp_targetILNS1_3genE2ELNS1_11target_archE906ELNS1_3gpuE6ELNS1_3repE0EEENS1_30default_config_static_selectorELNS0_4arch9wavefront6targetE0EEEvT1_
                                        ; -- End function
	.set _ZN7rocprim17ROCPRIM_400000_NS6detail17trampoline_kernelINS0_14default_configENS1_25partition_config_selectorILNS1_17partition_subalgoE6EiNS0_10empty_typeEbEEZZNS1_14partition_implILS5_6ELb0ES3_mN6thrust23THRUST_200600_302600_NS6detail15normal_iteratorINSA_10device_ptrIiEEEEPS6_SG_NS0_5tupleIJSF_S6_EEENSH_IJSG_SG_EEES6_PlJNSB_9not_fun_tI6is_oddIiEEEEEE10hipError_tPvRmT3_T4_T5_T6_T7_T9_mT8_P12ihipStream_tbDpT10_ENKUlT_T0_E_clISt17integral_constantIbLb1EES17_IbLb0EEEEDaS13_S14_EUlS13_E_NS1_11comp_targetILNS1_3genE2ELNS1_11target_archE906ELNS1_3gpuE6ELNS1_3repE0EEENS1_30default_config_static_selectorELNS0_4arch9wavefront6targetE0EEEvT1_.num_vgpr, 0
	.set _ZN7rocprim17ROCPRIM_400000_NS6detail17trampoline_kernelINS0_14default_configENS1_25partition_config_selectorILNS1_17partition_subalgoE6EiNS0_10empty_typeEbEEZZNS1_14partition_implILS5_6ELb0ES3_mN6thrust23THRUST_200600_302600_NS6detail15normal_iteratorINSA_10device_ptrIiEEEEPS6_SG_NS0_5tupleIJSF_S6_EEENSH_IJSG_SG_EEES6_PlJNSB_9not_fun_tI6is_oddIiEEEEEE10hipError_tPvRmT3_T4_T5_T6_T7_T9_mT8_P12ihipStream_tbDpT10_ENKUlT_T0_E_clISt17integral_constantIbLb1EES17_IbLb0EEEEDaS13_S14_EUlS13_E_NS1_11comp_targetILNS1_3genE2ELNS1_11target_archE906ELNS1_3gpuE6ELNS1_3repE0EEENS1_30default_config_static_selectorELNS0_4arch9wavefront6targetE0EEEvT1_.num_agpr, 0
	.set _ZN7rocprim17ROCPRIM_400000_NS6detail17trampoline_kernelINS0_14default_configENS1_25partition_config_selectorILNS1_17partition_subalgoE6EiNS0_10empty_typeEbEEZZNS1_14partition_implILS5_6ELb0ES3_mN6thrust23THRUST_200600_302600_NS6detail15normal_iteratorINSA_10device_ptrIiEEEEPS6_SG_NS0_5tupleIJSF_S6_EEENSH_IJSG_SG_EEES6_PlJNSB_9not_fun_tI6is_oddIiEEEEEE10hipError_tPvRmT3_T4_T5_T6_T7_T9_mT8_P12ihipStream_tbDpT10_ENKUlT_T0_E_clISt17integral_constantIbLb1EES17_IbLb0EEEEDaS13_S14_EUlS13_E_NS1_11comp_targetILNS1_3genE2ELNS1_11target_archE906ELNS1_3gpuE6ELNS1_3repE0EEENS1_30default_config_static_selectorELNS0_4arch9wavefront6targetE0EEEvT1_.numbered_sgpr, 0
	.set _ZN7rocprim17ROCPRIM_400000_NS6detail17trampoline_kernelINS0_14default_configENS1_25partition_config_selectorILNS1_17partition_subalgoE6EiNS0_10empty_typeEbEEZZNS1_14partition_implILS5_6ELb0ES3_mN6thrust23THRUST_200600_302600_NS6detail15normal_iteratorINSA_10device_ptrIiEEEEPS6_SG_NS0_5tupleIJSF_S6_EEENSH_IJSG_SG_EEES6_PlJNSB_9not_fun_tI6is_oddIiEEEEEE10hipError_tPvRmT3_T4_T5_T6_T7_T9_mT8_P12ihipStream_tbDpT10_ENKUlT_T0_E_clISt17integral_constantIbLb1EES17_IbLb0EEEEDaS13_S14_EUlS13_E_NS1_11comp_targetILNS1_3genE2ELNS1_11target_archE906ELNS1_3gpuE6ELNS1_3repE0EEENS1_30default_config_static_selectorELNS0_4arch9wavefront6targetE0EEEvT1_.num_named_barrier, 0
	.set _ZN7rocprim17ROCPRIM_400000_NS6detail17trampoline_kernelINS0_14default_configENS1_25partition_config_selectorILNS1_17partition_subalgoE6EiNS0_10empty_typeEbEEZZNS1_14partition_implILS5_6ELb0ES3_mN6thrust23THRUST_200600_302600_NS6detail15normal_iteratorINSA_10device_ptrIiEEEEPS6_SG_NS0_5tupleIJSF_S6_EEENSH_IJSG_SG_EEES6_PlJNSB_9not_fun_tI6is_oddIiEEEEEE10hipError_tPvRmT3_T4_T5_T6_T7_T9_mT8_P12ihipStream_tbDpT10_ENKUlT_T0_E_clISt17integral_constantIbLb1EES17_IbLb0EEEEDaS13_S14_EUlS13_E_NS1_11comp_targetILNS1_3genE2ELNS1_11target_archE906ELNS1_3gpuE6ELNS1_3repE0EEENS1_30default_config_static_selectorELNS0_4arch9wavefront6targetE0EEEvT1_.private_seg_size, 0
	.set _ZN7rocprim17ROCPRIM_400000_NS6detail17trampoline_kernelINS0_14default_configENS1_25partition_config_selectorILNS1_17partition_subalgoE6EiNS0_10empty_typeEbEEZZNS1_14partition_implILS5_6ELb0ES3_mN6thrust23THRUST_200600_302600_NS6detail15normal_iteratorINSA_10device_ptrIiEEEEPS6_SG_NS0_5tupleIJSF_S6_EEENSH_IJSG_SG_EEES6_PlJNSB_9not_fun_tI6is_oddIiEEEEEE10hipError_tPvRmT3_T4_T5_T6_T7_T9_mT8_P12ihipStream_tbDpT10_ENKUlT_T0_E_clISt17integral_constantIbLb1EES17_IbLb0EEEEDaS13_S14_EUlS13_E_NS1_11comp_targetILNS1_3genE2ELNS1_11target_archE906ELNS1_3gpuE6ELNS1_3repE0EEENS1_30default_config_static_selectorELNS0_4arch9wavefront6targetE0EEEvT1_.uses_vcc, 0
	.set _ZN7rocprim17ROCPRIM_400000_NS6detail17trampoline_kernelINS0_14default_configENS1_25partition_config_selectorILNS1_17partition_subalgoE6EiNS0_10empty_typeEbEEZZNS1_14partition_implILS5_6ELb0ES3_mN6thrust23THRUST_200600_302600_NS6detail15normal_iteratorINSA_10device_ptrIiEEEEPS6_SG_NS0_5tupleIJSF_S6_EEENSH_IJSG_SG_EEES6_PlJNSB_9not_fun_tI6is_oddIiEEEEEE10hipError_tPvRmT3_T4_T5_T6_T7_T9_mT8_P12ihipStream_tbDpT10_ENKUlT_T0_E_clISt17integral_constantIbLb1EES17_IbLb0EEEEDaS13_S14_EUlS13_E_NS1_11comp_targetILNS1_3genE2ELNS1_11target_archE906ELNS1_3gpuE6ELNS1_3repE0EEENS1_30default_config_static_selectorELNS0_4arch9wavefront6targetE0EEEvT1_.uses_flat_scratch, 0
	.set _ZN7rocprim17ROCPRIM_400000_NS6detail17trampoline_kernelINS0_14default_configENS1_25partition_config_selectorILNS1_17partition_subalgoE6EiNS0_10empty_typeEbEEZZNS1_14partition_implILS5_6ELb0ES3_mN6thrust23THRUST_200600_302600_NS6detail15normal_iteratorINSA_10device_ptrIiEEEEPS6_SG_NS0_5tupleIJSF_S6_EEENSH_IJSG_SG_EEES6_PlJNSB_9not_fun_tI6is_oddIiEEEEEE10hipError_tPvRmT3_T4_T5_T6_T7_T9_mT8_P12ihipStream_tbDpT10_ENKUlT_T0_E_clISt17integral_constantIbLb1EES17_IbLb0EEEEDaS13_S14_EUlS13_E_NS1_11comp_targetILNS1_3genE2ELNS1_11target_archE906ELNS1_3gpuE6ELNS1_3repE0EEENS1_30default_config_static_selectorELNS0_4arch9wavefront6targetE0EEEvT1_.has_dyn_sized_stack, 0
	.set _ZN7rocprim17ROCPRIM_400000_NS6detail17trampoline_kernelINS0_14default_configENS1_25partition_config_selectorILNS1_17partition_subalgoE6EiNS0_10empty_typeEbEEZZNS1_14partition_implILS5_6ELb0ES3_mN6thrust23THRUST_200600_302600_NS6detail15normal_iteratorINSA_10device_ptrIiEEEEPS6_SG_NS0_5tupleIJSF_S6_EEENSH_IJSG_SG_EEES6_PlJNSB_9not_fun_tI6is_oddIiEEEEEE10hipError_tPvRmT3_T4_T5_T6_T7_T9_mT8_P12ihipStream_tbDpT10_ENKUlT_T0_E_clISt17integral_constantIbLb1EES17_IbLb0EEEEDaS13_S14_EUlS13_E_NS1_11comp_targetILNS1_3genE2ELNS1_11target_archE906ELNS1_3gpuE6ELNS1_3repE0EEENS1_30default_config_static_selectorELNS0_4arch9wavefront6targetE0EEEvT1_.has_recursion, 0
	.set _ZN7rocprim17ROCPRIM_400000_NS6detail17trampoline_kernelINS0_14default_configENS1_25partition_config_selectorILNS1_17partition_subalgoE6EiNS0_10empty_typeEbEEZZNS1_14partition_implILS5_6ELb0ES3_mN6thrust23THRUST_200600_302600_NS6detail15normal_iteratorINSA_10device_ptrIiEEEEPS6_SG_NS0_5tupleIJSF_S6_EEENSH_IJSG_SG_EEES6_PlJNSB_9not_fun_tI6is_oddIiEEEEEE10hipError_tPvRmT3_T4_T5_T6_T7_T9_mT8_P12ihipStream_tbDpT10_ENKUlT_T0_E_clISt17integral_constantIbLb1EES17_IbLb0EEEEDaS13_S14_EUlS13_E_NS1_11comp_targetILNS1_3genE2ELNS1_11target_archE906ELNS1_3gpuE6ELNS1_3repE0EEENS1_30default_config_static_selectorELNS0_4arch9wavefront6targetE0EEEvT1_.has_indirect_call, 0
	.section	.AMDGPU.csdata,"",@progbits
; Kernel info:
; codeLenInByte = 0
; TotalNumSgprs: 0
; NumVgprs: 0
; ScratchSize: 0
; MemoryBound: 0
; FloatMode: 240
; IeeeMode: 1
; LDSByteSize: 0 bytes/workgroup (compile time only)
; SGPRBlocks: 0
; VGPRBlocks: 0
; NumSGPRsForWavesPerEU: 1
; NumVGPRsForWavesPerEU: 1
; Occupancy: 16
; WaveLimiterHint : 0
; COMPUTE_PGM_RSRC2:SCRATCH_EN: 0
; COMPUTE_PGM_RSRC2:USER_SGPR: 2
; COMPUTE_PGM_RSRC2:TRAP_HANDLER: 0
; COMPUTE_PGM_RSRC2:TGID_X_EN: 1
; COMPUTE_PGM_RSRC2:TGID_Y_EN: 0
; COMPUTE_PGM_RSRC2:TGID_Z_EN: 0
; COMPUTE_PGM_RSRC2:TIDIG_COMP_CNT: 0
	.section	.text._ZN7rocprim17ROCPRIM_400000_NS6detail17trampoline_kernelINS0_14default_configENS1_25partition_config_selectorILNS1_17partition_subalgoE6EiNS0_10empty_typeEbEEZZNS1_14partition_implILS5_6ELb0ES3_mN6thrust23THRUST_200600_302600_NS6detail15normal_iteratorINSA_10device_ptrIiEEEEPS6_SG_NS0_5tupleIJSF_S6_EEENSH_IJSG_SG_EEES6_PlJNSB_9not_fun_tI6is_oddIiEEEEEE10hipError_tPvRmT3_T4_T5_T6_T7_T9_mT8_P12ihipStream_tbDpT10_ENKUlT_T0_E_clISt17integral_constantIbLb1EES17_IbLb0EEEEDaS13_S14_EUlS13_E_NS1_11comp_targetILNS1_3genE10ELNS1_11target_archE1200ELNS1_3gpuE4ELNS1_3repE0EEENS1_30default_config_static_selectorELNS0_4arch9wavefront6targetE0EEEvT1_,"axG",@progbits,_ZN7rocprim17ROCPRIM_400000_NS6detail17trampoline_kernelINS0_14default_configENS1_25partition_config_selectorILNS1_17partition_subalgoE6EiNS0_10empty_typeEbEEZZNS1_14partition_implILS5_6ELb0ES3_mN6thrust23THRUST_200600_302600_NS6detail15normal_iteratorINSA_10device_ptrIiEEEEPS6_SG_NS0_5tupleIJSF_S6_EEENSH_IJSG_SG_EEES6_PlJNSB_9not_fun_tI6is_oddIiEEEEEE10hipError_tPvRmT3_T4_T5_T6_T7_T9_mT8_P12ihipStream_tbDpT10_ENKUlT_T0_E_clISt17integral_constantIbLb1EES17_IbLb0EEEEDaS13_S14_EUlS13_E_NS1_11comp_targetILNS1_3genE10ELNS1_11target_archE1200ELNS1_3gpuE4ELNS1_3repE0EEENS1_30default_config_static_selectorELNS0_4arch9wavefront6targetE0EEEvT1_,comdat
	.protected	_ZN7rocprim17ROCPRIM_400000_NS6detail17trampoline_kernelINS0_14default_configENS1_25partition_config_selectorILNS1_17partition_subalgoE6EiNS0_10empty_typeEbEEZZNS1_14partition_implILS5_6ELb0ES3_mN6thrust23THRUST_200600_302600_NS6detail15normal_iteratorINSA_10device_ptrIiEEEEPS6_SG_NS0_5tupleIJSF_S6_EEENSH_IJSG_SG_EEES6_PlJNSB_9not_fun_tI6is_oddIiEEEEEE10hipError_tPvRmT3_T4_T5_T6_T7_T9_mT8_P12ihipStream_tbDpT10_ENKUlT_T0_E_clISt17integral_constantIbLb1EES17_IbLb0EEEEDaS13_S14_EUlS13_E_NS1_11comp_targetILNS1_3genE10ELNS1_11target_archE1200ELNS1_3gpuE4ELNS1_3repE0EEENS1_30default_config_static_selectorELNS0_4arch9wavefront6targetE0EEEvT1_ ; -- Begin function _ZN7rocprim17ROCPRIM_400000_NS6detail17trampoline_kernelINS0_14default_configENS1_25partition_config_selectorILNS1_17partition_subalgoE6EiNS0_10empty_typeEbEEZZNS1_14partition_implILS5_6ELb0ES3_mN6thrust23THRUST_200600_302600_NS6detail15normal_iteratorINSA_10device_ptrIiEEEEPS6_SG_NS0_5tupleIJSF_S6_EEENSH_IJSG_SG_EEES6_PlJNSB_9not_fun_tI6is_oddIiEEEEEE10hipError_tPvRmT3_T4_T5_T6_T7_T9_mT8_P12ihipStream_tbDpT10_ENKUlT_T0_E_clISt17integral_constantIbLb1EES17_IbLb0EEEEDaS13_S14_EUlS13_E_NS1_11comp_targetILNS1_3genE10ELNS1_11target_archE1200ELNS1_3gpuE4ELNS1_3repE0EEENS1_30default_config_static_selectorELNS0_4arch9wavefront6targetE0EEEvT1_
	.globl	_ZN7rocprim17ROCPRIM_400000_NS6detail17trampoline_kernelINS0_14default_configENS1_25partition_config_selectorILNS1_17partition_subalgoE6EiNS0_10empty_typeEbEEZZNS1_14partition_implILS5_6ELb0ES3_mN6thrust23THRUST_200600_302600_NS6detail15normal_iteratorINSA_10device_ptrIiEEEEPS6_SG_NS0_5tupleIJSF_S6_EEENSH_IJSG_SG_EEES6_PlJNSB_9not_fun_tI6is_oddIiEEEEEE10hipError_tPvRmT3_T4_T5_T6_T7_T9_mT8_P12ihipStream_tbDpT10_ENKUlT_T0_E_clISt17integral_constantIbLb1EES17_IbLb0EEEEDaS13_S14_EUlS13_E_NS1_11comp_targetILNS1_3genE10ELNS1_11target_archE1200ELNS1_3gpuE4ELNS1_3repE0EEENS1_30default_config_static_selectorELNS0_4arch9wavefront6targetE0EEEvT1_
	.p2align	8
	.type	_ZN7rocprim17ROCPRIM_400000_NS6detail17trampoline_kernelINS0_14default_configENS1_25partition_config_selectorILNS1_17partition_subalgoE6EiNS0_10empty_typeEbEEZZNS1_14partition_implILS5_6ELb0ES3_mN6thrust23THRUST_200600_302600_NS6detail15normal_iteratorINSA_10device_ptrIiEEEEPS6_SG_NS0_5tupleIJSF_S6_EEENSH_IJSG_SG_EEES6_PlJNSB_9not_fun_tI6is_oddIiEEEEEE10hipError_tPvRmT3_T4_T5_T6_T7_T9_mT8_P12ihipStream_tbDpT10_ENKUlT_T0_E_clISt17integral_constantIbLb1EES17_IbLb0EEEEDaS13_S14_EUlS13_E_NS1_11comp_targetILNS1_3genE10ELNS1_11target_archE1200ELNS1_3gpuE4ELNS1_3repE0EEENS1_30default_config_static_selectorELNS0_4arch9wavefront6targetE0EEEvT1_,@function
_ZN7rocprim17ROCPRIM_400000_NS6detail17trampoline_kernelINS0_14default_configENS1_25partition_config_selectorILNS1_17partition_subalgoE6EiNS0_10empty_typeEbEEZZNS1_14partition_implILS5_6ELb0ES3_mN6thrust23THRUST_200600_302600_NS6detail15normal_iteratorINSA_10device_ptrIiEEEEPS6_SG_NS0_5tupleIJSF_S6_EEENSH_IJSG_SG_EEES6_PlJNSB_9not_fun_tI6is_oddIiEEEEEE10hipError_tPvRmT3_T4_T5_T6_T7_T9_mT8_P12ihipStream_tbDpT10_ENKUlT_T0_E_clISt17integral_constantIbLb1EES17_IbLb0EEEEDaS13_S14_EUlS13_E_NS1_11comp_targetILNS1_3genE10ELNS1_11target_archE1200ELNS1_3gpuE4ELNS1_3repE0EEENS1_30default_config_static_selectorELNS0_4arch9wavefront6targetE0EEEvT1_: ; @_ZN7rocprim17ROCPRIM_400000_NS6detail17trampoline_kernelINS0_14default_configENS1_25partition_config_selectorILNS1_17partition_subalgoE6EiNS0_10empty_typeEbEEZZNS1_14partition_implILS5_6ELb0ES3_mN6thrust23THRUST_200600_302600_NS6detail15normal_iteratorINSA_10device_ptrIiEEEEPS6_SG_NS0_5tupleIJSF_S6_EEENSH_IJSG_SG_EEES6_PlJNSB_9not_fun_tI6is_oddIiEEEEEE10hipError_tPvRmT3_T4_T5_T6_T7_T9_mT8_P12ihipStream_tbDpT10_ENKUlT_T0_E_clISt17integral_constantIbLb1EES17_IbLb0EEEEDaS13_S14_EUlS13_E_NS1_11comp_targetILNS1_3genE10ELNS1_11target_archE1200ELNS1_3gpuE4ELNS1_3repE0EEENS1_30default_config_static_selectorELNS0_4arch9wavefront6targetE0EEEvT1_
; %bb.0:
	s_endpgm
	.section	.rodata,"a",@progbits
	.p2align	6, 0x0
	.amdhsa_kernel _ZN7rocprim17ROCPRIM_400000_NS6detail17trampoline_kernelINS0_14default_configENS1_25partition_config_selectorILNS1_17partition_subalgoE6EiNS0_10empty_typeEbEEZZNS1_14partition_implILS5_6ELb0ES3_mN6thrust23THRUST_200600_302600_NS6detail15normal_iteratorINSA_10device_ptrIiEEEEPS6_SG_NS0_5tupleIJSF_S6_EEENSH_IJSG_SG_EEES6_PlJNSB_9not_fun_tI6is_oddIiEEEEEE10hipError_tPvRmT3_T4_T5_T6_T7_T9_mT8_P12ihipStream_tbDpT10_ENKUlT_T0_E_clISt17integral_constantIbLb1EES17_IbLb0EEEEDaS13_S14_EUlS13_E_NS1_11comp_targetILNS1_3genE10ELNS1_11target_archE1200ELNS1_3gpuE4ELNS1_3repE0EEENS1_30default_config_static_selectorELNS0_4arch9wavefront6targetE0EEEvT1_
		.amdhsa_group_segment_fixed_size 0
		.amdhsa_private_segment_fixed_size 0
		.amdhsa_kernarg_size 112
		.amdhsa_user_sgpr_count 2
		.amdhsa_user_sgpr_dispatch_ptr 0
		.amdhsa_user_sgpr_queue_ptr 0
		.amdhsa_user_sgpr_kernarg_segment_ptr 1
		.amdhsa_user_sgpr_dispatch_id 0
		.amdhsa_user_sgpr_private_segment_size 0
		.amdhsa_wavefront_size32 1
		.amdhsa_uses_dynamic_stack 0
		.amdhsa_enable_private_segment 0
		.amdhsa_system_sgpr_workgroup_id_x 1
		.amdhsa_system_sgpr_workgroup_id_y 0
		.amdhsa_system_sgpr_workgroup_id_z 0
		.amdhsa_system_sgpr_workgroup_info 0
		.amdhsa_system_vgpr_workitem_id 0
		.amdhsa_next_free_vgpr 1
		.amdhsa_next_free_sgpr 1
		.amdhsa_reserve_vcc 0
		.amdhsa_float_round_mode_32 0
		.amdhsa_float_round_mode_16_64 0
		.amdhsa_float_denorm_mode_32 3
		.amdhsa_float_denorm_mode_16_64 3
		.amdhsa_fp16_overflow 0
		.amdhsa_workgroup_processor_mode 1
		.amdhsa_memory_ordered 1
		.amdhsa_forward_progress 1
		.amdhsa_inst_pref_size 1
		.amdhsa_round_robin_scheduling 0
		.amdhsa_exception_fp_ieee_invalid_op 0
		.amdhsa_exception_fp_denorm_src 0
		.amdhsa_exception_fp_ieee_div_zero 0
		.amdhsa_exception_fp_ieee_overflow 0
		.amdhsa_exception_fp_ieee_underflow 0
		.amdhsa_exception_fp_ieee_inexact 0
		.amdhsa_exception_int_div_zero 0
	.end_amdhsa_kernel
	.section	.text._ZN7rocprim17ROCPRIM_400000_NS6detail17trampoline_kernelINS0_14default_configENS1_25partition_config_selectorILNS1_17partition_subalgoE6EiNS0_10empty_typeEbEEZZNS1_14partition_implILS5_6ELb0ES3_mN6thrust23THRUST_200600_302600_NS6detail15normal_iteratorINSA_10device_ptrIiEEEEPS6_SG_NS0_5tupleIJSF_S6_EEENSH_IJSG_SG_EEES6_PlJNSB_9not_fun_tI6is_oddIiEEEEEE10hipError_tPvRmT3_T4_T5_T6_T7_T9_mT8_P12ihipStream_tbDpT10_ENKUlT_T0_E_clISt17integral_constantIbLb1EES17_IbLb0EEEEDaS13_S14_EUlS13_E_NS1_11comp_targetILNS1_3genE10ELNS1_11target_archE1200ELNS1_3gpuE4ELNS1_3repE0EEENS1_30default_config_static_selectorELNS0_4arch9wavefront6targetE0EEEvT1_,"axG",@progbits,_ZN7rocprim17ROCPRIM_400000_NS6detail17trampoline_kernelINS0_14default_configENS1_25partition_config_selectorILNS1_17partition_subalgoE6EiNS0_10empty_typeEbEEZZNS1_14partition_implILS5_6ELb0ES3_mN6thrust23THRUST_200600_302600_NS6detail15normal_iteratorINSA_10device_ptrIiEEEEPS6_SG_NS0_5tupleIJSF_S6_EEENSH_IJSG_SG_EEES6_PlJNSB_9not_fun_tI6is_oddIiEEEEEE10hipError_tPvRmT3_T4_T5_T6_T7_T9_mT8_P12ihipStream_tbDpT10_ENKUlT_T0_E_clISt17integral_constantIbLb1EES17_IbLb0EEEEDaS13_S14_EUlS13_E_NS1_11comp_targetILNS1_3genE10ELNS1_11target_archE1200ELNS1_3gpuE4ELNS1_3repE0EEENS1_30default_config_static_selectorELNS0_4arch9wavefront6targetE0EEEvT1_,comdat
.Lfunc_end104:
	.size	_ZN7rocprim17ROCPRIM_400000_NS6detail17trampoline_kernelINS0_14default_configENS1_25partition_config_selectorILNS1_17partition_subalgoE6EiNS0_10empty_typeEbEEZZNS1_14partition_implILS5_6ELb0ES3_mN6thrust23THRUST_200600_302600_NS6detail15normal_iteratorINSA_10device_ptrIiEEEEPS6_SG_NS0_5tupleIJSF_S6_EEENSH_IJSG_SG_EEES6_PlJNSB_9not_fun_tI6is_oddIiEEEEEE10hipError_tPvRmT3_T4_T5_T6_T7_T9_mT8_P12ihipStream_tbDpT10_ENKUlT_T0_E_clISt17integral_constantIbLb1EES17_IbLb0EEEEDaS13_S14_EUlS13_E_NS1_11comp_targetILNS1_3genE10ELNS1_11target_archE1200ELNS1_3gpuE4ELNS1_3repE0EEENS1_30default_config_static_selectorELNS0_4arch9wavefront6targetE0EEEvT1_, .Lfunc_end104-_ZN7rocprim17ROCPRIM_400000_NS6detail17trampoline_kernelINS0_14default_configENS1_25partition_config_selectorILNS1_17partition_subalgoE6EiNS0_10empty_typeEbEEZZNS1_14partition_implILS5_6ELb0ES3_mN6thrust23THRUST_200600_302600_NS6detail15normal_iteratorINSA_10device_ptrIiEEEEPS6_SG_NS0_5tupleIJSF_S6_EEENSH_IJSG_SG_EEES6_PlJNSB_9not_fun_tI6is_oddIiEEEEEE10hipError_tPvRmT3_T4_T5_T6_T7_T9_mT8_P12ihipStream_tbDpT10_ENKUlT_T0_E_clISt17integral_constantIbLb1EES17_IbLb0EEEEDaS13_S14_EUlS13_E_NS1_11comp_targetILNS1_3genE10ELNS1_11target_archE1200ELNS1_3gpuE4ELNS1_3repE0EEENS1_30default_config_static_selectorELNS0_4arch9wavefront6targetE0EEEvT1_
                                        ; -- End function
	.set _ZN7rocprim17ROCPRIM_400000_NS6detail17trampoline_kernelINS0_14default_configENS1_25partition_config_selectorILNS1_17partition_subalgoE6EiNS0_10empty_typeEbEEZZNS1_14partition_implILS5_6ELb0ES3_mN6thrust23THRUST_200600_302600_NS6detail15normal_iteratorINSA_10device_ptrIiEEEEPS6_SG_NS0_5tupleIJSF_S6_EEENSH_IJSG_SG_EEES6_PlJNSB_9not_fun_tI6is_oddIiEEEEEE10hipError_tPvRmT3_T4_T5_T6_T7_T9_mT8_P12ihipStream_tbDpT10_ENKUlT_T0_E_clISt17integral_constantIbLb1EES17_IbLb0EEEEDaS13_S14_EUlS13_E_NS1_11comp_targetILNS1_3genE10ELNS1_11target_archE1200ELNS1_3gpuE4ELNS1_3repE0EEENS1_30default_config_static_selectorELNS0_4arch9wavefront6targetE0EEEvT1_.num_vgpr, 0
	.set _ZN7rocprim17ROCPRIM_400000_NS6detail17trampoline_kernelINS0_14default_configENS1_25partition_config_selectorILNS1_17partition_subalgoE6EiNS0_10empty_typeEbEEZZNS1_14partition_implILS5_6ELb0ES3_mN6thrust23THRUST_200600_302600_NS6detail15normal_iteratorINSA_10device_ptrIiEEEEPS6_SG_NS0_5tupleIJSF_S6_EEENSH_IJSG_SG_EEES6_PlJNSB_9not_fun_tI6is_oddIiEEEEEE10hipError_tPvRmT3_T4_T5_T6_T7_T9_mT8_P12ihipStream_tbDpT10_ENKUlT_T0_E_clISt17integral_constantIbLb1EES17_IbLb0EEEEDaS13_S14_EUlS13_E_NS1_11comp_targetILNS1_3genE10ELNS1_11target_archE1200ELNS1_3gpuE4ELNS1_3repE0EEENS1_30default_config_static_selectorELNS0_4arch9wavefront6targetE0EEEvT1_.num_agpr, 0
	.set _ZN7rocprim17ROCPRIM_400000_NS6detail17trampoline_kernelINS0_14default_configENS1_25partition_config_selectorILNS1_17partition_subalgoE6EiNS0_10empty_typeEbEEZZNS1_14partition_implILS5_6ELb0ES3_mN6thrust23THRUST_200600_302600_NS6detail15normal_iteratorINSA_10device_ptrIiEEEEPS6_SG_NS0_5tupleIJSF_S6_EEENSH_IJSG_SG_EEES6_PlJNSB_9not_fun_tI6is_oddIiEEEEEE10hipError_tPvRmT3_T4_T5_T6_T7_T9_mT8_P12ihipStream_tbDpT10_ENKUlT_T0_E_clISt17integral_constantIbLb1EES17_IbLb0EEEEDaS13_S14_EUlS13_E_NS1_11comp_targetILNS1_3genE10ELNS1_11target_archE1200ELNS1_3gpuE4ELNS1_3repE0EEENS1_30default_config_static_selectorELNS0_4arch9wavefront6targetE0EEEvT1_.numbered_sgpr, 0
	.set _ZN7rocprim17ROCPRIM_400000_NS6detail17trampoline_kernelINS0_14default_configENS1_25partition_config_selectorILNS1_17partition_subalgoE6EiNS0_10empty_typeEbEEZZNS1_14partition_implILS5_6ELb0ES3_mN6thrust23THRUST_200600_302600_NS6detail15normal_iteratorINSA_10device_ptrIiEEEEPS6_SG_NS0_5tupleIJSF_S6_EEENSH_IJSG_SG_EEES6_PlJNSB_9not_fun_tI6is_oddIiEEEEEE10hipError_tPvRmT3_T4_T5_T6_T7_T9_mT8_P12ihipStream_tbDpT10_ENKUlT_T0_E_clISt17integral_constantIbLb1EES17_IbLb0EEEEDaS13_S14_EUlS13_E_NS1_11comp_targetILNS1_3genE10ELNS1_11target_archE1200ELNS1_3gpuE4ELNS1_3repE0EEENS1_30default_config_static_selectorELNS0_4arch9wavefront6targetE0EEEvT1_.num_named_barrier, 0
	.set _ZN7rocprim17ROCPRIM_400000_NS6detail17trampoline_kernelINS0_14default_configENS1_25partition_config_selectorILNS1_17partition_subalgoE6EiNS0_10empty_typeEbEEZZNS1_14partition_implILS5_6ELb0ES3_mN6thrust23THRUST_200600_302600_NS6detail15normal_iteratorINSA_10device_ptrIiEEEEPS6_SG_NS0_5tupleIJSF_S6_EEENSH_IJSG_SG_EEES6_PlJNSB_9not_fun_tI6is_oddIiEEEEEE10hipError_tPvRmT3_T4_T5_T6_T7_T9_mT8_P12ihipStream_tbDpT10_ENKUlT_T0_E_clISt17integral_constantIbLb1EES17_IbLb0EEEEDaS13_S14_EUlS13_E_NS1_11comp_targetILNS1_3genE10ELNS1_11target_archE1200ELNS1_3gpuE4ELNS1_3repE0EEENS1_30default_config_static_selectorELNS0_4arch9wavefront6targetE0EEEvT1_.private_seg_size, 0
	.set _ZN7rocprim17ROCPRIM_400000_NS6detail17trampoline_kernelINS0_14default_configENS1_25partition_config_selectorILNS1_17partition_subalgoE6EiNS0_10empty_typeEbEEZZNS1_14partition_implILS5_6ELb0ES3_mN6thrust23THRUST_200600_302600_NS6detail15normal_iteratorINSA_10device_ptrIiEEEEPS6_SG_NS0_5tupleIJSF_S6_EEENSH_IJSG_SG_EEES6_PlJNSB_9not_fun_tI6is_oddIiEEEEEE10hipError_tPvRmT3_T4_T5_T6_T7_T9_mT8_P12ihipStream_tbDpT10_ENKUlT_T0_E_clISt17integral_constantIbLb1EES17_IbLb0EEEEDaS13_S14_EUlS13_E_NS1_11comp_targetILNS1_3genE10ELNS1_11target_archE1200ELNS1_3gpuE4ELNS1_3repE0EEENS1_30default_config_static_selectorELNS0_4arch9wavefront6targetE0EEEvT1_.uses_vcc, 0
	.set _ZN7rocprim17ROCPRIM_400000_NS6detail17trampoline_kernelINS0_14default_configENS1_25partition_config_selectorILNS1_17partition_subalgoE6EiNS0_10empty_typeEbEEZZNS1_14partition_implILS5_6ELb0ES3_mN6thrust23THRUST_200600_302600_NS6detail15normal_iteratorINSA_10device_ptrIiEEEEPS6_SG_NS0_5tupleIJSF_S6_EEENSH_IJSG_SG_EEES6_PlJNSB_9not_fun_tI6is_oddIiEEEEEE10hipError_tPvRmT3_T4_T5_T6_T7_T9_mT8_P12ihipStream_tbDpT10_ENKUlT_T0_E_clISt17integral_constantIbLb1EES17_IbLb0EEEEDaS13_S14_EUlS13_E_NS1_11comp_targetILNS1_3genE10ELNS1_11target_archE1200ELNS1_3gpuE4ELNS1_3repE0EEENS1_30default_config_static_selectorELNS0_4arch9wavefront6targetE0EEEvT1_.uses_flat_scratch, 0
	.set _ZN7rocprim17ROCPRIM_400000_NS6detail17trampoline_kernelINS0_14default_configENS1_25partition_config_selectorILNS1_17partition_subalgoE6EiNS0_10empty_typeEbEEZZNS1_14partition_implILS5_6ELb0ES3_mN6thrust23THRUST_200600_302600_NS6detail15normal_iteratorINSA_10device_ptrIiEEEEPS6_SG_NS0_5tupleIJSF_S6_EEENSH_IJSG_SG_EEES6_PlJNSB_9not_fun_tI6is_oddIiEEEEEE10hipError_tPvRmT3_T4_T5_T6_T7_T9_mT8_P12ihipStream_tbDpT10_ENKUlT_T0_E_clISt17integral_constantIbLb1EES17_IbLb0EEEEDaS13_S14_EUlS13_E_NS1_11comp_targetILNS1_3genE10ELNS1_11target_archE1200ELNS1_3gpuE4ELNS1_3repE0EEENS1_30default_config_static_selectorELNS0_4arch9wavefront6targetE0EEEvT1_.has_dyn_sized_stack, 0
	.set _ZN7rocprim17ROCPRIM_400000_NS6detail17trampoline_kernelINS0_14default_configENS1_25partition_config_selectorILNS1_17partition_subalgoE6EiNS0_10empty_typeEbEEZZNS1_14partition_implILS5_6ELb0ES3_mN6thrust23THRUST_200600_302600_NS6detail15normal_iteratorINSA_10device_ptrIiEEEEPS6_SG_NS0_5tupleIJSF_S6_EEENSH_IJSG_SG_EEES6_PlJNSB_9not_fun_tI6is_oddIiEEEEEE10hipError_tPvRmT3_T4_T5_T6_T7_T9_mT8_P12ihipStream_tbDpT10_ENKUlT_T0_E_clISt17integral_constantIbLb1EES17_IbLb0EEEEDaS13_S14_EUlS13_E_NS1_11comp_targetILNS1_3genE10ELNS1_11target_archE1200ELNS1_3gpuE4ELNS1_3repE0EEENS1_30default_config_static_selectorELNS0_4arch9wavefront6targetE0EEEvT1_.has_recursion, 0
	.set _ZN7rocprim17ROCPRIM_400000_NS6detail17trampoline_kernelINS0_14default_configENS1_25partition_config_selectorILNS1_17partition_subalgoE6EiNS0_10empty_typeEbEEZZNS1_14partition_implILS5_6ELb0ES3_mN6thrust23THRUST_200600_302600_NS6detail15normal_iteratorINSA_10device_ptrIiEEEEPS6_SG_NS0_5tupleIJSF_S6_EEENSH_IJSG_SG_EEES6_PlJNSB_9not_fun_tI6is_oddIiEEEEEE10hipError_tPvRmT3_T4_T5_T6_T7_T9_mT8_P12ihipStream_tbDpT10_ENKUlT_T0_E_clISt17integral_constantIbLb1EES17_IbLb0EEEEDaS13_S14_EUlS13_E_NS1_11comp_targetILNS1_3genE10ELNS1_11target_archE1200ELNS1_3gpuE4ELNS1_3repE0EEENS1_30default_config_static_selectorELNS0_4arch9wavefront6targetE0EEEvT1_.has_indirect_call, 0
	.section	.AMDGPU.csdata,"",@progbits
; Kernel info:
; codeLenInByte = 4
; TotalNumSgprs: 0
; NumVgprs: 0
; ScratchSize: 0
; MemoryBound: 0
; FloatMode: 240
; IeeeMode: 1
; LDSByteSize: 0 bytes/workgroup (compile time only)
; SGPRBlocks: 0
; VGPRBlocks: 0
; NumSGPRsForWavesPerEU: 1
; NumVGPRsForWavesPerEU: 1
; Occupancy: 16
; WaveLimiterHint : 0
; COMPUTE_PGM_RSRC2:SCRATCH_EN: 0
; COMPUTE_PGM_RSRC2:USER_SGPR: 2
; COMPUTE_PGM_RSRC2:TRAP_HANDLER: 0
; COMPUTE_PGM_RSRC2:TGID_X_EN: 1
; COMPUTE_PGM_RSRC2:TGID_Y_EN: 0
; COMPUTE_PGM_RSRC2:TGID_Z_EN: 0
; COMPUTE_PGM_RSRC2:TIDIG_COMP_CNT: 0
	.section	.text._ZN7rocprim17ROCPRIM_400000_NS6detail17trampoline_kernelINS0_14default_configENS1_25partition_config_selectorILNS1_17partition_subalgoE6EiNS0_10empty_typeEbEEZZNS1_14partition_implILS5_6ELb0ES3_mN6thrust23THRUST_200600_302600_NS6detail15normal_iteratorINSA_10device_ptrIiEEEEPS6_SG_NS0_5tupleIJSF_S6_EEENSH_IJSG_SG_EEES6_PlJNSB_9not_fun_tI6is_oddIiEEEEEE10hipError_tPvRmT3_T4_T5_T6_T7_T9_mT8_P12ihipStream_tbDpT10_ENKUlT_T0_E_clISt17integral_constantIbLb1EES17_IbLb0EEEEDaS13_S14_EUlS13_E_NS1_11comp_targetILNS1_3genE9ELNS1_11target_archE1100ELNS1_3gpuE3ELNS1_3repE0EEENS1_30default_config_static_selectorELNS0_4arch9wavefront6targetE0EEEvT1_,"axG",@progbits,_ZN7rocprim17ROCPRIM_400000_NS6detail17trampoline_kernelINS0_14default_configENS1_25partition_config_selectorILNS1_17partition_subalgoE6EiNS0_10empty_typeEbEEZZNS1_14partition_implILS5_6ELb0ES3_mN6thrust23THRUST_200600_302600_NS6detail15normal_iteratorINSA_10device_ptrIiEEEEPS6_SG_NS0_5tupleIJSF_S6_EEENSH_IJSG_SG_EEES6_PlJNSB_9not_fun_tI6is_oddIiEEEEEE10hipError_tPvRmT3_T4_T5_T6_T7_T9_mT8_P12ihipStream_tbDpT10_ENKUlT_T0_E_clISt17integral_constantIbLb1EES17_IbLb0EEEEDaS13_S14_EUlS13_E_NS1_11comp_targetILNS1_3genE9ELNS1_11target_archE1100ELNS1_3gpuE3ELNS1_3repE0EEENS1_30default_config_static_selectorELNS0_4arch9wavefront6targetE0EEEvT1_,comdat
	.protected	_ZN7rocprim17ROCPRIM_400000_NS6detail17trampoline_kernelINS0_14default_configENS1_25partition_config_selectorILNS1_17partition_subalgoE6EiNS0_10empty_typeEbEEZZNS1_14partition_implILS5_6ELb0ES3_mN6thrust23THRUST_200600_302600_NS6detail15normal_iteratorINSA_10device_ptrIiEEEEPS6_SG_NS0_5tupleIJSF_S6_EEENSH_IJSG_SG_EEES6_PlJNSB_9not_fun_tI6is_oddIiEEEEEE10hipError_tPvRmT3_T4_T5_T6_T7_T9_mT8_P12ihipStream_tbDpT10_ENKUlT_T0_E_clISt17integral_constantIbLb1EES17_IbLb0EEEEDaS13_S14_EUlS13_E_NS1_11comp_targetILNS1_3genE9ELNS1_11target_archE1100ELNS1_3gpuE3ELNS1_3repE0EEENS1_30default_config_static_selectorELNS0_4arch9wavefront6targetE0EEEvT1_ ; -- Begin function _ZN7rocprim17ROCPRIM_400000_NS6detail17trampoline_kernelINS0_14default_configENS1_25partition_config_selectorILNS1_17partition_subalgoE6EiNS0_10empty_typeEbEEZZNS1_14partition_implILS5_6ELb0ES3_mN6thrust23THRUST_200600_302600_NS6detail15normal_iteratorINSA_10device_ptrIiEEEEPS6_SG_NS0_5tupleIJSF_S6_EEENSH_IJSG_SG_EEES6_PlJNSB_9not_fun_tI6is_oddIiEEEEEE10hipError_tPvRmT3_T4_T5_T6_T7_T9_mT8_P12ihipStream_tbDpT10_ENKUlT_T0_E_clISt17integral_constantIbLb1EES17_IbLb0EEEEDaS13_S14_EUlS13_E_NS1_11comp_targetILNS1_3genE9ELNS1_11target_archE1100ELNS1_3gpuE3ELNS1_3repE0EEENS1_30default_config_static_selectorELNS0_4arch9wavefront6targetE0EEEvT1_
	.globl	_ZN7rocprim17ROCPRIM_400000_NS6detail17trampoline_kernelINS0_14default_configENS1_25partition_config_selectorILNS1_17partition_subalgoE6EiNS0_10empty_typeEbEEZZNS1_14partition_implILS5_6ELb0ES3_mN6thrust23THRUST_200600_302600_NS6detail15normal_iteratorINSA_10device_ptrIiEEEEPS6_SG_NS0_5tupleIJSF_S6_EEENSH_IJSG_SG_EEES6_PlJNSB_9not_fun_tI6is_oddIiEEEEEE10hipError_tPvRmT3_T4_T5_T6_T7_T9_mT8_P12ihipStream_tbDpT10_ENKUlT_T0_E_clISt17integral_constantIbLb1EES17_IbLb0EEEEDaS13_S14_EUlS13_E_NS1_11comp_targetILNS1_3genE9ELNS1_11target_archE1100ELNS1_3gpuE3ELNS1_3repE0EEENS1_30default_config_static_selectorELNS0_4arch9wavefront6targetE0EEEvT1_
	.p2align	8
	.type	_ZN7rocprim17ROCPRIM_400000_NS6detail17trampoline_kernelINS0_14default_configENS1_25partition_config_selectorILNS1_17partition_subalgoE6EiNS0_10empty_typeEbEEZZNS1_14partition_implILS5_6ELb0ES3_mN6thrust23THRUST_200600_302600_NS6detail15normal_iteratorINSA_10device_ptrIiEEEEPS6_SG_NS0_5tupleIJSF_S6_EEENSH_IJSG_SG_EEES6_PlJNSB_9not_fun_tI6is_oddIiEEEEEE10hipError_tPvRmT3_T4_T5_T6_T7_T9_mT8_P12ihipStream_tbDpT10_ENKUlT_T0_E_clISt17integral_constantIbLb1EES17_IbLb0EEEEDaS13_S14_EUlS13_E_NS1_11comp_targetILNS1_3genE9ELNS1_11target_archE1100ELNS1_3gpuE3ELNS1_3repE0EEENS1_30default_config_static_selectorELNS0_4arch9wavefront6targetE0EEEvT1_,@function
_ZN7rocprim17ROCPRIM_400000_NS6detail17trampoline_kernelINS0_14default_configENS1_25partition_config_selectorILNS1_17partition_subalgoE6EiNS0_10empty_typeEbEEZZNS1_14partition_implILS5_6ELb0ES3_mN6thrust23THRUST_200600_302600_NS6detail15normal_iteratorINSA_10device_ptrIiEEEEPS6_SG_NS0_5tupleIJSF_S6_EEENSH_IJSG_SG_EEES6_PlJNSB_9not_fun_tI6is_oddIiEEEEEE10hipError_tPvRmT3_T4_T5_T6_T7_T9_mT8_P12ihipStream_tbDpT10_ENKUlT_T0_E_clISt17integral_constantIbLb1EES17_IbLb0EEEEDaS13_S14_EUlS13_E_NS1_11comp_targetILNS1_3genE9ELNS1_11target_archE1100ELNS1_3gpuE3ELNS1_3repE0EEENS1_30default_config_static_selectorELNS0_4arch9wavefront6targetE0EEEvT1_: ; @_ZN7rocprim17ROCPRIM_400000_NS6detail17trampoline_kernelINS0_14default_configENS1_25partition_config_selectorILNS1_17partition_subalgoE6EiNS0_10empty_typeEbEEZZNS1_14partition_implILS5_6ELb0ES3_mN6thrust23THRUST_200600_302600_NS6detail15normal_iteratorINSA_10device_ptrIiEEEEPS6_SG_NS0_5tupleIJSF_S6_EEENSH_IJSG_SG_EEES6_PlJNSB_9not_fun_tI6is_oddIiEEEEEE10hipError_tPvRmT3_T4_T5_T6_T7_T9_mT8_P12ihipStream_tbDpT10_ENKUlT_T0_E_clISt17integral_constantIbLb1EES17_IbLb0EEEEDaS13_S14_EUlS13_E_NS1_11comp_targetILNS1_3genE9ELNS1_11target_archE1100ELNS1_3gpuE3ELNS1_3repE0EEENS1_30default_config_static_selectorELNS0_4arch9wavefront6targetE0EEEvT1_
; %bb.0:
	.section	.rodata,"a",@progbits
	.p2align	6, 0x0
	.amdhsa_kernel _ZN7rocprim17ROCPRIM_400000_NS6detail17trampoline_kernelINS0_14default_configENS1_25partition_config_selectorILNS1_17partition_subalgoE6EiNS0_10empty_typeEbEEZZNS1_14partition_implILS5_6ELb0ES3_mN6thrust23THRUST_200600_302600_NS6detail15normal_iteratorINSA_10device_ptrIiEEEEPS6_SG_NS0_5tupleIJSF_S6_EEENSH_IJSG_SG_EEES6_PlJNSB_9not_fun_tI6is_oddIiEEEEEE10hipError_tPvRmT3_T4_T5_T6_T7_T9_mT8_P12ihipStream_tbDpT10_ENKUlT_T0_E_clISt17integral_constantIbLb1EES17_IbLb0EEEEDaS13_S14_EUlS13_E_NS1_11comp_targetILNS1_3genE9ELNS1_11target_archE1100ELNS1_3gpuE3ELNS1_3repE0EEENS1_30default_config_static_selectorELNS0_4arch9wavefront6targetE0EEEvT1_
		.amdhsa_group_segment_fixed_size 0
		.amdhsa_private_segment_fixed_size 0
		.amdhsa_kernarg_size 112
		.amdhsa_user_sgpr_count 2
		.amdhsa_user_sgpr_dispatch_ptr 0
		.amdhsa_user_sgpr_queue_ptr 0
		.amdhsa_user_sgpr_kernarg_segment_ptr 1
		.amdhsa_user_sgpr_dispatch_id 0
		.amdhsa_user_sgpr_private_segment_size 0
		.amdhsa_wavefront_size32 1
		.amdhsa_uses_dynamic_stack 0
		.amdhsa_enable_private_segment 0
		.amdhsa_system_sgpr_workgroup_id_x 1
		.amdhsa_system_sgpr_workgroup_id_y 0
		.amdhsa_system_sgpr_workgroup_id_z 0
		.amdhsa_system_sgpr_workgroup_info 0
		.amdhsa_system_vgpr_workitem_id 0
		.amdhsa_next_free_vgpr 1
		.amdhsa_next_free_sgpr 1
		.amdhsa_reserve_vcc 0
		.amdhsa_float_round_mode_32 0
		.amdhsa_float_round_mode_16_64 0
		.amdhsa_float_denorm_mode_32 3
		.amdhsa_float_denorm_mode_16_64 3
		.amdhsa_fp16_overflow 0
		.amdhsa_workgroup_processor_mode 1
		.amdhsa_memory_ordered 1
		.amdhsa_forward_progress 1
		.amdhsa_inst_pref_size 0
		.amdhsa_round_robin_scheduling 0
		.amdhsa_exception_fp_ieee_invalid_op 0
		.amdhsa_exception_fp_denorm_src 0
		.amdhsa_exception_fp_ieee_div_zero 0
		.amdhsa_exception_fp_ieee_overflow 0
		.amdhsa_exception_fp_ieee_underflow 0
		.amdhsa_exception_fp_ieee_inexact 0
		.amdhsa_exception_int_div_zero 0
	.end_amdhsa_kernel
	.section	.text._ZN7rocprim17ROCPRIM_400000_NS6detail17trampoline_kernelINS0_14default_configENS1_25partition_config_selectorILNS1_17partition_subalgoE6EiNS0_10empty_typeEbEEZZNS1_14partition_implILS5_6ELb0ES3_mN6thrust23THRUST_200600_302600_NS6detail15normal_iteratorINSA_10device_ptrIiEEEEPS6_SG_NS0_5tupleIJSF_S6_EEENSH_IJSG_SG_EEES6_PlJNSB_9not_fun_tI6is_oddIiEEEEEE10hipError_tPvRmT3_T4_T5_T6_T7_T9_mT8_P12ihipStream_tbDpT10_ENKUlT_T0_E_clISt17integral_constantIbLb1EES17_IbLb0EEEEDaS13_S14_EUlS13_E_NS1_11comp_targetILNS1_3genE9ELNS1_11target_archE1100ELNS1_3gpuE3ELNS1_3repE0EEENS1_30default_config_static_selectorELNS0_4arch9wavefront6targetE0EEEvT1_,"axG",@progbits,_ZN7rocprim17ROCPRIM_400000_NS6detail17trampoline_kernelINS0_14default_configENS1_25partition_config_selectorILNS1_17partition_subalgoE6EiNS0_10empty_typeEbEEZZNS1_14partition_implILS5_6ELb0ES3_mN6thrust23THRUST_200600_302600_NS6detail15normal_iteratorINSA_10device_ptrIiEEEEPS6_SG_NS0_5tupleIJSF_S6_EEENSH_IJSG_SG_EEES6_PlJNSB_9not_fun_tI6is_oddIiEEEEEE10hipError_tPvRmT3_T4_T5_T6_T7_T9_mT8_P12ihipStream_tbDpT10_ENKUlT_T0_E_clISt17integral_constantIbLb1EES17_IbLb0EEEEDaS13_S14_EUlS13_E_NS1_11comp_targetILNS1_3genE9ELNS1_11target_archE1100ELNS1_3gpuE3ELNS1_3repE0EEENS1_30default_config_static_selectorELNS0_4arch9wavefront6targetE0EEEvT1_,comdat
.Lfunc_end105:
	.size	_ZN7rocprim17ROCPRIM_400000_NS6detail17trampoline_kernelINS0_14default_configENS1_25partition_config_selectorILNS1_17partition_subalgoE6EiNS0_10empty_typeEbEEZZNS1_14partition_implILS5_6ELb0ES3_mN6thrust23THRUST_200600_302600_NS6detail15normal_iteratorINSA_10device_ptrIiEEEEPS6_SG_NS0_5tupleIJSF_S6_EEENSH_IJSG_SG_EEES6_PlJNSB_9not_fun_tI6is_oddIiEEEEEE10hipError_tPvRmT3_T4_T5_T6_T7_T9_mT8_P12ihipStream_tbDpT10_ENKUlT_T0_E_clISt17integral_constantIbLb1EES17_IbLb0EEEEDaS13_S14_EUlS13_E_NS1_11comp_targetILNS1_3genE9ELNS1_11target_archE1100ELNS1_3gpuE3ELNS1_3repE0EEENS1_30default_config_static_selectorELNS0_4arch9wavefront6targetE0EEEvT1_, .Lfunc_end105-_ZN7rocprim17ROCPRIM_400000_NS6detail17trampoline_kernelINS0_14default_configENS1_25partition_config_selectorILNS1_17partition_subalgoE6EiNS0_10empty_typeEbEEZZNS1_14partition_implILS5_6ELb0ES3_mN6thrust23THRUST_200600_302600_NS6detail15normal_iteratorINSA_10device_ptrIiEEEEPS6_SG_NS0_5tupleIJSF_S6_EEENSH_IJSG_SG_EEES6_PlJNSB_9not_fun_tI6is_oddIiEEEEEE10hipError_tPvRmT3_T4_T5_T6_T7_T9_mT8_P12ihipStream_tbDpT10_ENKUlT_T0_E_clISt17integral_constantIbLb1EES17_IbLb0EEEEDaS13_S14_EUlS13_E_NS1_11comp_targetILNS1_3genE9ELNS1_11target_archE1100ELNS1_3gpuE3ELNS1_3repE0EEENS1_30default_config_static_selectorELNS0_4arch9wavefront6targetE0EEEvT1_
                                        ; -- End function
	.set _ZN7rocprim17ROCPRIM_400000_NS6detail17trampoline_kernelINS0_14default_configENS1_25partition_config_selectorILNS1_17partition_subalgoE6EiNS0_10empty_typeEbEEZZNS1_14partition_implILS5_6ELb0ES3_mN6thrust23THRUST_200600_302600_NS6detail15normal_iteratorINSA_10device_ptrIiEEEEPS6_SG_NS0_5tupleIJSF_S6_EEENSH_IJSG_SG_EEES6_PlJNSB_9not_fun_tI6is_oddIiEEEEEE10hipError_tPvRmT3_T4_T5_T6_T7_T9_mT8_P12ihipStream_tbDpT10_ENKUlT_T0_E_clISt17integral_constantIbLb1EES17_IbLb0EEEEDaS13_S14_EUlS13_E_NS1_11comp_targetILNS1_3genE9ELNS1_11target_archE1100ELNS1_3gpuE3ELNS1_3repE0EEENS1_30default_config_static_selectorELNS0_4arch9wavefront6targetE0EEEvT1_.num_vgpr, 0
	.set _ZN7rocprim17ROCPRIM_400000_NS6detail17trampoline_kernelINS0_14default_configENS1_25partition_config_selectorILNS1_17partition_subalgoE6EiNS0_10empty_typeEbEEZZNS1_14partition_implILS5_6ELb0ES3_mN6thrust23THRUST_200600_302600_NS6detail15normal_iteratorINSA_10device_ptrIiEEEEPS6_SG_NS0_5tupleIJSF_S6_EEENSH_IJSG_SG_EEES6_PlJNSB_9not_fun_tI6is_oddIiEEEEEE10hipError_tPvRmT3_T4_T5_T6_T7_T9_mT8_P12ihipStream_tbDpT10_ENKUlT_T0_E_clISt17integral_constantIbLb1EES17_IbLb0EEEEDaS13_S14_EUlS13_E_NS1_11comp_targetILNS1_3genE9ELNS1_11target_archE1100ELNS1_3gpuE3ELNS1_3repE0EEENS1_30default_config_static_selectorELNS0_4arch9wavefront6targetE0EEEvT1_.num_agpr, 0
	.set _ZN7rocprim17ROCPRIM_400000_NS6detail17trampoline_kernelINS0_14default_configENS1_25partition_config_selectorILNS1_17partition_subalgoE6EiNS0_10empty_typeEbEEZZNS1_14partition_implILS5_6ELb0ES3_mN6thrust23THRUST_200600_302600_NS6detail15normal_iteratorINSA_10device_ptrIiEEEEPS6_SG_NS0_5tupleIJSF_S6_EEENSH_IJSG_SG_EEES6_PlJNSB_9not_fun_tI6is_oddIiEEEEEE10hipError_tPvRmT3_T4_T5_T6_T7_T9_mT8_P12ihipStream_tbDpT10_ENKUlT_T0_E_clISt17integral_constantIbLb1EES17_IbLb0EEEEDaS13_S14_EUlS13_E_NS1_11comp_targetILNS1_3genE9ELNS1_11target_archE1100ELNS1_3gpuE3ELNS1_3repE0EEENS1_30default_config_static_selectorELNS0_4arch9wavefront6targetE0EEEvT1_.numbered_sgpr, 0
	.set _ZN7rocprim17ROCPRIM_400000_NS6detail17trampoline_kernelINS0_14default_configENS1_25partition_config_selectorILNS1_17partition_subalgoE6EiNS0_10empty_typeEbEEZZNS1_14partition_implILS5_6ELb0ES3_mN6thrust23THRUST_200600_302600_NS6detail15normal_iteratorINSA_10device_ptrIiEEEEPS6_SG_NS0_5tupleIJSF_S6_EEENSH_IJSG_SG_EEES6_PlJNSB_9not_fun_tI6is_oddIiEEEEEE10hipError_tPvRmT3_T4_T5_T6_T7_T9_mT8_P12ihipStream_tbDpT10_ENKUlT_T0_E_clISt17integral_constantIbLb1EES17_IbLb0EEEEDaS13_S14_EUlS13_E_NS1_11comp_targetILNS1_3genE9ELNS1_11target_archE1100ELNS1_3gpuE3ELNS1_3repE0EEENS1_30default_config_static_selectorELNS0_4arch9wavefront6targetE0EEEvT1_.num_named_barrier, 0
	.set _ZN7rocprim17ROCPRIM_400000_NS6detail17trampoline_kernelINS0_14default_configENS1_25partition_config_selectorILNS1_17partition_subalgoE6EiNS0_10empty_typeEbEEZZNS1_14partition_implILS5_6ELb0ES3_mN6thrust23THRUST_200600_302600_NS6detail15normal_iteratorINSA_10device_ptrIiEEEEPS6_SG_NS0_5tupleIJSF_S6_EEENSH_IJSG_SG_EEES6_PlJNSB_9not_fun_tI6is_oddIiEEEEEE10hipError_tPvRmT3_T4_T5_T6_T7_T9_mT8_P12ihipStream_tbDpT10_ENKUlT_T0_E_clISt17integral_constantIbLb1EES17_IbLb0EEEEDaS13_S14_EUlS13_E_NS1_11comp_targetILNS1_3genE9ELNS1_11target_archE1100ELNS1_3gpuE3ELNS1_3repE0EEENS1_30default_config_static_selectorELNS0_4arch9wavefront6targetE0EEEvT1_.private_seg_size, 0
	.set _ZN7rocprim17ROCPRIM_400000_NS6detail17trampoline_kernelINS0_14default_configENS1_25partition_config_selectorILNS1_17partition_subalgoE6EiNS0_10empty_typeEbEEZZNS1_14partition_implILS5_6ELb0ES3_mN6thrust23THRUST_200600_302600_NS6detail15normal_iteratorINSA_10device_ptrIiEEEEPS6_SG_NS0_5tupleIJSF_S6_EEENSH_IJSG_SG_EEES6_PlJNSB_9not_fun_tI6is_oddIiEEEEEE10hipError_tPvRmT3_T4_T5_T6_T7_T9_mT8_P12ihipStream_tbDpT10_ENKUlT_T0_E_clISt17integral_constantIbLb1EES17_IbLb0EEEEDaS13_S14_EUlS13_E_NS1_11comp_targetILNS1_3genE9ELNS1_11target_archE1100ELNS1_3gpuE3ELNS1_3repE0EEENS1_30default_config_static_selectorELNS0_4arch9wavefront6targetE0EEEvT1_.uses_vcc, 0
	.set _ZN7rocprim17ROCPRIM_400000_NS6detail17trampoline_kernelINS0_14default_configENS1_25partition_config_selectorILNS1_17partition_subalgoE6EiNS0_10empty_typeEbEEZZNS1_14partition_implILS5_6ELb0ES3_mN6thrust23THRUST_200600_302600_NS6detail15normal_iteratorINSA_10device_ptrIiEEEEPS6_SG_NS0_5tupleIJSF_S6_EEENSH_IJSG_SG_EEES6_PlJNSB_9not_fun_tI6is_oddIiEEEEEE10hipError_tPvRmT3_T4_T5_T6_T7_T9_mT8_P12ihipStream_tbDpT10_ENKUlT_T0_E_clISt17integral_constantIbLb1EES17_IbLb0EEEEDaS13_S14_EUlS13_E_NS1_11comp_targetILNS1_3genE9ELNS1_11target_archE1100ELNS1_3gpuE3ELNS1_3repE0EEENS1_30default_config_static_selectorELNS0_4arch9wavefront6targetE0EEEvT1_.uses_flat_scratch, 0
	.set _ZN7rocprim17ROCPRIM_400000_NS6detail17trampoline_kernelINS0_14default_configENS1_25partition_config_selectorILNS1_17partition_subalgoE6EiNS0_10empty_typeEbEEZZNS1_14partition_implILS5_6ELb0ES3_mN6thrust23THRUST_200600_302600_NS6detail15normal_iteratorINSA_10device_ptrIiEEEEPS6_SG_NS0_5tupleIJSF_S6_EEENSH_IJSG_SG_EEES6_PlJNSB_9not_fun_tI6is_oddIiEEEEEE10hipError_tPvRmT3_T4_T5_T6_T7_T9_mT8_P12ihipStream_tbDpT10_ENKUlT_T0_E_clISt17integral_constantIbLb1EES17_IbLb0EEEEDaS13_S14_EUlS13_E_NS1_11comp_targetILNS1_3genE9ELNS1_11target_archE1100ELNS1_3gpuE3ELNS1_3repE0EEENS1_30default_config_static_selectorELNS0_4arch9wavefront6targetE0EEEvT1_.has_dyn_sized_stack, 0
	.set _ZN7rocprim17ROCPRIM_400000_NS6detail17trampoline_kernelINS0_14default_configENS1_25partition_config_selectorILNS1_17partition_subalgoE6EiNS0_10empty_typeEbEEZZNS1_14partition_implILS5_6ELb0ES3_mN6thrust23THRUST_200600_302600_NS6detail15normal_iteratorINSA_10device_ptrIiEEEEPS6_SG_NS0_5tupleIJSF_S6_EEENSH_IJSG_SG_EEES6_PlJNSB_9not_fun_tI6is_oddIiEEEEEE10hipError_tPvRmT3_T4_T5_T6_T7_T9_mT8_P12ihipStream_tbDpT10_ENKUlT_T0_E_clISt17integral_constantIbLb1EES17_IbLb0EEEEDaS13_S14_EUlS13_E_NS1_11comp_targetILNS1_3genE9ELNS1_11target_archE1100ELNS1_3gpuE3ELNS1_3repE0EEENS1_30default_config_static_selectorELNS0_4arch9wavefront6targetE0EEEvT1_.has_recursion, 0
	.set _ZN7rocprim17ROCPRIM_400000_NS6detail17trampoline_kernelINS0_14default_configENS1_25partition_config_selectorILNS1_17partition_subalgoE6EiNS0_10empty_typeEbEEZZNS1_14partition_implILS5_6ELb0ES3_mN6thrust23THRUST_200600_302600_NS6detail15normal_iteratorINSA_10device_ptrIiEEEEPS6_SG_NS0_5tupleIJSF_S6_EEENSH_IJSG_SG_EEES6_PlJNSB_9not_fun_tI6is_oddIiEEEEEE10hipError_tPvRmT3_T4_T5_T6_T7_T9_mT8_P12ihipStream_tbDpT10_ENKUlT_T0_E_clISt17integral_constantIbLb1EES17_IbLb0EEEEDaS13_S14_EUlS13_E_NS1_11comp_targetILNS1_3genE9ELNS1_11target_archE1100ELNS1_3gpuE3ELNS1_3repE0EEENS1_30default_config_static_selectorELNS0_4arch9wavefront6targetE0EEEvT1_.has_indirect_call, 0
	.section	.AMDGPU.csdata,"",@progbits
; Kernel info:
; codeLenInByte = 0
; TotalNumSgprs: 0
; NumVgprs: 0
; ScratchSize: 0
; MemoryBound: 0
; FloatMode: 240
; IeeeMode: 1
; LDSByteSize: 0 bytes/workgroup (compile time only)
; SGPRBlocks: 0
; VGPRBlocks: 0
; NumSGPRsForWavesPerEU: 1
; NumVGPRsForWavesPerEU: 1
; Occupancy: 16
; WaveLimiterHint : 0
; COMPUTE_PGM_RSRC2:SCRATCH_EN: 0
; COMPUTE_PGM_RSRC2:USER_SGPR: 2
; COMPUTE_PGM_RSRC2:TRAP_HANDLER: 0
; COMPUTE_PGM_RSRC2:TGID_X_EN: 1
; COMPUTE_PGM_RSRC2:TGID_Y_EN: 0
; COMPUTE_PGM_RSRC2:TGID_Z_EN: 0
; COMPUTE_PGM_RSRC2:TIDIG_COMP_CNT: 0
	.section	.text._ZN7rocprim17ROCPRIM_400000_NS6detail17trampoline_kernelINS0_14default_configENS1_25partition_config_selectorILNS1_17partition_subalgoE6EiNS0_10empty_typeEbEEZZNS1_14partition_implILS5_6ELb0ES3_mN6thrust23THRUST_200600_302600_NS6detail15normal_iteratorINSA_10device_ptrIiEEEEPS6_SG_NS0_5tupleIJSF_S6_EEENSH_IJSG_SG_EEES6_PlJNSB_9not_fun_tI6is_oddIiEEEEEE10hipError_tPvRmT3_T4_T5_T6_T7_T9_mT8_P12ihipStream_tbDpT10_ENKUlT_T0_E_clISt17integral_constantIbLb1EES17_IbLb0EEEEDaS13_S14_EUlS13_E_NS1_11comp_targetILNS1_3genE8ELNS1_11target_archE1030ELNS1_3gpuE2ELNS1_3repE0EEENS1_30default_config_static_selectorELNS0_4arch9wavefront6targetE0EEEvT1_,"axG",@progbits,_ZN7rocprim17ROCPRIM_400000_NS6detail17trampoline_kernelINS0_14default_configENS1_25partition_config_selectorILNS1_17partition_subalgoE6EiNS0_10empty_typeEbEEZZNS1_14partition_implILS5_6ELb0ES3_mN6thrust23THRUST_200600_302600_NS6detail15normal_iteratorINSA_10device_ptrIiEEEEPS6_SG_NS0_5tupleIJSF_S6_EEENSH_IJSG_SG_EEES6_PlJNSB_9not_fun_tI6is_oddIiEEEEEE10hipError_tPvRmT3_T4_T5_T6_T7_T9_mT8_P12ihipStream_tbDpT10_ENKUlT_T0_E_clISt17integral_constantIbLb1EES17_IbLb0EEEEDaS13_S14_EUlS13_E_NS1_11comp_targetILNS1_3genE8ELNS1_11target_archE1030ELNS1_3gpuE2ELNS1_3repE0EEENS1_30default_config_static_selectorELNS0_4arch9wavefront6targetE0EEEvT1_,comdat
	.protected	_ZN7rocprim17ROCPRIM_400000_NS6detail17trampoline_kernelINS0_14default_configENS1_25partition_config_selectorILNS1_17partition_subalgoE6EiNS0_10empty_typeEbEEZZNS1_14partition_implILS5_6ELb0ES3_mN6thrust23THRUST_200600_302600_NS6detail15normal_iteratorINSA_10device_ptrIiEEEEPS6_SG_NS0_5tupleIJSF_S6_EEENSH_IJSG_SG_EEES6_PlJNSB_9not_fun_tI6is_oddIiEEEEEE10hipError_tPvRmT3_T4_T5_T6_T7_T9_mT8_P12ihipStream_tbDpT10_ENKUlT_T0_E_clISt17integral_constantIbLb1EES17_IbLb0EEEEDaS13_S14_EUlS13_E_NS1_11comp_targetILNS1_3genE8ELNS1_11target_archE1030ELNS1_3gpuE2ELNS1_3repE0EEENS1_30default_config_static_selectorELNS0_4arch9wavefront6targetE0EEEvT1_ ; -- Begin function _ZN7rocprim17ROCPRIM_400000_NS6detail17trampoline_kernelINS0_14default_configENS1_25partition_config_selectorILNS1_17partition_subalgoE6EiNS0_10empty_typeEbEEZZNS1_14partition_implILS5_6ELb0ES3_mN6thrust23THRUST_200600_302600_NS6detail15normal_iteratorINSA_10device_ptrIiEEEEPS6_SG_NS0_5tupleIJSF_S6_EEENSH_IJSG_SG_EEES6_PlJNSB_9not_fun_tI6is_oddIiEEEEEE10hipError_tPvRmT3_T4_T5_T6_T7_T9_mT8_P12ihipStream_tbDpT10_ENKUlT_T0_E_clISt17integral_constantIbLb1EES17_IbLb0EEEEDaS13_S14_EUlS13_E_NS1_11comp_targetILNS1_3genE8ELNS1_11target_archE1030ELNS1_3gpuE2ELNS1_3repE0EEENS1_30default_config_static_selectorELNS0_4arch9wavefront6targetE0EEEvT1_
	.globl	_ZN7rocprim17ROCPRIM_400000_NS6detail17trampoline_kernelINS0_14default_configENS1_25partition_config_selectorILNS1_17partition_subalgoE6EiNS0_10empty_typeEbEEZZNS1_14partition_implILS5_6ELb0ES3_mN6thrust23THRUST_200600_302600_NS6detail15normal_iteratorINSA_10device_ptrIiEEEEPS6_SG_NS0_5tupleIJSF_S6_EEENSH_IJSG_SG_EEES6_PlJNSB_9not_fun_tI6is_oddIiEEEEEE10hipError_tPvRmT3_T4_T5_T6_T7_T9_mT8_P12ihipStream_tbDpT10_ENKUlT_T0_E_clISt17integral_constantIbLb1EES17_IbLb0EEEEDaS13_S14_EUlS13_E_NS1_11comp_targetILNS1_3genE8ELNS1_11target_archE1030ELNS1_3gpuE2ELNS1_3repE0EEENS1_30default_config_static_selectorELNS0_4arch9wavefront6targetE0EEEvT1_
	.p2align	8
	.type	_ZN7rocprim17ROCPRIM_400000_NS6detail17trampoline_kernelINS0_14default_configENS1_25partition_config_selectorILNS1_17partition_subalgoE6EiNS0_10empty_typeEbEEZZNS1_14partition_implILS5_6ELb0ES3_mN6thrust23THRUST_200600_302600_NS6detail15normal_iteratorINSA_10device_ptrIiEEEEPS6_SG_NS0_5tupleIJSF_S6_EEENSH_IJSG_SG_EEES6_PlJNSB_9not_fun_tI6is_oddIiEEEEEE10hipError_tPvRmT3_T4_T5_T6_T7_T9_mT8_P12ihipStream_tbDpT10_ENKUlT_T0_E_clISt17integral_constantIbLb1EES17_IbLb0EEEEDaS13_S14_EUlS13_E_NS1_11comp_targetILNS1_3genE8ELNS1_11target_archE1030ELNS1_3gpuE2ELNS1_3repE0EEENS1_30default_config_static_selectorELNS0_4arch9wavefront6targetE0EEEvT1_,@function
_ZN7rocprim17ROCPRIM_400000_NS6detail17trampoline_kernelINS0_14default_configENS1_25partition_config_selectorILNS1_17partition_subalgoE6EiNS0_10empty_typeEbEEZZNS1_14partition_implILS5_6ELb0ES3_mN6thrust23THRUST_200600_302600_NS6detail15normal_iteratorINSA_10device_ptrIiEEEEPS6_SG_NS0_5tupleIJSF_S6_EEENSH_IJSG_SG_EEES6_PlJNSB_9not_fun_tI6is_oddIiEEEEEE10hipError_tPvRmT3_T4_T5_T6_T7_T9_mT8_P12ihipStream_tbDpT10_ENKUlT_T0_E_clISt17integral_constantIbLb1EES17_IbLb0EEEEDaS13_S14_EUlS13_E_NS1_11comp_targetILNS1_3genE8ELNS1_11target_archE1030ELNS1_3gpuE2ELNS1_3repE0EEENS1_30default_config_static_selectorELNS0_4arch9wavefront6targetE0EEEvT1_: ; @_ZN7rocprim17ROCPRIM_400000_NS6detail17trampoline_kernelINS0_14default_configENS1_25partition_config_selectorILNS1_17partition_subalgoE6EiNS0_10empty_typeEbEEZZNS1_14partition_implILS5_6ELb0ES3_mN6thrust23THRUST_200600_302600_NS6detail15normal_iteratorINSA_10device_ptrIiEEEEPS6_SG_NS0_5tupleIJSF_S6_EEENSH_IJSG_SG_EEES6_PlJNSB_9not_fun_tI6is_oddIiEEEEEE10hipError_tPvRmT3_T4_T5_T6_T7_T9_mT8_P12ihipStream_tbDpT10_ENKUlT_T0_E_clISt17integral_constantIbLb1EES17_IbLb0EEEEDaS13_S14_EUlS13_E_NS1_11comp_targetILNS1_3genE8ELNS1_11target_archE1030ELNS1_3gpuE2ELNS1_3repE0EEENS1_30default_config_static_selectorELNS0_4arch9wavefront6targetE0EEEvT1_
; %bb.0:
	.section	.rodata,"a",@progbits
	.p2align	6, 0x0
	.amdhsa_kernel _ZN7rocprim17ROCPRIM_400000_NS6detail17trampoline_kernelINS0_14default_configENS1_25partition_config_selectorILNS1_17partition_subalgoE6EiNS0_10empty_typeEbEEZZNS1_14partition_implILS5_6ELb0ES3_mN6thrust23THRUST_200600_302600_NS6detail15normal_iteratorINSA_10device_ptrIiEEEEPS6_SG_NS0_5tupleIJSF_S6_EEENSH_IJSG_SG_EEES6_PlJNSB_9not_fun_tI6is_oddIiEEEEEE10hipError_tPvRmT3_T4_T5_T6_T7_T9_mT8_P12ihipStream_tbDpT10_ENKUlT_T0_E_clISt17integral_constantIbLb1EES17_IbLb0EEEEDaS13_S14_EUlS13_E_NS1_11comp_targetILNS1_3genE8ELNS1_11target_archE1030ELNS1_3gpuE2ELNS1_3repE0EEENS1_30default_config_static_selectorELNS0_4arch9wavefront6targetE0EEEvT1_
		.amdhsa_group_segment_fixed_size 0
		.amdhsa_private_segment_fixed_size 0
		.amdhsa_kernarg_size 112
		.amdhsa_user_sgpr_count 2
		.amdhsa_user_sgpr_dispatch_ptr 0
		.amdhsa_user_sgpr_queue_ptr 0
		.amdhsa_user_sgpr_kernarg_segment_ptr 1
		.amdhsa_user_sgpr_dispatch_id 0
		.amdhsa_user_sgpr_private_segment_size 0
		.amdhsa_wavefront_size32 1
		.amdhsa_uses_dynamic_stack 0
		.amdhsa_enable_private_segment 0
		.amdhsa_system_sgpr_workgroup_id_x 1
		.amdhsa_system_sgpr_workgroup_id_y 0
		.amdhsa_system_sgpr_workgroup_id_z 0
		.amdhsa_system_sgpr_workgroup_info 0
		.amdhsa_system_vgpr_workitem_id 0
		.amdhsa_next_free_vgpr 1
		.amdhsa_next_free_sgpr 1
		.amdhsa_reserve_vcc 0
		.amdhsa_float_round_mode_32 0
		.amdhsa_float_round_mode_16_64 0
		.amdhsa_float_denorm_mode_32 3
		.amdhsa_float_denorm_mode_16_64 3
		.amdhsa_fp16_overflow 0
		.amdhsa_workgroup_processor_mode 1
		.amdhsa_memory_ordered 1
		.amdhsa_forward_progress 1
		.amdhsa_inst_pref_size 0
		.amdhsa_round_robin_scheduling 0
		.amdhsa_exception_fp_ieee_invalid_op 0
		.amdhsa_exception_fp_denorm_src 0
		.amdhsa_exception_fp_ieee_div_zero 0
		.amdhsa_exception_fp_ieee_overflow 0
		.amdhsa_exception_fp_ieee_underflow 0
		.amdhsa_exception_fp_ieee_inexact 0
		.amdhsa_exception_int_div_zero 0
	.end_amdhsa_kernel
	.section	.text._ZN7rocprim17ROCPRIM_400000_NS6detail17trampoline_kernelINS0_14default_configENS1_25partition_config_selectorILNS1_17partition_subalgoE6EiNS0_10empty_typeEbEEZZNS1_14partition_implILS5_6ELb0ES3_mN6thrust23THRUST_200600_302600_NS6detail15normal_iteratorINSA_10device_ptrIiEEEEPS6_SG_NS0_5tupleIJSF_S6_EEENSH_IJSG_SG_EEES6_PlJNSB_9not_fun_tI6is_oddIiEEEEEE10hipError_tPvRmT3_T4_T5_T6_T7_T9_mT8_P12ihipStream_tbDpT10_ENKUlT_T0_E_clISt17integral_constantIbLb1EES17_IbLb0EEEEDaS13_S14_EUlS13_E_NS1_11comp_targetILNS1_3genE8ELNS1_11target_archE1030ELNS1_3gpuE2ELNS1_3repE0EEENS1_30default_config_static_selectorELNS0_4arch9wavefront6targetE0EEEvT1_,"axG",@progbits,_ZN7rocprim17ROCPRIM_400000_NS6detail17trampoline_kernelINS0_14default_configENS1_25partition_config_selectorILNS1_17partition_subalgoE6EiNS0_10empty_typeEbEEZZNS1_14partition_implILS5_6ELb0ES3_mN6thrust23THRUST_200600_302600_NS6detail15normal_iteratorINSA_10device_ptrIiEEEEPS6_SG_NS0_5tupleIJSF_S6_EEENSH_IJSG_SG_EEES6_PlJNSB_9not_fun_tI6is_oddIiEEEEEE10hipError_tPvRmT3_T4_T5_T6_T7_T9_mT8_P12ihipStream_tbDpT10_ENKUlT_T0_E_clISt17integral_constantIbLb1EES17_IbLb0EEEEDaS13_S14_EUlS13_E_NS1_11comp_targetILNS1_3genE8ELNS1_11target_archE1030ELNS1_3gpuE2ELNS1_3repE0EEENS1_30default_config_static_selectorELNS0_4arch9wavefront6targetE0EEEvT1_,comdat
.Lfunc_end106:
	.size	_ZN7rocprim17ROCPRIM_400000_NS6detail17trampoline_kernelINS0_14default_configENS1_25partition_config_selectorILNS1_17partition_subalgoE6EiNS0_10empty_typeEbEEZZNS1_14partition_implILS5_6ELb0ES3_mN6thrust23THRUST_200600_302600_NS6detail15normal_iteratorINSA_10device_ptrIiEEEEPS6_SG_NS0_5tupleIJSF_S6_EEENSH_IJSG_SG_EEES6_PlJNSB_9not_fun_tI6is_oddIiEEEEEE10hipError_tPvRmT3_T4_T5_T6_T7_T9_mT8_P12ihipStream_tbDpT10_ENKUlT_T0_E_clISt17integral_constantIbLb1EES17_IbLb0EEEEDaS13_S14_EUlS13_E_NS1_11comp_targetILNS1_3genE8ELNS1_11target_archE1030ELNS1_3gpuE2ELNS1_3repE0EEENS1_30default_config_static_selectorELNS0_4arch9wavefront6targetE0EEEvT1_, .Lfunc_end106-_ZN7rocprim17ROCPRIM_400000_NS6detail17trampoline_kernelINS0_14default_configENS1_25partition_config_selectorILNS1_17partition_subalgoE6EiNS0_10empty_typeEbEEZZNS1_14partition_implILS5_6ELb0ES3_mN6thrust23THRUST_200600_302600_NS6detail15normal_iteratorINSA_10device_ptrIiEEEEPS6_SG_NS0_5tupleIJSF_S6_EEENSH_IJSG_SG_EEES6_PlJNSB_9not_fun_tI6is_oddIiEEEEEE10hipError_tPvRmT3_T4_T5_T6_T7_T9_mT8_P12ihipStream_tbDpT10_ENKUlT_T0_E_clISt17integral_constantIbLb1EES17_IbLb0EEEEDaS13_S14_EUlS13_E_NS1_11comp_targetILNS1_3genE8ELNS1_11target_archE1030ELNS1_3gpuE2ELNS1_3repE0EEENS1_30default_config_static_selectorELNS0_4arch9wavefront6targetE0EEEvT1_
                                        ; -- End function
	.set _ZN7rocprim17ROCPRIM_400000_NS6detail17trampoline_kernelINS0_14default_configENS1_25partition_config_selectorILNS1_17partition_subalgoE6EiNS0_10empty_typeEbEEZZNS1_14partition_implILS5_6ELb0ES3_mN6thrust23THRUST_200600_302600_NS6detail15normal_iteratorINSA_10device_ptrIiEEEEPS6_SG_NS0_5tupleIJSF_S6_EEENSH_IJSG_SG_EEES6_PlJNSB_9not_fun_tI6is_oddIiEEEEEE10hipError_tPvRmT3_T4_T5_T6_T7_T9_mT8_P12ihipStream_tbDpT10_ENKUlT_T0_E_clISt17integral_constantIbLb1EES17_IbLb0EEEEDaS13_S14_EUlS13_E_NS1_11comp_targetILNS1_3genE8ELNS1_11target_archE1030ELNS1_3gpuE2ELNS1_3repE0EEENS1_30default_config_static_selectorELNS0_4arch9wavefront6targetE0EEEvT1_.num_vgpr, 0
	.set _ZN7rocprim17ROCPRIM_400000_NS6detail17trampoline_kernelINS0_14default_configENS1_25partition_config_selectorILNS1_17partition_subalgoE6EiNS0_10empty_typeEbEEZZNS1_14partition_implILS5_6ELb0ES3_mN6thrust23THRUST_200600_302600_NS6detail15normal_iteratorINSA_10device_ptrIiEEEEPS6_SG_NS0_5tupleIJSF_S6_EEENSH_IJSG_SG_EEES6_PlJNSB_9not_fun_tI6is_oddIiEEEEEE10hipError_tPvRmT3_T4_T5_T6_T7_T9_mT8_P12ihipStream_tbDpT10_ENKUlT_T0_E_clISt17integral_constantIbLb1EES17_IbLb0EEEEDaS13_S14_EUlS13_E_NS1_11comp_targetILNS1_3genE8ELNS1_11target_archE1030ELNS1_3gpuE2ELNS1_3repE0EEENS1_30default_config_static_selectorELNS0_4arch9wavefront6targetE0EEEvT1_.num_agpr, 0
	.set _ZN7rocprim17ROCPRIM_400000_NS6detail17trampoline_kernelINS0_14default_configENS1_25partition_config_selectorILNS1_17partition_subalgoE6EiNS0_10empty_typeEbEEZZNS1_14partition_implILS5_6ELb0ES3_mN6thrust23THRUST_200600_302600_NS6detail15normal_iteratorINSA_10device_ptrIiEEEEPS6_SG_NS0_5tupleIJSF_S6_EEENSH_IJSG_SG_EEES6_PlJNSB_9not_fun_tI6is_oddIiEEEEEE10hipError_tPvRmT3_T4_T5_T6_T7_T9_mT8_P12ihipStream_tbDpT10_ENKUlT_T0_E_clISt17integral_constantIbLb1EES17_IbLb0EEEEDaS13_S14_EUlS13_E_NS1_11comp_targetILNS1_3genE8ELNS1_11target_archE1030ELNS1_3gpuE2ELNS1_3repE0EEENS1_30default_config_static_selectorELNS0_4arch9wavefront6targetE0EEEvT1_.numbered_sgpr, 0
	.set _ZN7rocprim17ROCPRIM_400000_NS6detail17trampoline_kernelINS0_14default_configENS1_25partition_config_selectorILNS1_17partition_subalgoE6EiNS0_10empty_typeEbEEZZNS1_14partition_implILS5_6ELb0ES3_mN6thrust23THRUST_200600_302600_NS6detail15normal_iteratorINSA_10device_ptrIiEEEEPS6_SG_NS0_5tupleIJSF_S6_EEENSH_IJSG_SG_EEES6_PlJNSB_9not_fun_tI6is_oddIiEEEEEE10hipError_tPvRmT3_T4_T5_T6_T7_T9_mT8_P12ihipStream_tbDpT10_ENKUlT_T0_E_clISt17integral_constantIbLb1EES17_IbLb0EEEEDaS13_S14_EUlS13_E_NS1_11comp_targetILNS1_3genE8ELNS1_11target_archE1030ELNS1_3gpuE2ELNS1_3repE0EEENS1_30default_config_static_selectorELNS0_4arch9wavefront6targetE0EEEvT1_.num_named_barrier, 0
	.set _ZN7rocprim17ROCPRIM_400000_NS6detail17trampoline_kernelINS0_14default_configENS1_25partition_config_selectorILNS1_17partition_subalgoE6EiNS0_10empty_typeEbEEZZNS1_14partition_implILS5_6ELb0ES3_mN6thrust23THRUST_200600_302600_NS6detail15normal_iteratorINSA_10device_ptrIiEEEEPS6_SG_NS0_5tupleIJSF_S6_EEENSH_IJSG_SG_EEES6_PlJNSB_9not_fun_tI6is_oddIiEEEEEE10hipError_tPvRmT3_T4_T5_T6_T7_T9_mT8_P12ihipStream_tbDpT10_ENKUlT_T0_E_clISt17integral_constantIbLb1EES17_IbLb0EEEEDaS13_S14_EUlS13_E_NS1_11comp_targetILNS1_3genE8ELNS1_11target_archE1030ELNS1_3gpuE2ELNS1_3repE0EEENS1_30default_config_static_selectorELNS0_4arch9wavefront6targetE0EEEvT1_.private_seg_size, 0
	.set _ZN7rocprim17ROCPRIM_400000_NS6detail17trampoline_kernelINS0_14default_configENS1_25partition_config_selectorILNS1_17partition_subalgoE6EiNS0_10empty_typeEbEEZZNS1_14partition_implILS5_6ELb0ES3_mN6thrust23THRUST_200600_302600_NS6detail15normal_iteratorINSA_10device_ptrIiEEEEPS6_SG_NS0_5tupleIJSF_S6_EEENSH_IJSG_SG_EEES6_PlJNSB_9not_fun_tI6is_oddIiEEEEEE10hipError_tPvRmT3_T4_T5_T6_T7_T9_mT8_P12ihipStream_tbDpT10_ENKUlT_T0_E_clISt17integral_constantIbLb1EES17_IbLb0EEEEDaS13_S14_EUlS13_E_NS1_11comp_targetILNS1_3genE8ELNS1_11target_archE1030ELNS1_3gpuE2ELNS1_3repE0EEENS1_30default_config_static_selectorELNS0_4arch9wavefront6targetE0EEEvT1_.uses_vcc, 0
	.set _ZN7rocprim17ROCPRIM_400000_NS6detail17trampoline_kernelINS0_14default_configENS1_25partition_config_selectorILNS1_17partition_subalgoE6EiNS0_10empty_typeEbEEZZNS1_14partition_implILS5_6ELb0ES3_mN6thrust23THRUST_200600_302600_NS6detail15normal_iteratorINSA_10device_ptrIiEEEEPS6_SG_NS0_5tupleIJSF_S6_EEENSH_IJSG_SG_EEES6_PlJNSB_9not_fun_tI6is_oddIiEEEEEE10hipError_tPvRmT3_T4_T5_T6_T7_T9_mT8_P12ihipStream_tbDpT10_ENKUlT_T0_E_clISt17integral_constantIbLb1EES17_IbLb0EEEEDaS13_S14_EUlS13_E_NS1_11comp_targetILNS1_3genE8ELNS1_11target_archE1030ELNS1_3gpuE2ELNS1_3repE0EEENS1_30default_config_static_selectorELNS0_4arch9wavefront6targetE0EEEvT1_.uses_flat_scratch, 0
	.set _ZN7rocprim17ROCPRIM_400000_NS6detail17trampoline_kernelINS0_14default_configENS1_25partition_config_selectorILNS1_17partition_subalgoE6EiNS0_10empty_typeEbEEZZNS1_14partition_implILS5_6ELb0ES3_mN6thrust23THRUST_200600_302600_NS6detail15normal_iteratorINSA_10device_ptrIiEEEEPS6_SG_NS0_5tupleIJSF_S6_EEENSH_IJSG_SG_EEES6_PlJNSB_9not_fun_tI6is_oddIiEEEEEE10hipError_tPvRmT3_T4_T5_T6_T7_T9_mT8_P12ihipStream_tbDpT10_ENKUlT_T0_E_clISt17integral_constantIbLb1EES17_IbLb0EEEEDaS13_S14_EUlS13_E_NS1_11comp_targetILNS1_3genE8ELNS1_11target_archE1030ELNS1_3gpuE2ELNS1_3repE0EEENS1_30default_config_static_selectorELNS0_4arch9wavefront6targetE0EEEvT1_.has_dyn_sized_stack, 0
	.set _ZN7rocprim17ROCPRIM_400000_NS6detail17trampoline_kernelINS0_14default_configENS1_25partition_config_selectorILNS1_17partition_subalgoE6EiNS0_10empty_typeEbEEZZNS1_14partition_implILS5_6ELb0ES3_mN6thrust23THRUST_200600_302600_NS6detail15normal_iteratorINSA_10device_ptrIiEEEEPS6_SG_NS0_5tupleIJSF_S6_EEENSH_IJSG_SG_EEES6_PlJNSB_9not_fun_tI6is_oddIiEEEEEE10hipError_tPvRmT3_T4_T5_T6_T7_T9_mT8_P12ihipStream_tbDpT10_ENKUlT_T0_E_clISt17integral_constantIbLb1EES17_IbLb0EEEEDaS13_S14_EUlS13_E_NS1_11comp_targetILNS1_3genE8ELNS1_11target_archE1030ELNS1_3gpuE2ELNS1_3repE0EEENS1_30default_config_static_selectorELNS0_4arch9wavefront6targetE0EEEvT1_.has_recursion, 0
	.set _ZN7rocprim17ROCPRIM_400000_NS6detail17trampoline_kernelINS0_14default_configENS1_25partition_config_selectorILNS1_17partition_subalgoE6EiNS0_10empty_typeEbEEZZNS1_14partition_implILS5_6ELb0ES3_mN6thrust23THRUST_200600_302600_NS6detail15normal_iteratorINSA_10device_ptrIiEEEEPS6_SG_NS0_5tupleIJSF_S6_EEENSH_IJSG_SG_EEES6_PlJNSB_9not_fun_tI6is_oddIiEEEEEE10hipError_tPvRmT3_T4_T5_T6_T7_T9_mT8_P12ihipStream_tbDpT10_ENKUlT_T0_E_clISt17integral_constantIbLb1EES17_IbLb0EEEEDaS13_S14_EUlS13_E_NS1_11comp_targetILNS1_3genE8ELNS1_11target_archE1030ELNS1_3gpuE2ELNS1_3repE0EEENS1_30default_config_static_selectorELNS0_4arch9wavefront6targetE0EEEvT1_.has_indirect_call, 0
	.section	.AMDGPU.csdata,"",@progbits
; Kernel info:
; codeLenInByte = 0
; TotalNumSgprs: 0
; NumVgprs: 0
; ScratchSize: 0
; MemoryBound: 0
; FloatMode: 240
; IeeeMode: 1
; LDSByteSize: 0 bytes/workgroup (compile time only)
; SGPRBlocks: 0
; VGPRBlocks: 0
; NumSGPRsForWavesPerEU: 1
; NumVGPRsForWavesPerEU: 1
; Occupancy: 16
; WaveLimiterHint : 0
; COMPUTE_PGM_RSRC2:SCRATCH_EN: 0
; COMPUTE_PGM_RSRC2:USER_SGPR: 2
; COMPUTE_PGM_RSRC2:TRAP_HANDLER: 0
; COMPUTE_PGM_RSRC2:TGID_X_EN: 1
; COMPUTE_PGM_RSRC2:TGID_Y_EN: 0
; COMPUTE_PGM_RSRC2:TGID_Z_EN: 0
; COMPUTE_PGM_RSRC2:TIDIG_COMP_CNT: 0
	.section	.text._ZN7rocprim17ROCPRIM_400000_NS6detail17trampoline_kernelINS0_14default_configENS1_25partition_config_selectorILNS1_17partition_subalgoE6EiNS0_10empty_typeEbEEZZNS1_14partition_implILS5_6ELb0ES3_mN6thrust23THRUST_200600_302600_NS6detail15normal_iteratorINSA_10device_ptrIiEEEEPS6_SG_NS0_5tupleIJSF_S6_EEENSH_IJSG_SG_EEES6_PlJNSB_9not_fun_tI6is_oddIiEEEEEE10hipError_tPvRmT3_T4_T5_T6_T7_T9_mT8_P12ihipStream_tbDpT10_ENKUlT_T0_E_clISt17integral_constantIbLb0EES17_IbLb1EEEEDaS13_S14_EUlS13_E_NS1_11comp_targetILNS1_3genE0ELNS1_11target_archE4294967295ELNS1_3gpuE0ELNS1_3repE0EEENS1_30default_config_static_selectorELNS0_4arch9wavefront6targetE0EEEvT1_,"axG",@progbits,_ZN7rocprim17ROCPRIM_400000_NS6detail17trampoline_kernelINS0_14default_configENS1_25partition_config_selectorILNS1_17partition_subalgoE6EiNS0_10empty_typeEbEEZZNS1_14partition_implILS5_6ELb0ES3_mN6thrust23THRUST_200600_302600_NS6detail15normal_iteratorINSA_10device_ptrIiEEEEPS6_SG_NS0_5tupleIJSF_S6_EEENSH_IJSG_SG_EEES6_PlJNSB_9not_fun_tI6is_oddIiEEEEEE10hipError_tPvRmT3_T4_T5_T6_T7_T9_mT8_P12ihipStream_tbDpT10_ENKUlT_T0_E_clISt17integral_constantIbLb0EES17_IbLb1EEEEDaS13_S14_EUlS13_E_NS1_11comp_targetILNS1_3genE0ELNS1_11target_archE4294967295ELNS1_3gpuE0ELNS1_3repE0EEENS1_30default_config_static_selectorELNS0_4arch9wavefront6targetE0EEEvT1_,comdat
	.protected	_ZN7rocprim17ROCPRIM_400000_NS6detail17trampoline_kernelINS0_14default_configENS1_25partition_config_selectorILNS1_17partition_subalgoE6EiNS0_10empty_typeEbEEZZNS1_14partition_implILS5_6ELb0ES3_mN6thrust23THRUST_200600_302600_NS6detail15normal_iteratorINSA_10device_ptrIiEEEEPS6_SG_NS0_5tupleIJSF_S6_EEENSH_IJSG_SG_EEES6_PlJNSB_9not_fun_tI6is_oddIiEEEEEE10hipError_tPvRmT3_T4_T5_T6_T7_T9_mT8_P12ihipStream_tbDpT10_ENKUlT_T0_E_clISt17integral_constantIbLb0EES17_IbLb1EEEEDaS13_S14_EUlS13_E_NS1_11comp_targetILNS1_3genE0ELNS1_11target_archE4294967295ELNS1_3gpuE0ELNS1_3repE0EEENS1_30default_config_static_selectorELNS0_4arch9wavefront6targetE0EEEvT1_ ; -- Begin function _ZN7rocprim17ROCPRIM_400000_NS6detail17trampoline_kernelINS0_14default_configENS1_25partition_config_selectorILNS1_17partition_subalgoE6EiNS0_10empty_typeEbEEZZNS1_14partition_implILS5_6ELb0ES3_mN6thrust23THRUST_200600_302600_NS6detail15normal_iteratorINSA_10device_ptrIiEEEEPS6_SG_NS0_5tupleIJSF_S6_EEENSH_IJSG_SG_EEES6_PlJNSB_9not_fun_tI6is_oddIiEEEEEE10hipError_tPvRmT3_T4_T5_T6_T7_T9_mT8_P12ihipStream_tbDpT10_ENKUlT_T0_E_clISt17integral_constantIbLb0EES17_IbLb1EEEEDaS13_S14_EUlS13_E_NS1_11comp_targetILNS1_3genE0ELNS1_11target_archE4294967295ELNS1_3gpuE0ELNS1_3repE0EEENS1_30default_config_static_selectorELNS0_4arch9wavefront6targetE0EEEvT1_
	.globl	_ZN7rocprim17ROCPRIM_400000_NS6detail17trampoline_kernelINS0_14default_configENS1_25partition_config_selectorILNS1_17partition_subalgoE6EiNS0_10empty_typeEbEEZZNS1_14partition_implILS5_6ELb0ES3_mN6thrust23THRUST_200600_302600_NS6detail15normal_iteratorINSA_10device_ptrIiEEEEPS6_SG_NS0_5tupleIJSF_S6_EEENSH_IJSG_SG_EEES6_PlJNSB_9not_fun_tI6is_oddIiEEEEEE10hipError_tPvRmT3_T4_T5_T6_T7_T9_mT8_P12ihipStream_tbDpT10_ENKUlT_T0_E_clISt17integral_constantIbLb0EES17_IbLb1EEEEDaS13_S14_EUlS13_E_NS1_11comp_targetILNS1_3genE0ELNS1_11target_archE4294967295ELNS1_3gpuE0ELNS1_3repE0EEENS1_30default_config_static_selectorELNS0_4arch9wavefront6targetE0EEEvT1_
	.p2align	8
	.type	_ZN7rocprim17ROCPRIM_400000_NS6detail17trampoline_kernelINS0_14default_configENS1_25partition_config_selectorILNS1_17partition_subalgoE6EiNS0_10empty_typeEbEEZZNS1_14partition_implILS5_6ELb0ES3_mN6thrust23THRUST_200600_302600_NS6detail15normal_iteratorINSA_10device_ptrIiEEEEPS6_SG_NS0_5tupleIJSF_S6_EEENSH_IJSG_SG_EEES6_PlJNSB_9not_fun_tI6is_oddIiEEEEEE10hipError_tPvRmT3_T4_T5_T6_T7_T9_mT8_P12ihipStream_tbDpT10_ENKUlT_T0_E_clISt17integral_constantIbLb0EES17_IbLb1EEEEDaS13_S14_EUlS13_E_NS1_11comp_targetILNS1_3genE0ELNS1_11target_archE4294967295ELNS1_3gpuE0ELNS1_3repE0EEENS1_30default_config_static_selectorELNS0_4arch9wavefront6targetE0EEEvT1_,@function
_ZN7rocprim17ROCPRIM_400000_NS6detail17trampoline_kernelINS0_14default_configENS1_25partition_config_selectorILNS1_17partition_subalgoE6EiNS0_10empty_typeEbEEZZNS1_14partition_implILS5_6ELb0ES3_mN6thrust23THRUST_200600_302600_NS6detail15normal_iteratorINSA_10device_ptrIiEEEEPS6_SG_NS0_5tupleIJSF_S6_EEENSH_IJSG_SG_EEES6_PlJNSB_9not_fun_tI6is_oddIiEEEEEE10hipError_tPvRmT3_T4_T5_T6_T7_T9_mT8_P12ihipStream_tbDpT10_ENKUlT_T0_E_clISt17integral_constantIbLb0EES17_IbLb1EEEEDaS13_S14_EUlS13_E_NS1_11comp_targetILNS1_3genE0ELNS1_11target_archE4294967295ELNS1_3gpuE0ELNS1_3repE0EEENS1_30default_config_static_selectorELNS0_4arch9wavefront6targetE0EEEvT1_: ; @_ZN7rocprim17ROCPRIM_400000_NS6detail17trampoline_kernelINS0_14default_configENS1_25partition_config_selectorILNS1_17partition_subalgoE6EiNS0_10empty_typeEbEEZZNS1_14partition_implILS5_6ELb0ES3_mN6thrust23THRUST_200600_302600_NS6detail15normal_iteratorINSA_10device_ptrIiEEEEPS6_SG_NS0_5tupleIJSF_S6_EEENSH_IJSG_SG_EEES6_PlJNSB_9not_fun_tI6is_oddIiEEEEEE10hipError_tPvRmT3_T4_T5_T6_T7_T9_mT8_P12ihipStream_tbDpT10_ENKUlT_T0_E_clISt17integral_constantIbLb0EES17_IbLb1EEEEDaS13_S14_EUlS13_E_NS1_11comp_targetILNS1_3genE0ELNS1_11target_archE4294967295ELNS1_3gpuE0ELNS1_3repE0EEENS1_30default_config_static_selectorELNS0_4arch9wavefront6targetE0EEEvT1_
; %bb.0:
	.section	.rodata,"a",@progbits
	.p2align	6, 0x0
	.amdhsa_kernel _ZN7rocprim17ROCPRIM_400000_NS6detail17trampoline_kernelINS0_14default_configENS1_25partition_config_selectorILNS1_17partition_subalgoE6EiNS0_10empty_typeEbEEZZNS1_14partition_implILS5_6ELb0ES3_mN6thrust23THRUST_200600_302600_NS6detail15normal_iteratorINSA_10device_ptrIiEEEEPS6_SG_NS0_5tupleIJSF_S6_EEENSH_IJSG_SG_EEES6_PlJNSB_9not_fun_tI6is_oddIiEEEEEE10hipError_tPvRmT3_T4_T5_T6_T7_T9_mT8_P12ihipStream_tbDpT10_ENKUlT_T0_E_clISt17integral_constantIbLb0EES17_IbLb1EEEEDaS13_S14_EUlS13_E_NS1_11comp_targetILNS1_3genE0ELNS1_11target_archE4294967295ELNS1_3gpuE0ELNS1_3repE0EEENS1_30default_config_static_selectorELNS0_4arch9wavefront6targetE0EEEvT1_
		.amdhsa_group_segment_fixed_size 0
		.amdhsa_private_segment_fixed_size 0
		.amdhsa_kernarg_size 128
		.amdhsa_user_sgpr_count 2
		.amdhsa_user_sgpr_dispatch_ptr 0
		.amdhsa_user_sgpr_queue_ptr 0
		.amdhsa_user_sgpr_kernarg_segment_ptr 1
		.amdhsa_user_sgpr_dispatch_id 0
		.amdhsa_user_sgpr_private_segment_size 0
		.amdhsa_wavefront_size32 1
		.amdhsa_uses_dynamic_stack 0
		.amdhsa_enable_private_segment 0
		.amdhsa_system_sgpr_workgroup_id_x 1
		.amdhsa_system_sgpr_workgroup_id_y 0
		.amdhsa_system_sgpr_workgroup_id_z 0
		.amdhsa_system_sgpr_workgroup_info 0
		.amdhsa_system_vgpr_workitem_id 0
		.amdhsa_next_free_vgpr 1
		.amdhsa_next_free_sgpr 1
		.amdhsa_reserve_vcc 0
		.amdhsa_float_round_mode_32 0
		.amdhsa_float_round_mode_16_64 0
		.amdhsa_float_denorm_mode_32 3
		.amdhsa_float_denorm_mode_16_64 3
		.amdhsa_fp16_overflow 0
		.amdhsa_workgroup_processor_mode 1
		.amdhsa_memory_ordered 1
		.amdhsa_forward_progress 1
		.amdhsa_inst_pref_size 0
		.amdhsa_round_robin_scheduling 0
		.amdhsa_exception_fp_ieee_invalid_op 0
		.amdhsa_exception_fp_denorm_src 0
		.amdhsa_exception_fp_ieee_div_zero 0
		.amdhsa_exception_fp_ieee_overflow 0
		.amdhsa_exception_fp_ieee_underflow 0
		.amdhsa_exception_fp_ieee_inexact 0
		.amdhsa_exception_int_div_zero 0
	.end_amdhsa_kernel
	.section	.text._ZN7rocprim17ROCPRIM_400000_NS6detail17trampoline_kernelINS0_14default_configENS1_25partition_config_selectorILNS1_17partition_subalgoE6EiNS0_10empty_typeEbEEZZNS1_14partition_implILS5_6ELb0ES3_mN6thrust23THRUST_200600_302600_NS6detail15normal_iteratorINSA_10device_ptrIiEEEEPS6_SG_NS0_5tupleIJSF_S6_EEENSH_IJSG_SG_EEES6_PlJNSB_9not_fun_tI6is_oddIiEEEEEE10hipError_tPvRmT3_T4_T5_T6_T7_T9_mT8_P12ihipStream_tbDpT10_ENKUlT_T0_E_clISt17integral_constantIbLb0EES17_IbLb1EEEEDaS13_S14_EUlS13_E_NS1_11comp_targetILNS1_3genE0ELNS1_11target_archE4294967295ELNS1_3gpuE0ELNS1_3repE0EEENS1_30default_config_static_selectorELNS0_4arch9wavefront6targetE0EEEvT1_,"axG",@progbits,_ZN7rocprim17ROCPRIM_400000_NS6detail17trampoline_kernelINS0_14default_configENS1_25partition_config_selectorILNS1_17partition_subalgoE6EiNS0_10empty_typeEbEEZZNS1_14partition_implILS5_6ELb0ES3_mN6thrust23THRUST_200600_302600_NS6detail15normal_iteratorINSA_10device_ptrIiEEEEPS6_SG_NS0_5tupleIJSF_S6_EEENSH_IJSG_SG_EEES6_PlJNSB_9not_fun_tI6is_oddIiEEEEEE10hipError_tPvRmT3_T4_T5_T6_T7_T9_mT8_P12ihipStream_tbDpT10_ENKUlT_T0_E_clISt17integral_constantIbLb0EES17_IbLb1EEEEDaS13_S14_EUlS13_E_NS1_11comp_targetILNS1_3genE0ELNS1_11target_archE4294967295ELNS1_3gpuE0ELNS1_3repE0EEENS1_30default_config_static_selectorELNS0_4arch9wavefront6targetE0EEEvT1_,comdat
.Lfunc_end107:
	.size	_ZN7rocprim17ROCPRIM_400000_NS6detail17trampoline_kernelINS0_14default_configENS1_25partition_config_selectorILNS1_17partition_subalgoE6EiNS0_10empty_typeEbEEZZNS1_14partition_implILS5_6ELb0ES3_mN6thrust23THRUST_200600_302600_NS6detail15normal_iteratorINSA_10device_ptrIiEEEEPS6_SG_NS0_5tupleIJSF_S6_EEENSH_IJSG_SG_EEES6_PlJNSB_9not_fun_tI6is_oddIiEEEEEE10hipError_tPvRmT3_T4_T5_T6_T7_T9_mT8_P12ihipStream_tbDpT10_ENKUlT_T0_E_clISt17integral_constantIbLb0EES17_IbLb1EEEEDaS13_S14_EUlS13_E_NS1_11comp_targetILNS1_3genE0ELNS1_11target_archE4294967295ELNS1_3gpuE0ELNS1_3repE0EEENS1_30default_config_static_selectorELNS0_4arch9wavefront6targetE0EEEvT1_, .Lfunc_end107-_ZN7rocprim17ROCPRIM_400000_NS6detail17trampoline_kernelINS0_14default_configENS1_25partition_config_selectorILNS1_17partition_subalgoE6EiNS0_10empty_typeEbEEZZNS1_14partition_implILS5_6ELb0ES3_mN6thrust23THRUST_200600_302600_NS6detail15normal_iteratorINSA_10device_ptrIiEEEEPS6_SG_NS0_5tupleIJSF_S6_EEENSH_IJSG_SG_EEES6_PlJNSB_9not_fun_tI6is_oddIiEEEEEE10hipError_tPvRmT3_T4_T5_T6_T7_T9_mT8_P12ihipStream_tbDpT10_ENKUlT_T0_E_clISt17integral_constantIbLb0EES17_IbLb1EEEEDaS13_S14_EUlS13_E_NS1_11comp_targetILNS1_3genE0ELNS1_11target_archE4294967295ELNS1_3gpuE0ELNS1_3repE0EEENS1_30default_config_static_selectorELNS0_4arch9wavefront6targetE0EEEvT1_
                                        ; -- End function
	.set _ZN7rocprim17ROCPRIM_400000_NS6detail17trampoline_kernelINS0_14default_configENS1_25partition_config_selectorILNS1_17partition_subalgoE6EiNS0_10empty_typeEbEEZZNS1_14partition_implILS5_6ELb0ES3_mN6thrust23THRUST_200600_302600_NS6detail15normal_iteratorINSA_10device_ptrIiEEEEPS6_SG_NS0_5tupleIJSF_S6_EEENSH_IJSG_SG_EEES6_PlJNSB_9not_fun_tI6is_oddIiEEEEEE10hipError_tPvRmT3_T4_T5_T6_T7_T9_mT8_P12ihipStream_tbDpT10_ENKUlT_T0_E_clISt17integral_constantIbLb0EES17_IbLb1EEEEDaS13_S14_EUlS13_E_NS1_11comp_targetILNS1_3genE0ELNS1_11target_archE4294967295ELNS1_3gpuE0ELNS1_3repE0EEENS1_30default_config_static_selectorELNS0_4arch9wavefront6targetE0EEEvT1_.num_vgpr, 0
	.set _ZN7rocprim17ROCPRIM_400000_NS6detail17trampoline_kernelINS0_14default_configENS1_25partition_config_selectorILNS1_17partition_subalgoE6EiNS0_10empty_typeEbEEZZNS1_14partition_implILS5_6ELb0ES3_mN6thrust23THRUST_200600_302600_NS6detail15normal_iteratorINSA_10device_ptrIiEEEEPS6_SG_NS0_5tupleIJSF_S6_EEENSH_IJSG_SG_EEES6_PlJNSB_9not_fun_tI6is_oddIiEEEEEE10hipError_tPvRmT3_T4_T5_T6_T7_T9_mT8_P12ihipStream_tbDpT10_ENKUlT_T0_E_clISt17integral_constantIbLb0EES17_IbLb1EEEEDaS13_S14_EUlS13_E_NS1_11comp_targetILNS1_3genE0ELNS1_11target_archE4294967295ELNS1_3gpuE0ELNS1_3repE0EEENS1_30default_config_static_selectorELNS0_4arch9wavefront6targetE0EEEvT1_.num_agpr, 0
	.set _ZN7rocprim17ROCPRIM_400000_NS6detail17trampoline_kernelINS0_14default_configENS1_25partition_config_selectorILNS1_17partition_subalgoE6EiNS0_10empty_typeEbEEZZNS1_14partition_implILS5_6ELb0ES3_mN6thrust23THRUST_200600_302600_NS6detail15normal_iteratorINSA_10device_ptrIiEEEEPS6_SG_NS0_5tupleIJSF_S6_EEENSH_IJSG_SG_EEES6_PlJNSB_9not_fun_tI6is_oddIiEEEEEE10hipError_tPvRmT3_T4_T5_T6_T7_T9_mT8_P12ihipStream_tbDpT10_ENKUlT_T0_E_clISt17integral_constantIbLb0EES17_IbLb1EEEEDaS13_S14_EUlS13_E_NS1_11comp_targetILNS1_3genE0ELNS1_11target_archE4294967295ELNS1_3gpuE0ELNS1_3repE0EEENS1_30default_config_static_selectorELNS0_4arch9wavefront6targetE0EEEvT1_.numbered_sgpr, 0
	.set _ZN7rocprim17ROCPRIM_400000_NS6detail17trampoline_kernelINS0_14default_configENS1_25partition_config_selectorILNS1_17partition_subalgoE6EiNS0_10empty_typeEbEEZZNS1_14partition_implILS5_6ELb0ES3_mN6thrust23THRUST_200600_302600_NS6detail15normal_iteratorINSA_10device_ptrIiEEEEPS6_SG_NS0_5tupleIJSF_S6_EEENSH_IJSG_SG_EEES6_PlJNSB_9not_fun_tI6is_oddIiEEEEEE10hipError_tPvRmT3_T4_T5_T6_T7_T9_mT8_P12ihipStream_tbDpT10_ENKUlT_T0_E_clISt17integral_constantIbLb0EES17_IbLb1EEEEDaS13_S14_EUlS13_E_NS1_11comp_targetILNS1_3genE0ELNS1_11target_archE4294967295ELNS1_3gpuE0ELNS1_3repE0EEENS1_30default_config_static_selectorELNS0_4arch9wavefront6targetE0EEEvT1_.num_named_barrier, 0
	.set _ZN7rocprim17ROCPRIM_400000_NS6detail17trampoline_kernelINS0_14default_configENS1_25partition_config_selectorILNS1_17partition_subalgoE6EiNS0_10empty_typeEbEEZZNS1_14partition_implILS5_6ELb0ES3_mN6thrust23THRUST_200600_302600_NS6detail15normal_iteratorINSA_10device_ptrIiEEEEPS6_SG_NS0_5tupleIJSF_S6_EEENSH_IJSG_SG_EEES6_PlJNSB_9not_fun_tI6is_oddIiEEEEEE10hipError_tPvRmT3_T4_T5_T6_T7_T9_mT8_P12ihipStream_tbDpT10_ENKUlT_T0_E_clISt17integral_constantIbLb0EES17_IbLb1EEEEDaS13_S14_EUlS13_E_NS1_11comp_targetILNS1_3genE0ELNS1_11target_archE4294967295ELNS1_3gpuE0ELNS1_3repE0EEENS1_30default_config_static_selectorELNS0_4arch9wavefront6targetE0EEEvT1_.private_seg_size, 0
	.set _ZN7rocprim17ROCPRIM_400000_NS6detail17trampoline_kernelINS0_14default_configENS1_25partition_config_selectorILNS1_17partition_subalgoE6EiNS0_10empty_typeEbEEZZNS1_14partition_implILS5_6ELb0ES3_mN6thrust23THRUST_200600_302600_NS6detail15normal_iteratorINSA_10device_ptrIiEEEEPS6_SG_NS0_5tupleIJSF_S6_EEENSH_IJSG_SG_EEES6_PlJNSB_9not_fun_tI6is_oddIiEEEEEE10hipError_tPvRmT3_T4_T5_T6_T7_T9_mT8_P12ihipStream_tbDpT10_ENKUlT_T0_E_clISt17integral_constantIbLb0EES17_IbLb1EEEEDaS13_S14_EUlS13_E_NS1_11comp_targetILNS1_3genE0ELNS1_11target_archE4294967295ELNS1_3gpuE0ELNS1_3repE0EEENS1_30default_config_static_selectorELNS0_4arch9wavefront6targetE0EEEvT1_.uses_vcc, 0
	.set _ZN7rocprim17ROCPRIM_400000_NS6detail17trampoline_kernelINS0_14default_configENS1_25partition_config_selectorILNS1_17partition_subalgoE6EiNS0_10empty_typeEbEEZZNS1_14partition_implILS5_6ELb0ES3_mN6thrust23THRUST_200600_302600_NS6detail15normal_iteratorINSA_10device_ptrIiEEEEPS6_SG_NS0_5tupleIJSF_S6_EEENSH_IJSG_SG_EEES6_PlJNSB_9not_fun_tI6is_oddIiEEEEEE10hipError_tPvRmT3_T4_T5_T6_T7_T9_mT8_P12ihipStream_tbDpT10_ENKUlT_T0_E_clISt17integral_constantIbLb0EES17_IbLb1EEEEDaS13_S14_EUlS13_E_NS1_11comp_targetILNS1_3genE0ELNS1_11target_archE4294967295ELNS1_3gpuE0ELNS1_3repE0EEENS1_30default_config_static_selectorELNS0_4arch9wavefront6targetE0EEEvT1_.uses_flat_scratch, 0
	.set _ZN7rocprim17ROCPRIM_400000_NS6detail17trampoline_kernelINS0_14default_configENS1_25partition_config_selectorILNS1_17partition_subalgoE6EiNS0_10empty_typeEbEEZZNS1_14partition_implILS5_6ELb0ES3_mN6thrust23THRUST_200600_302600_NS6detail15normal_iteratorINSA_10device_ptrIiEEEEPS6_SG_NS0_5tupleIJSF_S6_EEENSH_IJSG_SG_EEES6_PlJNSB_9not_fun_tI6is_oddIiEEEEEE10hipError_tPvRmT3_T4_T5_T6_T7_T9_mT8_P12ihipStream_tbDpT10_ENKUlT_T0_E_clISt17integral_constantIbLb0EES17_IbLb1EEEEDaS13_S14_EUlS13_E_NS1_11comp_targetILNS1_3genE0ELNS1_11target_archE4294967295ELNS1_3gpuE0ELNS1_3repE0EEENS1_30default_config_static_selectorELNS0_4arch9wavefront6targetE0EEEvT1_.has_dyn_sized_stack, 0
	.set _ZN7rocprim17ROCPRIM_400000_NS6detail17trampoline_kernelINS0_14default_configENS1_25partition_config_selectorILNS1_17partition_subalgoE6EiNS0_10empty_typeEbEEZZNS1_14partition_implILS5_6ELb0ES3_mN6thrust23THRUST_200600_302600_NS6detail15normal_iteratorINSA_10device_ptrIiEEEEPS6_SG_NS0_5tupleIJSF_S6_EEENSH_IJSG_SG_EEES6_PlJNSB_9not_fun_tI6is_oddIiEEEEEE10hipError_tPvRmT3_T4_T5_T6_T7_T9_mT8_P12ihipStream_tbDpT10_ENKUlT_T0_E_clISt17integral_constantIbLb0EES17_IbLb1EEEEDaS13_S14_EUlS13_E_NS1_11comp_targetILNS1_3genE0ELNS1_11target_archE4294967295ELNS1_3gpuE0ELNS1_3repE0EEENS1_30default_config_static_selectorELNS0_4arch9wavefront6targetE0EEEvT1_.has_recursion, 0
	.set _ZN7rocprim17ROCPRIM_400000_NS6detail17trampoline_kernelINS0_14default_configENS1_25partition_config_selectorILNS1_17partition_subalgoE6EiNS0_10empty_typeEbEEZZNS1_14partition_implILS5_6ELb0ES3_mN6thrust23THRUST_200600_302600_NS6detail15normal_iteratorINSA_10device_ptrIiEEEEPS6_SG_NS0_5tupleIJSF_S6_EEENSH_IJSG_SG_EEES6_PlJNSB_9not_fun_tI6is_oddIiEEEEEE10hipError_tPvRmT3_T4_T5_T6_T7_T9_mT8_P12ihipStream_tbDpT10_ENKUlT_T0_E_clISt17integral_constantIbLb0EES17_IbLb1EEEEDaS13_S14_EUlS13_E_NS1_11comp_targetILNS1_3genE0ELNS1_11target_archE4294967295ELNS1_3gpuE0ELNS1_3repE0EEENS1_30default_config_static_selectorELNS0_4arch9wavefront6targetE0EEEvT1_.has_indirect_call, 0
	.section	.AMDGPU.csdata,"",@progbits
; Kernel info:
; codeLenInByte = 0
; TotalNumSgprs: 0
; NumVgprs: 0
; ScratchSize: 0
; MemoryBound: 0
; FloatMode: 240
; IeeeMode: 1
; LDSByteSize: 0 bytes/workgroup (compile time only)
; SGPRBlocks: 0
; VGPRBlocks: 0
; NumSGPRsForWavesPerEU: 1
; NumVGPRsForWavesPerEU: 1
; Occupancy: 16
; WaveLimiterHint : 0
; COMPUTE_PGM_RSRC2:SCRATCH_EN: 0
; COMPUTE_PGM_RSRC2:USER_SGPR: 2
; COMPUTE_PGM_RSRC2:TRAP_HANDLER: 0
; COMPUTE_PGM_RSRC2:TGID_X_EN: 1
; COMPUTE_PGM_RSRC2:TGID_Y_EN: 0
; COMPUTE_PGM_RSRC2:TGID_Z_EN: 0
; COMPUTE_PGM_RSRC2:TIDIG_COMP_CNT: 0
	.section	.text._ZN7rocprim17ROCPRIM_400000_NS6detail17trampoline_kernelINS0_14default_configENS1_25partition_config_selectorILNS1_17partition_subalgoE6EiNS0_10empty_typeEbEEZZNS1_14partition_implILS5_6ELb0ES3_mN6thrust23THRUST_200600_302600_NS6detail15normal_iteratorINSA_10device_ptrIiEEEEPS6_SG_NS0_5tupleIJSF_S6_EEENSH_IJSG_SG_EEES6_PlJNSB_9not_fun_tI6is_oddIiEEEEEE10hipError_tPvRmT3_T4_T5_T6_T7_T9_mT8_P12ihipStream_tbDpT10_ENKUlT_T0_E_clISt17integral_constantIbLb0EES17_IbLb1EEEEDaS13_S14_EUlS13_E_NS1_11comp_targetILNS1_3genE5ELNS1_11target_archE942ELNS1_3gpuE9ELNS1_3repE0EEENS1_30default_config_static_selectorELNS0_4arch9wavefront6targetE0EEEvT1_,"axG",@progbits,_ZN7rocprim17ROCPRIM_400000_NS6detail17trampoline_kernelINS0_14default_configENS1_25partition_config_selectorILNS1_17partition_subalgoE6EiNS0_10empty_typeEbEEZZNS1_14partition_implILS5_6ELb0ES3_mN6thrust23THRUST_200600_302600_NS6detail15normal_iteratorINSA_10device_ptrIiEEEEPS6_SG_NS0_5tupleIJSF_S6_EEENSH_IJSG_SG_EEES6_PlJNSB_9not_fun_tI6is_oddIiEEEEEE10hipError_tPvRmT3_T4_T5_T6_T7_T9_mT8_P12ihipStream_tbDpT10_ENKUlT_T0_E_clISt17integral_constantIbLb0EES17_IbLb1EEEEDaS13_S14_EUlS13_E_NS1_11comp_targetILNS1_3genE5ELNS1_11target_archE942ELNS1_3gpuE9ELNS1_3repE0EEENS1_30default_config_static_selectorELNS0_4arch9wavefront6targetE0EEEvT1_,comdat
	.protected	_ZN7rocprim17ROCPRIM_400000_NS6detail17trampoline_kernelINS0_14default_configENS1_25partition_config_selectorILNS1_17partition_subalgoE6EiNS0_10empty_typeEbEEZZNS1_14partition_implILS5_6ELb0ES3_mN6thrust23THRUST_200600_302600_NS6detail15normal_iteratorINSA_10device_ptrIiEEEEPS6_SG_NS0_5tupleIJSF_S6_EEENSH_IJSG_SG_EEES6_PlJNSB_9not_fun_tI6is_oddIiEEEEEE10hipError_tPvRmT3_T4_T5_T6_T7_T9_mT8_P12ihipStream_tbDpT10_ENKUlT_T0_E_clISt17integral_constantIbLb0EES17_IbLb1EEEEDaS13_S14_EUlS13_E_NS1_11comp_targetILNS1_3genE5ELNS1_11target_archE942ELNS1_3gpuE9ELNS1_3repE0EEENS1_30default_config_static_selectorELNS0_4arch9wavefront6targetE0EEEvT1_ ; -- Begin function _ZN7rocprim17ROCPRIM_400000_NS6detail17trampoline_kernelINS0_14default_configENS1_25partition_config_selectorILNS1_17partition_subalgoE6EiNS0_10empty_typeEbEEZZNS1_14partition_implILS5_6ELb0ES3_mN6thrust23THRUST_200600_302600_NS6detail15normal_iteratorINSA_10device_ptrIiEEEEPS6_SG_NS0_5tupleIJSF_S6_EEENSH_IJSG_SG_EEES6_PlJNSB_9not_fun_tI6is_oddIiEEEEEE10hipError_tPvRmT3_T4_T5_T6_T7_T9_mT8_P12ihipStream_tbDpT10_ENKUlT_T0_E_clISt17integral_constantIbLb0EES17_IbLb1EEEEDaS13_S14_EUlS13_E_NS1_11comp_targetILNS1_3genE5ELNS1_11target_archE942ELNS1_3gpuE9ELNS1_3repE0EEENS1_30default_config_static_selectorELNS0_4arch9wavefront6targetE0EEEvT1_
	.globl	_ZN7rocprim17ROCPRIM_400000_NS6detail17trampoline_kernelINS0_14default_configENS1_25partition_config_selectorILNS1_17partition_subalgoE6EiNS0_10empty_typeEbEEZZNS1_14partition_implILS5_6ELb0ES3_mN6thrust23THRUST_200600_302600_NS6detail15normal_iteratorINSA_10device_ptrIiEEEEPS6_SG_NS0_5tupleIJSF_S6_EEENSH_IJSG_SG_EEES6_PlJNSB_9not_fun_tI6is_oddIiEEEEEE10hipError_tPvRmT3_T4_T5_T6_T7_T9_mT8_P12ihipStream_tbDpT10_ENKUlT_T0_E_clISt17integral_constantIbLb0EES17_IbLb1EEEEDaS13_S14_EUlS13_E_NS1_11comp_targetILNS1_3genE5ELNS1_11target_archE942ELNS1_3gpuE9ELNS1_3repE0EEENS1_30default_config_static_selectorELNS0_4arch9wavefront6targetE0EEEvT1_
	.p2align	8
	.type	_ZN7rocprim17ROCPRIM_400000_NS6detail17trampoline_kernelINS0_14default_configENS1_25partition_config_selectorILNS1_17partition_subalgoE6EiNS0_10empty_typeEbEEZZNS1_14partition_implILS5_6ELb0ES3_mN6thrust23THRUST_200600_302600_NS6detail15normal_iteratorINSA_10device_ptrIiEEEEPS6_SG_NS0_5tupleIJSF_S6_EEENSH_IJSG_SG_EEES6_PlJNSB_9not_fun_tI6is_oddIiEEEEEE10hipError_tPvRmT3_T4_T5_T6_T7_T9_mT8_P12ihipStream_tbDpT10_ENKUlT_T0_E_clISt17integral_constantIbLb0EES17_IbLb1EEEEDaS13_S14_EUlS13_E_NS1_11comp_targetILNS1_3genE5ELNS1_11target_archE942ELNS1_3gpuE9ELNS1_3repE0EEENS1_30default_config_static_selectorELNS0_4arch9wavefront6targetE0EEEvT1_,@function
_ZN7rocprim17ROCPRIM_400000_NS6detail17trampoline_kernelINS0_14default_configENS1_25partition_config_selectorILNS1_17partition_subalgoE6EiNS0_10empty_typeEbEEZZNS1_14partition_implILS5_6ELb0ES3_mN6thrust23THRUST_200600_302600_NS6detail15normal_iteratorINSA_10device_ptrIiEEEEPS6_SG_NS0_5tupleIJSF_S6_EEENSH_IJSG_SG_EEES6_PlJNSB_9not_fun_tI6is_oddIiEEEEEE10hipError_tPvRmT3_T4_T5_T6_T7_T9_mT8_P12ihipStream_tbDpT10_ENKUlT_T0_E_clISt17integral_constantIbLb0EES17_IbLb1EEEEDaS13_S14_EUlS13_E_NS1_11comp_targetILNS1_3genE5ELNS1_11target_archE942ELNS1_3gpuE9ELNS1_3repE0EEENS1_30default_config_static_selectorELNS0_4arch9wavefront6targetE0EEEvT1_: ; @_ZN7rocprim17ROCPRIM_400000_NS6detail17trampoline_kernelINS0_14default_configENS1_25partition_config_selectorILNS1_17partition_subalgoE6EiNS0_10empty_typeEbEEZZNS1_14partition_implILS5_6ELb0ES3_mN6thrust23THRUST_200600_302600_NS6detail15normal_iteratorINSA_10device_ptrIiEEEEPS6_SG_NS0_5tupleIJSF_S6_EEENSH_IJSG_SG_EEES6_PlJNSB_9not_fun_tI6is_oddIiEEEEEE10hipError_tPvRmT3_T4_T5_T6_T7_T9_mT8_P12ihipStream_tbDpT10_ENKUlT_T0_E_clISt17integral_constantIbLb0EES17_IbLb1EEEEDaS13_S14_EUlS13_E_NS1_11comp_targetILNS1_3genE5ELNS1_11target_archE942ELNS1_3gpuE9ELNS1_3repE0EEENS1_30default_config_static_selectorELNS0_4arch9wavefront6targetE0EEEvT1_
; %bb.0:
	.section	.rodata,"a",@progbits
	.p2align	6, 0x0
	.amdhsa_kernel _ZN7rocprim17ROCPRIM_400000_NS6detail17trampoline_kernelINS0_14default_configENS1_25partition_config_selectorILNS1_17partition_subalgoE6EiNS0_10empty_typeEbEEZZNS1_14partition_implILS5_6ELb0ES3_mN6thrust23THRUST_200600_302600_NS6detail15normal_iteratorINSA_10device_ptrIiEEEEPS6_SG_NS0_5tupleIJSF_S6_EEENSH_IJSG_SG_EEES6_PlJNSB_9not_fun_tI6is_oddIiEEEEEE10hipError_tPvRmT3_T4_T5_T6_T7_T9_mT8_P12ihipStream_tbDpT10_ENKUlT_T0_E_clISt17integral_constantIbLb0EES17_IbLb1EEEEDaS13_S14_EUlS13_E_NS1_11comp_targetILNS1_3genE5ELNS1_11target_archE942ELNS1_3gpuE9ELNS1_3repE0EEENS1_30default_config_static_selectorELNS0_4arch9wavefront6targetE0EEEvT1_
		.amdhsa_group_segment_fixed_size 0
		.amdhsa_private_segment_fixed_size 0
		.amdhsa_kernarg_size 128
		.amdhsa_user_sgpr_count 2
		.amdhsa_user_sgpr_dispatch_ptr 0
		.amdhsa_user_sgpr_queue_ptr 0
		.amdhsa_user_sgpr_kernarg_segment_ptr 1
		.amdhsa_user_sgpr_dispatch_id 0
		.amdhsa_user_sgpr_private_segment_size 0
		.amdhsa_wavefront_size32 1
		.amdhsa_uses_dynamic_stack 0
		.amdhsa_enable_private_segment 0
		.amdhsa_system_sgpr_workgroup_id_x 1
		.amdhsa_system_sgpr_workgroup_id_y 0
		.amdhsa_system_sgpr_workgroup_id_z 0
		.amdhsa_system_sgpr_workgroup_info 0
		.amdhsa_system_vgpr_workitem_id 0
		.amdhsa_next_free_vgpr 1
		.amdhsa_next_free_sgpr 1
		.amdhsa_reserve_vcc 0
		.amdhsa_float_round_mode_32 0
		.amdhsa_float_round_mode_16_64 0
		.amdhsa_float_denorm_mode_32 3
		.amdhsa_float_denorm_mode_16_64 3
		.amdhsa_fp16_overflow 0
		.amdhsa_workgroup_processor_mode 1
		.amdhsa_memory_ordered 1
		.amdhsa_forward_progress 1
		.amdhsa_inst_pref_size 0
		.amdhsa_round_robin_scheduling 0
		.amdhsa_exception_fp_ieee_invalid_op 0
		.amdhsa_exception_fp_denorm_src 0
		.amdhsa_exception_fp_ieee_div_zero 0
		.amdhsa_exception_fp_ieee_overflow 0
		.amdhsa_exception_fp_ieee_underflow 0
		.amdhsa_exception_fp_ieee_inexact 0
		.amdhsa_exception_int_div_zero 0
	.end_amdhsa_kernel
	.section	.text._ZN7rocprim17ROCPRIM_400000_NS6detail17trampoline_kernelINS0_14default_configENS1_25partition_config_selectorILNS1_17partition_subalgoE6EiNS0_10empty_typeEbEEZZNS1_14partition_implILS5_6ELb0ES3_mN6thrust23THRUST_200600_302600_NS6detail15normal_iteratorINSA_10device_ptrIiEEEEPS6_SG_NS0_5tupleIJSF_S6_EEENSH_IJSG_SG_EEES6_PlJNSB_9not_fun_tI6is_oddIiEEEEEE10hipError_tPvRmT3_T4_T5_T6_T7_T9_mT8_P12ihipStream_tbDpT10_ENKUlT_T0_E_clISt17integral_constantIbLb0EES17_IbLb1EEEEDaS13_S14_EUlS13_E_NS1_11comp_targetILNS1_3genE5ELNS1_11target_archE942ELNS1_3gpuE9ELNS1_3repE0EEENS1_30default_config_static_selectorELNS0_4arch9wavefront6targetE0EEEvT1_,"axG",@progbits,_ZN7rocprim17ROCPRIM_400000_NS6detail17trampoline_kernelINS0_14default_configENS1_25partition_config_selectorILNS1_17partition_subalgoE6EiNS0_10empty_typeEbEEZZNS1_14partition_implILS5_6ELb0ES3_mN6thrust23THRUST_200600_302600_NS6detail15normal_iteratorINSA_10device_ptrIiEEEEPS6_SG_NS0_5tupleIJSF_S6_EEENSH_IJSG_SG_EEES6_PlJNSB_9not_fun_tI6is_oddIiEEEEEE10hipError_tPvRmT3_T4_T5_T6_T7_T9_mT8_P12ihipStream_tbDpT10_ENKUlT_T0_E_clISt17integral_constantIbLb0EES17_IbLb1EEEEDaS13_S14_EUlS13_E_NS1_11comp_targetILNS1_3genE5ELNS1_11target_archE942ELNS1_3gpuE9ELNS1_3repE0EEENS1_30default_config_static_selectorELNS0_4arch9wavefront6targetE0EEEvT1_,comdat
.Lfunc_end108:
	.size	_ZN7rocprim17ROCPRIM_400000_NS6detail17trampoline_kernelINS0_14default_configENS1_25partition_config_selectorILNS1_17partition_subalgoE6EiNS0_10empty_typeEbEEZZNS1_14partition_implILS5_6ELb0ES3_mN6thrust23THRUST_200600_302600_NS6detail15normal_iteratorINSA_10device_ptrIiEEEEPS6_SG_NS0_5tupleIJSF_S6_EEENSH_IJSG_SG_EEES6_PlJNSB_9not_fun_tI6is_oddIiEEEEEE10hipError_tPvRmT3_T4_T5_T6_T7_T9_mT8_P12ihipStream_tbDpT10_ENKUlT_T0_E_clISt17integral_constantIbLb0EES17_IbLb1EEEEDaS13_S14_EUlS13_E_NS1_11comp_targetILNS1_3genE5ELNS1_11target_archE942ELNS1_3gpuE9ELNS1_3repE0EEENS1_30default_config_static_selectorELNS0_4arch9wavefront6targetE0EEEvT1_, .Lfunc_end108-_ZN7rocprim17ROCPRIM_400000_NS6detail17trampoline_kernelINS0_14default_configENS1_25partition_config_selectorILNS1_17partition_subalgoE6EiNS0_10empty_typeEbEEZZNS1_14partition_implILS5_6ELb0ES3_mN6thrust23THRUST_200600_302600_NS6detail15normal_iteratorINSA_10device_ptrIiEEEEPS6_SG_NS0_5tupleIJSF_S6_EEENSH_IJSG_SG_EEES6_PlJNSB_9not_fun_tI6is_oddIiEEEEEE10hipError_tPvRmT3_T4_T5_T6_T7_T9_mT8_P12ihipStream_tbDpT10_ENKUlT_T0_E_clISt17integral_constantIbLb0EES17_IbLb1EEEEDaS13_S14_EUlS13_E_NS1_11comp_targetILNS1_3genE5ELNS1_11target_archE942ELNS1_3gpuE9ELNS1_3repE0EEENS1_30default_config_static_selectorELNS0_4arch9wavefront6targetE0EEEvT1_
                                        ; -- End function
	.set _ZN7rocprim17ROCPRIM_400000_NS6detail17trampoline_kernelINS0_14default_configENS1_25partition_config_selectorILNS1_17partition_subalgoE6EiNS0_10empty_typeEbEEZZNS1_14partition_implILS5_6ELb0ES3_mN6thrust23THRUST_200600_302600_NS6detail15normal_iteratorINSA_10device_ptrIiEEEEPS6_SG_NS0_5tupleIJSF_S6_EEENSH_IJSG_SG_EEES6_PlJNSB_9not_fun_tI6is_oddIiEEEEEE10hipError_tPvRmT3_T4_T5_T6_T7_T9_mT8_P12ihipStream_tbDpT10_ENKUlT_T0_E_clISt17integral_constantIbLb0EES17_IbLb1EEEEDaS13_S14_EUlS13_E_NS1_11comp_targetILNS1_3genE5ELNS1_11target_archE942ELNS1_3gpuE9ELNS1_3repE0EEENS1_30default_config_static_selectorELNS0_4arch9wavefront6targetE0EEEvT1_.num_vgpr, 0
	.set _ZN7rocprim17ROCPRIM_400000_NS6detail17trampoline_kernelINS0_14default_configENS1_25partition_config_selectorILNS1_17partition_subalgoE6EiNS0_10empty_typeEbEEZZNS1_14partition_implILS5_6ELb0ES3_mN6thrust23THRUST_200600_302600_NS6detail15normal_iteratorINSA_10device_ptrIiEEEEPS6_SG_NS0_5tupleIJSF_S6_EEENSH_IJSG_SG_EEES6_PlJNSB_9not_fun_tI6is_oddIiEEEEEE10hipError_tPvRmT3_T4_T5_T6_T7_T9_mT8_P12ihipStream_tbDpT10_ENKUlT_T0_E_clISt17integral_constantIbLb0EES17_IbLb1EEEEDaS13_S14_EUlS13_E_NS1_11comp_targetILNS1_3genE5ELNS1_11target_archE942ELNS1_3gpuE9ELNS1_3repE0EEENS1_30default_config_static_selectorELNS0_4arch9wavefront6targetE0EEEvT1_.num_agpr, 0
	.set _ZN7rocprim17ROCPRIM_400000_NS6detail17trampoline_kernelINS0_14default_configENS1_25partition_config_selectorILNS1_17partition_subalgoE6EiNS0_10empty_typeEbEEZZNS1_14partition_implILS5_6ELb0ES3_mN6thrust23THRUST_200600_302600_NS6detail15normal_iteratorINSA_10device_ptrIiEEEEPS6_SG_NS0_5tupleIJSF_S6_EEENSH_IJSG_SG_EEES6_PlJNSB_9not_fun_tI6is_oddIiEEEEEE10hipError_tPvRmT3_T4_T5_T6_T7_T9_mT8_P12ihipStream_tbDpT10_ENKUlT_T0_E_clISt17integral_constantIbLb0EES17_IbLb1EEEEDaS13_S14_EUlS13_E_NS1_11comp_targetILNS1_3genE5ELNS1_11target_archE942ELNS1_3gpuE9ELNS1_3repE0EEENS1_30default_config_static_selectorELNS0_4arch9wavefront6targetE0EEEvT1_.numbered_sgpr, 0
	.set _ZN7rocprim17ROCPRIM_400000_NS6detail17trampoline_kernelINS0_14default_configENS1_25partition_config_selectorILNS1_17partition_subalgoE6EiNS0_10empty_typeEbEEZZNS1_14partition_implILS5_6ELb0ES3_mN6thrust23THRUST_200600_302600_NS6detail15normal_iteratorINSA_10device_ptrIiEEEEPS6_SG_NS0_5tupleIJSF_S6_EEENSH_IJSG_SG_EEES6_PlJNSB_9not_fun_tI6is_oddIiEEEEEE10hipError_tPvRmT3_T4_T5_T6_T7_T9_mT8_P12ihipStream_tbDpT10_ENKUlT_T0_E_clISt17integral_constantIbLb0EES17_IbLb1EEEEDaS13_S14_EUlS13_E_NS1_11comp_targetILNS1_3genE5ELNS1_11target_archE942ELNS1_3gpuE9ELNS1_3repE0EEENS1_30default_config_static_selectorELNS0_4arch9wavefront6targetE0EEEvT1_.num_named_barrier, 0
	.set _ZN7rocprim17ROCPRIM_400000_NS6detail17trampoline_kernelINS0_14default_configENS1_25partition_config_selectorILNS1_17partition_subalgoE6EiNS0_10empty_typeEbEEZZNS1_14partition_implILS5_6ELb0ES3_mN6thrust23THRUST_200600_302600_NS6detail15normal_iteratorINSA_10device_ptrIiEEEEPS6_SG_NS0_5tupleIJSF_S6_EEENSH_IJSG_SG_EEES6_PlJNSB_9not_fun_tI6is_oddIiEEEEEE10hipError_tPvRmT3_T4_T5_T6_T7_T9_mT8_P12ihipStream_tbDpT10_ENKUlT_T0_E_clISt17integral_constantIbLb0EES17_IbLb1EEEEDaS13_S14_EUlS13_E_NS1_11comp_targetILNS1_3genE5ELNS1_11target_archE942ELNS1_3gpuE9ELNS1_3repE0EEENS1_30default_config_static_selectorELNS0_4arch9wavefront6targetE0EEEvT1_.private_seg_size, 0
	.set _ZN7rocprim17ROCPRIM_400000_NS6detail17trampoline_kernelINS0_14default_configENS1_25partition_config_selectorILNS1_17partition_subalgoE6EiNS0_10empty_typeEbEEZZNS1_14partition_implILS5_6ELb0ES3_mN6thrust23THRUST_200600_302600_NS6detail15normal_iteratorINSA_10device_ptrIiEEEEPS6_SG_NS0_5tupleIJSF_S6_EEENSH_IJSG_SG_EEES6_PlJNSB_9not_fun_tI6is_oddIiEEEEEE10hipError_tPvRmT3_T4_T5_T6_T7_T9_mT8_P12ihipStream_tbDpT10_ENKUlT_T0_E_clISt17integral_constantIbLb0EES17_IbLb1EEEEDaS13_S14_EUlS13_E_NS1_11comp_targetILNS1_3genE5ELNS1_11target_archE942ELNS1_3gpuE9ELNS1_3repE0EEENS1_30default_config_static_selectorELNS0_4arch9wavefront6targetE0EEEvT1_.uses_vcc, 0
	.set _ZN7rocprim17ROCPRIM_400000_NS6detail17trampoline_kernelINS0_14default_configENS1_25partition_config_selectorILNS1_17partition_subalgoE6EiNS0_10empty_typeEbEEZZNS1_14partition_implILS5_6ELb0ES3_mN6thrust23THRUST_200600_302600_NS6detail15normal_iteratorINSA_10device_ptrIiEEEEPS6_SG_NS0_5tupleIJSF_S6_EEENSH_IJSG_SG_EEES6_PlJNSB_9not_fun_tI6is_oddIiEEEEEE10hipError_tPvRmT3_T4_T5_T6_T7_T9_mT8_P12ihipStream_tbDpT10_ENKUlT_T0_E_clISt17integral_constantIbLb0EES17_IbLb1EEEEDaS13_S14_EUlS13_E_NS1_11comp_targetILNS1_3genE5ELNS1_11target_archE942ELNS1_3gpuE9ELNS1_3repE0EEENS1_30default_config_static_selectorELNS0_4arch9wavefront6targetE0EEEvT1_.uses_flat_scratch, 0
	.set _ZN7rocprim17ROCPRIM_400000_NS6detail17trampoline_kernelINS0_14default_configENS1_25partition_config_selectorILNS1_17partition_subalgoE6EiNS0_10empty_typeEbEEZZNS1_14partition_implILS5_6ELb0ES3_mN6thrust23THRUST_200600_302600_NS6detail15normal_iteratorINSA_10device_ptrIiEEEEPS6_SG_NS0_5tupleIJSF_S6_EEENSH_IJSG_SG_EEES6_PlJNSB_9not_fun_tI6is_oddIiEEEEEE10hipError_tPvRmT3_T4_T5_T6_T7_T9_mT8_P12ihipStream_tbDpT10_ENKUlT_T0_E_clISt17integral_constantIbLb0EES17_IbLb1EEEEDaS13_S14_EUlS13_E_NS1_11comp_targetILNS1_3genE5ELNS1_11target_archE942ELNS1_3gpuE9ELNS1_3repE0EEENS1_30default_config_static_selectorELNS0_4arch9wavefront6targetE0EEEvT1_.has_dyn_sized_stack, 0
	.set _ZN7rocprim17ROCPRIM_400000_NS6detail17trampoline_kernelINS0_14default_configENS1_25partition_config_selectorILNS1_17partition_subalgoE6EiNS0_10empty_typeEbEEZZNS1_14partition_implILS5_6ELb0ES3_mN6thrust23THRUST_200600_302600_NS6detail15normal_iteratorINSA_10device_ptrIiEEEEPS6_SG_NS0_5tupleIJSF_S6_EEENSH_IJSG_SG_EEES6_PlJNSB_9not_fun_tI6is_oddIiEEEEEE10hipError_tPvRmT3_T4_T5_T6_T7_T9_mT8_P12ihipStream_tbDpT10_ENKUlT_T0_E_clISt17integral_constantIbLb0EES17_IbLb1EEEEDaS13_S14_EUlS13_E_NS1_11comp_targetILNS1_3genE5ELNS1_11target_archE942ELNS1_3gpuE9ELNS1_3repE0EEENS1_30default_config_static_selectorELNS0_4arch9wavefront6targetE0EEEvT1_.has_recursion, 0
	.set _ZN7rocprim17ROCPRIM_400000_NS6detail17trampoline_kernelINS0_14default_configENS1_25partition_config_selectorILNS1_17partition_subalgoE6EiNS0_10empty_typeEbEEZZNS1_14partition_implILS5_6ELb0ES3_mN6thrust23THRUST_200600_302600_NS6detail15normal_iteratorINSA_10device_ptrIiEEEEPS6_SG_NS0_5tupleIJSF_S6_EEENSH_IJSG_SG_EEES6_PlJNSB_9not_fun_tI6is_oddIiEEEEEE10hipError_tPvRmT3_T4_T5_T6_T7_T9_mT8_P12ihipStream_tbDpT10_ENKUlT_T0_E_clISt17integral_constantIbLb0EES17_IbLb1EEEEDaS13_S14_EUlS13_E_NS1_11comp_targetILNS1_3genE5ELNS1_11target_archE942ELNS1_3gpuE9ELNS1_3repE0EEENS1_30default_config_static_selectorELNS0_4arch9wavefront6targetE0EEEvT1_.has_indirect_call, 0
	.section	.AMDGPU.csdata,"",@progbits
; Kernel info:
; codeLenInByte = 0
; TotalNumSgprs: 0
; NumVgprs: 0
; ScratchSize: 0
; MemoryBound: 0
; FloatMode: 240
; IeeeMode: 1
; LDSByteSize: 0 bytes/workgroup (compile time only)
; SGPRBlocks: 0
; VGPRBlocks: 0
; NumSGPRsForWavesPerEU: 1
; NumVGPRsForWavesPerEU: 1
; Occupancy: 16
; WaveLimiterHint : 0
; COMPUTE_PGM_RSRC2:SCRATCH_EN: 0
; COMPUTE_PGM_RSRC2:USER_SGPR: 2
; COMPUTE_PGM_RSRC2:TRAP_HANDLER: 0
; COMPUTE_PGM_RSRC2:TGID_X_EN: 1
; COMPUTE_PGM_RSRC2:TGID_Y_EN: 0
; COMPUTE_PGM_RSRC2:TGID_Z_EN: 0
; COMPUTE_PGM_RSRC2:TIDIG_COMP_CNT: 0
	.section	.text._ZN7rocprim17ROCPRIM_400000_NS6detail17trampoline_kernelINS0_14default_configENS1_25partition_config_selectorILNS1_17partition_subalgoE6EiNS0_10empty_typeEbEEZZNS1_14partition_implILS5_6ELb0ES3_mN6thrust23THRUST_200600_302600_NS6detail15normal_iteratorINSA_10device_ptrIiEEEEPS6_SG_NS0_5tupleIJSF_S6_EEENSH_IJSG_SG_EEES6_PlJNSB_9not_fun_tI6is_oddIiEEEEEE10hipError_tPvRmT3_T4_T5_T6_T7_T9_mT8_P12ihipStream_tbDpT10_ENKUlT_T0_E_clISt17integral_constantIbLb0EES17_IbLb1EEEEDaS13_S14_EUlS13_E_NS1_11comp_targetILNS1_3genE4ELNS1_11target_archE910ELNS1_3gpuE8ELNS1_3repE0EEENS1_30default_config_static_selectorELNS0_4arch9wavefront6targetE0EEEvT1_,"axG",@progbits,_ZN7rocprim17ROCPRIM_400000_NS6detail17trampoline_kernelINS0_14default_configENS1_25partition_config_selectorILNS1_17partition_subalgoE6EiNS0_10empty_typeEbEEZZNS1_14partition_implILS5_6ELb0ES3_mN6thrust23THRUST_200600_302600_NS6detail15normal_iteratorINSA_10device_ptrIiEEEEPS6_SG_NS0_5tupleIJSF_S6_EEENSH_IJSG_SG_EEES6_PlJNSB_9not_fun_tI6is_oddIiEEEEEE10hipError_tPvRmT3_T4_T5_T6_T7_T9_mT8_P12ihipStream_tbDpT10_ENKUlT_T0_E_clISt17integral_constantIbLb0EES17_IbLb1EEEEDaS13_S14_EUlS13_E_NS1_11comp_targetILNS1_3genE4ELNS1_11target_archE910ELNS1_3gpuE8ELNS1_3repE0EEENS1_30default_config_static_selectorELNS0_4arch9wavefront6targetE0EEEvT1_,comdat
	.protected	_ZN7rocprim17ROCPRIM_400000_NS6detail17trampoline_kernelINS0_14default_configENS1_25partition_config_selectorILNS1_17partition_subalgoE6EiNS0_10empty_typeEbEEZZNS1_14partition_implILS5_6ELb0ES3_mN6thrust23THRUST_200600_302600_NS6detail15normal_iteratorINSA_10device_ptrIiEEEEPS6_SG_NS0_5tupleIJSF_S6_EEENSH_IJSG_SG_EEES6_PlJNSB_9not_fun_tI6is_oddIiEEEEEE10hipError_tPvRmT3_T4_T5_T6_T7_T9_mT8_P12ihipStream_tbDpT10_ENKUlT_T0_E_clISt17integral_constantIbLb0EES17_IbLb1EEEEDaS13_S14_EUlS13_E_NS1_11comp_targetILNS1_3genE4ELNS1_11target_archE910ELNS1_3gpuE8ELNS1_3repE0EEENS1_30default_config_static_selectorELNS0_4arch9wavefront6targetE0EEEvT1_ ; -- Begin function _ZN7rocprim17ROCPRIM_400000_NS6detail17trampoline_kernelINS0_14default_configENS1_25partition_config_selectorILNS1_17partition_subalgoE6EiNS0_10empty_typeEbEEZZNS1_14partition_implILS5_6ELb0ES3_mN6thrust23THRUST_200600_302600_NS6detail15normal_iteratorINSA_10device_ptrIiEEEEPS6_SG_NS0_5tupleIJSF_S6_EEENSH_IJSG_SG_EEES6_PlJNSB_9not_fun_tI6is_oddIiEEEEEE10hipError_tPvRmT3_T4_T5_T6_T7_T9_mT8_P12ihipStream_tbDpT10_ENKUlT_T0_E_clISt17integral_constantIbLb0EES17_IbLb1EEEEDaS13_S14_EUlS13_E_NS1_11comp_targetILNS1_3genE4ELNS1_11target_archE910ELNS1_3gpuE8ELNS1_3repE0EEENS1_30default_config_static_selectorELNS0_4arch9wavefront6targetE0EEEvT1_
	.globl	_ZN7rocprim17ROCPRIM_400000_NS6detail17trampoline_kernelINS0_14default_configENS1_25partition_config_selectorILNS1_17partition_subalgoE6EiNS0_10empty_typeEbEEZZNS1_14partition_implILS5_6ELb0ES3_mN6thrust23THRUST_200600_302600_NS6detail15normal_iteratorINSA_10device_ptrIiEEEEPS6_SG_NS0_5tupleIJSF_S6_EEENSH_IJSG_SG_EEES6_PlJNSB_9not_fun_tI6is_oddIiEEEEEE10hipError_tPvRmT3_T4_T5_T6_T7_T9_mT8_P12ihipStream_tbDpT10_ENKUlT_T0_E_clISt17integral_constantIbLb0EES17_IbLb1EEEEDaS13_S14_EUlS13_E_NS1_11comp_targetILNS1_3genE4ELNS1_11target_archE910ELNS1_3gpuE8ELNS1_3repE0EEENS1_30default_config_static_selectorELNS0_4arch9wavefront6targetE0EEEvT1_
	.p2align	8
	.type	_ZN7rocprim17ROCPRIM_400000_NS6detail17trampoline_kernelINS0_14default_configENS1_25partition_config_selectorILNS1_17partition_subalgoE6EiNS0_10empty_typeEbEEZZNS1_14partition_implILS5_6ELb0ES3_mN6thrust23THRUST_200600_302600_NS6detail15normal_iteratorINSA_10device_ptrIiEEEEPS6_SG_NS0_5tupleIJSF_S6_EEENSH_IJSG_SG_EEES6_PlJNSB_9not_fun_tI6is_oddIiEEEEEE10hipError_tPvRmT3_T4_T5_T6_T7_T9_mT8_P12ihipStream_tbDpT10_ENKUlT_T0_E_clISt17integral_constantIbLb0EES17_IbLb1EEEEDaS13_S14_EUlS13_E_NS1_11comp_targetILNS1_3genE4ELNS1_11target_archE910ELNS1_3gpuE8ELNS1_3repE0EEENS1_30default_config_static_selectorELNS0_4arch9wavefront6targetE0EEEvT1_,@function
_ZN7rocprim17ROCPRIM_400000_NS6detail17trampoline_kernelINS0_14default_configENS1_25partition_config_selectorILNS1_17partition_subalgoE6EiNS0_10empty_typeEbEEZZNS1_14partition_implILS5_6ELb0ES3_mN6thrust23THRUST_200600_302600_NS6detail15normal_iteratorINSA_10device_ptrIiEEEEPS6_SG_NS0_5tupleIJSF_S6_EEENSH_IJSG_SG_EEES6_PlJNSB_9not_fun_tI6is_oddIiEEEEEE10hipError_tPvRmT3_T4_T5_T6_T7_T9_mT8_P12ihipStream_tbDpT10_ENKUlT_T0_E_clISt17integral_constantIbLb0EES17_IbLb1EEEEDaS13_S14_EUlS13_E_NS1_11comp_targetILNS1_3genE4ELNS1_11target_archE910ELNS1_3gpuE8ELNS1_3repE0EEENS1_30default_config_static_selectorELNS0_4arch9wavefront6targetE0EEEvT1_: ; @_ZN7rocprim17ROCPRIM_400000_NS6detail17trampoline_kernelINS0_14default_configENS1_25partition_config_selectorILNS1_17partition_subalgoE6EiNS0_10empty_typeEbEEZZNS1_14partition_implILS5_6ELb0ES3_mN6thrust23THRUST_200600_302600_NS6detail15normal_iteratorINSA_10device_ptrIiEEEEPS6_SG_NS0_5tupleIJSF_S6_EEENSH_IJSG_SG_EEES6_PlJNSB_9not_fun_tI6is_oddIiEEEEEE10hipError_tPvRmT3_T4_T5_T6_T7_T9_mT8_P12ihipStream_tbDpT10_ENKUlT_T0_E_clISt17integral_constantIbLb0EES17_IbLb1EEEEDaS13_S14_EUlS13_E_NS1_11comp_targetILNS1_3genE4ELNS1_11target_archE910ELNS1_3gpuE8ELNS1_3repE0EEENS1_30default_config_static_selectorELNS0_4arch9wavefront6targetE0EEEvT1_
; %bb.0:
	.section	.rodata,"a",@progbits
	.p2align	6, 0x0
	.amdhsa_kernel _ZN7rocprim17ROCPRIM_400000_NS6detail17trampoline_kernelINS0_14default_configENS1_25partition_config_selectorILNS1_17partition_subalgoE6EiNS0_10empty_typeEbEEZZNS1_14partition_implILS5_6ELb0ES3_mN6thrust23THRUST_200600_302600_NS6detail15normal_iteratorINSA_10device_ptrIiEEEEPS6_SG_NS0_5tupleIJSF_S6_EEENSH_IJSG_SG_EEES6_PlJNSB_9not_fun_tI6is_oddIiEEEEEE10hipError_tPvRmT3_T4_T5_T6_T7_T9_mT8_P12ihipStream_tbDpT10_ENKUlT_T0_E_clISt17integral_constantIbLb0EES17_IbLb1EEEEDaS13_S14_EUlS13_E_NS1_11comp_targetILNS1_3genE4ELNS1_11target_archE910ELNS1_3gpuE8ELNS1_3repE0EEENS1_30default_config_static_selectorELNS0_4arch9wavefront6targetE0EEEvT1_
		.amdhsa_group_segment_fixed_size 0
		.amdhsa_private_segment_fixed_size 0
		.amdhsa_kernarg_size 128
		.amdhsa_user_sgpr_count 2
		.amdhsa_user_sgpr_dispatch_ptr 0
		.amdhsa_user_sgpr_queue_ptr 0
		.amdhsa_user_sgpr_kernarg_segment_ptr 1
		.amdhsa_user_sgpr_dispatch_id 0
		.amdhsa_user_sgpr_private_segment_size 0
		.amdhsa_wavefront_size32 1
		.amdhsa_uses_dynamic_stack 0
		.amdhsa_enable_private_segment 0
		.amdhsa_system_sgpr_workgroup_id_x 1
		.amdhsa_system_sgpr_workgroup_id_y 0
		.amdhsa_system_sgpr_workgroup_id_z 0
		.amdhsa_system_sgpr_workgroup_info 0
		.amdhsa_system_vgpr_workitem_id 0
		.amdhsa_next_free_vgpr 1
		.amdhsa_next_free_sgpr 1
		.amdhsa_reserve_vcc 0
		.amdhsa_float_round_mode_32 0
		.amdhsa_float_round_mode_16_64 0
		.amdhsa_float_denorm_mode_32 3
		.amdhsa_float_denorm_mode_16_64 3
		.amdhsa_fp16_overflow 0
		.amdhsa_workgroup_processor_mode 1
		.amdhsa_memory_ordered 1
		.amdhsa_forward_progress 1
		.amdhsa_inst_pref_size 0
		.amdhsa_round_robin_scheduling 0
		.amdhsa_exception_fp_ieee_invalid_op 0
		.amdhsa_exception_fp_denorm_src 0
		.amdhsa_exception_fp_ieee_div_zero 0
		.amdhsa_exception_fp_ieee_overflow 0
		.amdhsa_exception_fp_ieee_underflow 0
		.amdhsa_exception_fp_ieee_inexact 0
		.amdhsa_exception_int_div_zero 0
	.end_amdhsa_kernel
	.section	.text._ZN7rocprim17ROCPRIM_400000_NS6detail17trampoline_kernelINS0_14default_configENS1_25partition_config_selectorILNS1_17partition_subalgoE6EiNS0_10empty_typeEbEEZZNS1_14partition_implILS5_6ELb0ES3_mN6thrust23THRUST_200600_302600_NS6detail15normal_iteratorINSA_10device_ptrIiEEEEPS6_SG_NS0_5tupleIJSF_S6_EEENSH_IJSG_SG_EEES6_PlJNSB_9not_fun_tI6is_oddIiEEEEEE10hipError_tPvRmT3_T4_T5_T6_T7_T9_mT8_P12ihipStream_tbDpT10_ENKUlT_T0_E_clISt17integral_constantIbLb0EES17_IbLb1EEEEDaS13_S14_EUlS13_E_NS1_11comp_targetILNS1_3genE4ELNS1_11target_archE910ELNS1_3gpuE8ELNS1_3repE0EEENS1_30default_config_static_selectorELNS0_4arch9wavefront6targetE0EEEvT1_,"axG",@progbits,_ZN7rocprim17ROCPRIM_400000_NS6detail17trampoline_kernelINS0_14default_configENS1_25partition_config_selectorILNS1_17partition_subalgoE6EiNS0_10empty_typeEbEEZZNS1_14partition_implILS5_6ELb0ES3_mN6thrust23THRUST_200600_302600_NS6detail15normal_iteratorINSA_10device_ptrIiEEEEPS6_SG_NS0_5tupleIJSF_S6_EEENSH_IJSG_SG_EEES6_PlJNSB_9not_fun_tI6is_oddIiEEEEEE10hipError_tPvRmT3_T4_T5_T6_T7_T9_mT8_P12ihipStream_tbDpT10_ENKUlT_T0_E_clISt17integral_constantIbLb0EES17_IbLb1EEEEDaS13_S14_EUlS13_E_NS1_11comp_targetILNS1_3genE4ELNS1_11target_archE910ELNS1_3gpuE8ELNS1_3repE0EEENS1_30default_config_static_selectorELNS0_4arch9wavefront6targetE0EEEvT1_,comdat
.Lfunc_end109:
	.size	_ZN7rocprim17ROCPRIM_400000_NS6detail17trampoline_kernelINS0_14default_configENS1_25partition_config_selectorILNS1_17partition_subalgoE6EiNS0_10empty_typeEbEEZZNS1_14partition_implILS5_6ELb0ES3_mN6thrust23THRUST_200600_302600_NS6detail15normal_iteratorINSA_10device_ptrIiEEEEPS6_SG_NS0_5tupleIJSF_S6_EEENSH_IJSG_SG_EEES6_PlJNSB_9not_fun_tI6is_oddIiEEEEEE10hipError_tPvRmT3_T4_T5_T6_T7_T9_mT8_P12ihipStream_tbDpT10_ENKUlT_T0_E_clISt17integral_constantIbLb0EES17_IbLb1EEEEDaS13_S14_EUlS13_E_NS1_11comp_targetILNS1_3genE4ELNS1_11target_archE910ELNS1_3gpuE8ELNS1_3repE0EEENS1_30default_config_static_selectorELNS0_4arch9wavefront6targetE0EEEvT1_, .Lfunc_end109-_ZN7rocprim17ROCPRIM_400000_NS6detail17trampoline_kernelINS0_14default_configENS1_25partition_config_selectorILNS1_17partition_subalgoE6EiNS0_10empty_typeEbEEZZNS1_14partition_implILS5_6ELb0ES3_mN6thrust23THRUST_200600_302600_NS6detail15normal_iteratorINSA_10device_ptrIiEEEEPS6_SG_NS0_5tupleIJSF_S6_EEENSH_IJSG_SG_EEES6_PlJNSB_9not_fun_tI6is_oddIiEEEEEE10hipError_tPvRmT3_T4_T5_T6_T7_T9_mT8_P12ihipStream_tbDpT10_ENKUlT_T0_E_clISt17integral_constantIbLb0EES17_IbLb1EEEEDaS13_S14_EUlS13_E_NS1_11comp_targetILNS1_3genE4ELNS1_11target_archE910ELNS1_3gpuE8ELNS1_3repE0EEENS1_30default_config_static_selectorELNS0_4arch9wavefront6targetE0EEEvT1_
                                        ; -- End function
	.set _ZN7rocprim17ROCPRIM_400000_NS6detail17trampoline_kernelINS0_14default_configENS1_25partition_config_selectorILNS1_17partition_subalgoE6EiNS0_10empty_typeEbEEZZNS1_14partition_implILS5_6ELb0ES3_mN6thrust23THRUST_200600_302600_NS6detail15normal_iteratorINSA_10device_ptrIiEEEEPS6_SG_NS0_5tupleIJSF_S6_EEENSH_IJSG_SG_EEES6_PlJNSB_9not_fun_tI6is_oddIiEEEEEE10hipError_tPvRmT3_T4_T5_T6_T7_T9_mT8_P12ihipStream_tbDpT10_ENKUlT_T0_E_clISt17integral_constantIbLb0EES17_IbLb1EEEEDaS13_S14_EUlS13_E_NS1_11comp_targetILNS1_3genE4ELNS1_11target_archE910ELNS1_3gpuE8ELNS1_3repE0EEENS1_30default_config_static_selectorELNS0_4arch9wavefront6targetE0EEEvT1_.num_vgpr, 0
	.set _ZN7rocprim17ROCPRIM_400000_NS6detail17trampoline_kernelINS0_14default_configENS1_25partition_config_selectorILNS1_17partition_subalgoE6EiNS0_10empty_typeEbEEZZNS1_14partition_implILS5_6ELb0ES3_mN6thrust23THRUST_200600_302600_NS6detail15normal_iteratorINSA_10device_ptrIiEEEEPS6_SG_NS0_5tupleIJSF_S6_EEENSH_IJSG_SG_EEES6_PlJNSB_9not_fun_tI6is_oddIiEEEEEE10hipError_tPvRmT3_T4_T5_T6_T7_T9_mT8_P12ihipStream_tbDpT10_ENKUlT_T0_E_clISt17integral_constantIbLb0EES17_IbLb1EEEEDaS13_S14_EUlS13_E_NS1_11comp_targetILNS1_3genE4ELNS1_11target_archE910ELNS1_3gpuE8ELNS1_3repE0EEENS1_30default_config_static_selectorELNS0_4arch9wavefront6targetE0EEEvT1_.num_agpr, 0
	.set _ZN7rocprim17ROCPRIM_400000_NS6detail17trampoline_kernelINS0_14default_configENS1_25partition_config_selectorILNS1_17partition_subalgoE6EiNS0_10empty_typeEbEEZZNS1_14partition_implILS5_6ELb0ES3_mN6thrust23THRUST_200600_302600_NS6detail15normal_iteratorINSA_10device_ptrIiEEEEPS6_SG_NS0_5tupleIJSF_S6_EEENSH_IJSG_SG_EEES6_PlJNSB_9not_fun_tI6is_oddIiEEEEEE10hipError_tPvRmT3_T4_T5_T6_T7_T9_mT8_P12ihipStream_tbDpT10_ENKUlT_T0_E_clISt17integral_constantIbLb0EES17_IbLb1EEEEDaS13_S14_EUlS13_E_NS1_11comp_targetILNS1_3genE4ELNS1_11target_archE910ELNS1_3gpuE8ELNS1_3repE0EEENS1_30default_config_static_selectorELNS0_4arch9wavefront6targetE0EEEvT1_.numbered_sgpr, 0
	.set _ZN7rocprim17ROCPRIM_400000_NS6detail17trampoline_kernelINS0_14default_configENS1_25partition_config_selectorILNS1_17partition_subalgoE6EiNS0_10empty_typeEbEEZZNS1_14partition_implILS5_6ELb0ES3_mN6thrust23THRUST_200600_302600_NS6detail15normal_iteratorINSA_10device_ptrIiEEEEPS6_SG_NS0_5tupleIJSF_S6_EEENSH_IJSG_SG_EEES6_PlJNSB_9not_fun_tI6is_oddIiEEEEEE10hipError_tPvRmT3_T4_T5_T6_T7_T9_mT8_P12ihipStream_tbDpT10_ENKUlT_T0_E_clISt17integral_constantIbLb0EES17_IbLb1EEEEDaS13_S14_EUlS13_E_NS1_11comp_targetILNS1_3genE4ELNS1_11target_archE910ELNS1_3gpuE8ELNS1_3repE0EEENS1_30default_config_static_selectorELNS0_4arch9wavefront6targetE0EEEvT1_.num_named_barrier, 0
	.set _ZN7rocprim17ROCPRIM_400000_NS6detail17trampoline_kernelINS0_14default_configENS1_25partition_config_selectorILNS1_17partition_subalgoE6EiNS0_10empty_typeEbEEZZNS1_14partition_implILS5_6ELb0ES3_mN6thrust23THRUST_200600_302600_NS6detail15normal_iteratorINSA_10device_ptrIiEEEEPS6_SG_NS0_5tupleIJSF_S6_EEENSH_IJSG_SG_EEES6_PlJNSB_9not_fun_tI6is_oddIiEEEEEE10hipError_tPvRmT3_T4_T5_T6_T7_T9_mT8_P12ihipStream_tbDpT10_ENKUlT_T0_E_clISt17integral_constantIbLb0EES17_IbLb1EEEEDaS13_S14_EUlS13_E_NS1_11comp_targetILNS1_3genE4ELNS1_11target_archE910ELNS1_3gpuE8ELNS1_3repE0EEENS1_30default_config_static_selectorELNS0_4arch9wavefront6targetE0EEEvT1_.private_seg_size, 0
	.set _ZN7rocprim17ROCPRIM_400000_NS6detail17trampoline_kernelINS0_14default_configENS1_25partition_config_selectorILNS1_17partition_subalgoE6EiNS0_10empty_typeEbEEZZNS1_14partition_implILS5_6ELb0ES3_mN6thrust23THRUST_200600_302600_NS6detail15normal_iteratorINSA_10device_ptrIiEEEEPS6_SG_NS0_5tupleIJSF_S6_EEENSH_IJSG_SG_EEES6_PlJNSB_9not_fun_tI6is_oddIiEEEEEE10hipError_tPvRmT3_T4_T5_T6_T7_T9_mT8_P12ihipStream_tbDpT10_ENKUlT_T0_E_clISt17integral_constantIbLb0EES17_IbLb1EEEEDaS13_S14_EUlS13_E_NS1_11comp_targetILNS1_3genE4ELNS1_11target_archE910ELNS1_3gpuE8ELNS1_3repE0EEENS1_30default_config_static_selectorELNS0_4arch9wavefront6targetE0EEEvT1_.uses_vcc, 0
	.set _ZN7rocprim17ROCPRIM_400000_NS6detail17trampoline_kernelINS0_14default_configENS1_25partition_config_selectorILNS1_17partition_subalgoE6EiNS0_10empty_typeEbEEZZNS1_14partition_implILS5_6ELb0ES3_mN6thrust23THRUST_200600_302600_NS6detail15normal_iteratorINSA_10device_ptrIiEEEEPS6_SG_NS0_5tupleIJSF_S6_EEENSH_IJSG_SG_EEES6_PlJNSB_9not_fun_tI6is_oddIiEEEEEE10hipError_tPvRmT3_T4_T5_T6_T7_T9_mT8_P12ihipStream_tbDpT10_ENKUlT_T0_E_clISt17integral_constantIbLb0EES17_IbLb1EEEEDaS13_S14_EUlS13_E_NS1_11comp_targetILNS1_3genE4ELNS1_11target_archE910ELNS1_3gpuE8ELNS1_3repE0EEENS1_30default_config_static_selectorELNS0_4arch9wavefront6targetE0EEEvT1_.uses_flat_scratch, 0
	.set _ZN7rocprim17ROCPRIM_400000_NS6detail17trampoline_kernelINS0_14default_configENS1_25partition_config_selectorILNS1_17partition_subalgoE6EiNS0_10empty_typeEbEEZZNS1_14partition_implILS5_6ELb0ES3_mN6thrust23THRUST_200600_302600_NS6detail15normal_iteratorINSA_10device_ptrIiEEEEPS6_SG_NS0_5tupleIJSF_S6_EEENSH_IJSG_SG_EEES6_PlJNSB_9not_fun_tI6is_oddIiEEEEEE10hipError_tPvRmT3_T4_T5_T6_T7_T9_mT8_P12ihipStream_tbDpT10_ENKUlT_T0_E_clISt17integral_constantIbLb0EES17_IbLb1EEEEDaS13_S14_EUlS13_E_NS1_11comp_targetILNS1_3genE4ELNS1_11target_archE910ELNS1_3gpuE8ELNS1_3repE0EEENS1_30default_config_static_selectorELNS0_4arch9wavefront6targetE0EEEvT1_.has_dyn_sized_stack, 0
	.set _ZN7rocprim17ROCPRIM_400000_NS6detail17trampoline_kernelINS0_14default_configENS1_25partition_config_selectorILNS1_17partition_subalgoE6EiNS0_10empty_typeEbEEZZNS1_14partition_implILS5_6ELb0ES3_mN6thrust23THRUST_200600_302600_NS6detail15normal_iteratorINSA_10device_ptrIiEEEEPS6_SG_NS0_5tupleIJSF_S6_EEENSH_IJSG_SG_EEES6_PlJNSB_9not_fun_tI6is_oddIiEEEEEE10hipError_tPvRmT3_T4_T5_T6_T7_T9_mT8_P12ihipStream_tbDpT10_ENKUlT_T0_E_clISt17integral_constantIbLb0EES17_IbLb1EEEEDaS13_S14_EUlS13_E_NS1_11comp_targetILNS1_3genE4ELNS1_11target_archE910ELNS1_3gpuE8ELNS1_3repE0EEENS1_30default_config_static_selectorELNS0_4arch9wavefront6targetE0EEEvT1_.has_recursion, 0
	.set _ZN7rocprim17ROCPRIM_400000_NS6detail17trampoline_kernelINS0_14default_configENS1_25partition_config_selectorILNS1_17partition_subalgoE6EiNS0_10empty_typeEbEEZZNS1_14partition_implILS5_6ELb0ES3_mN6thrust23THRUST_200600_302600_NS6detail15normal_iteratorINSA_10device_ptrIiEEEEPS6_SG_NS0_5tupleIJSF_S6_EEENSH_IJSG_SG_EEES6_PlJNSB_9not_fun_tI6is_oddIiEEEEEE10hipError_tPvRmT3_T4_T5_T6_T7_T9_mT8_P12ihipStream_tbDpT10_ENKUlT_T0_E_clISt17integral_constantIbLb0EES17_IbLb1EEEEDaS13_S14_EUlS13_E_NS1_11comp_targetILNS1_3genE4ELNS1_11target_archE910ELNS1_3gpuE8ELNS1_3repE0EEENS1_30default_config_static_selectorELNS0_4arch9wavefront6targetE0EEEvT1_.has_indirect_call, 0
	.section	.AMDGPU.csdata,"",@progbits
; Kernel info:
; codeLenInByte = 0
; TotalNumSgprs: 0
; NumVgprs: 0
; ScratchSize: 0
; MemoryBound: 0
; FloatMode: 240
; IeeeMode: 1
; LDSByteSize: 0 bytes/workgroup (compile time only)
; SGPRBlocks: 0
; VGPRBlocks: 0
; NumSGPRsForWavesPerEU: 1
; NumVGPRsForWavesPerEU: 1
; Occupancy: 16
; WaveLimiterHint : 0
; COMPUTE_PGM_RSRC2:SCRATCH_EN: 0
; COMPUTE_PGM_RSRC2:USER_SGPR: 2
; COMPUTE_PGM_RSRC2:TRAP_HANDLER: 0
; COMPUTE_PGM_RSRC2:TGID_X_EN: 1
; COMPUTE_PGM_RSRC2:TGID_Y_EN: 0
; COMPUTE_PGM_RSRC2:TGID_Z_EN: 0
; COMPUTE_PGM_RSRC2:TIDIG_COMP_CNT: 0
	.section	.text._ZN7rocprim17ROCPRIM_400000_NS6detail17trampoline_kernelINS0_14default_configENS1_25partition_config_selectorILNS1_17partition_subalgoE6EiNS0_10empty_typeEbEEZZNS1_14partition_implILS5_6ELb0ES3_mN6thrust23THRUST_200600_302600_NS6detail15normal_iteratorINSA_10device_ptrIiEEEEPS6_SG_NS0_5tupleIJSF_S6_EEENSH_IJSG_SG_EEES6_PlJNSB_9not_fun_tI6is_oddIiEEEEEE10hipError_tPvRmT3_T4_T5_T6_T7_T9_mT8_P12ihipStream_tbDpT10_ENKUlT_T0_E_clISt17integral_constantIbLb0EES17_IbLb1EEEEDaS13_S14_EUlS13_E_NS1_11comp_targetILNS1_3genE3ELNS1_11target_archE908ELNS1_3gpuE7ELNS1_3repE0EEENS1_30default_config_static_selectorELNS0_4arch9wavefront6targetE0EEEvT1_,"axG",@progbits,_ZN7rocprim17ROCPRIM_400000_NS6detail17trampoline_kernelINS0_14default_configENS1_25partition_config_selectorILNS1_17partition_subalgoE6EiNS0_10empty_typeEbEEZZNS1_14partition_implILS5_6ELb0ES3_mN6thrust23THRUST_200600_302600_NS6detail15normal_iteratorINSA_10device_ptrIiEEEEPS6_SG_NS0_5tupleIJSF_S6_EEENSH_IJSG_SG_EEES6_PlJNSB_9not_fun_tI6is_oddIiEEEEEE10hipError_tPvRmT3_T4_T5_T6_T7_T9_mT8_P12ihipStream_tbDpT10_ENKUlT_T0_E_clISt17integral_constantIbLb0EES17_IbLb1EEEEDaS13_S14_EUlS13_E_NS1_11comp_targetILNS1_3genE3ELNS1_11target_archE908ELNS1_3gpuE7ELNS1_3repE0EEENS1_30default_config_static_selectorELNS0_4arch9wavefront6targetE0EEEvT1_,comdat
	.protected	_ZN7rocprim17ROCPRIM_400000_NS6detail17trampoline_kernelINS0_14default_configENS1_25partition_config_selectorILNS1_17partition_subalgoE6EiNS0_10empty_typeEbEEZZNS1_14partition_implILS5_6ELb0ES3_mN6thrust23THRUST_200600_302600_NS6detail15normal_iteratorINSA_10device_ptrIiEEEEPS6_SG_NS0_5tupleIJSF_S6_EEENSH_IJSG_SG_EEES6_PlJNSB_9not_fun_tI6is_oddIiEEEEEE10hipError_tPvRmT3_T4_T5_T6_T7_T9_mT8_P12ihipStream_tbDpT10_ENKUlT_T0_E_clISt17integral_constantIbLb0EES17_IbLb1EEEEDaS13_S14_EUlS13_E_NS1_11comp_targetILNS1_3genE3ELNS1_11target_archE908ELNS1_3gpuE7ELNS1_3repE0EEENS1_30default_config_static_selectorELNS0_4arch9wavefront6targetE0EEEvT1_ ; -- Begin function _ZN7rocprim17ROCPRIM_400000_NS6detail17trampoline_kernelINS0_14default_configENS1_25partition_config_selectorILNS1_17partition_subalgoE6EiNS0_10empty_typeEbEEZZNS1_14partition_implILS5_6ELb0ES3_mN6thrust23THRUST_200600_302600_NS6detail15normal_iteratorINSA_10device_ptrIiEEEEPS6_SG_NS0_5tupleIJSF_S6_EEENSH_IJSG_SG_EEES6_PlJNSB_9not_fun_tI6is_oddIiEEEEEE10hipError_tPvRmT3_T4_T5_T6_T7_T9_mT8_P12ihipStream_tbDpT10_ENKUlT_T0_E_clISt17integral_constantIbLb0EES17_IbLb1EEEEDaS13_S14_EUlS13_E_NS1_11comp_targetILNS1_3genE3ELNS1_11target_archE908ELNS1_3gpuE7ELNS1_3repE0EEENS1_30default_config_static_selectorELNS0_4arch9wavefront6targetE0EEEvT1_
	.globl	_ZN7rocprim17ROCPRIM_400000_NS6detail17trampoline_kernelINS0_14default_configENS1_25partition_config_selectorILNS1_17partition_subalgoE6EiNS0_10empty_typeEbEEZZNS1_14partition_implILS5_6ELb0ES3_mN6thrust23THRUST_200600_302600_NS6detail15normal_iteratorINSA_10device_ptrIiEEEEPS6_SG_NS0_5tupleIJSF_S6_EEENSH_IJSG_SG_EEES6_PlJNSB_9not_fun_tI6is_oddIiEEEEEE10hipError_tPvRmT3_T4_T5_T6_T7_T9_mT8_P12ihipStream_tbDpT10_ENKUlT_T0_E_clISt17integral_constantIbLb0EES17_IbLb1EEEEDaS13_S14_EUlS13_E_NS1_11comp_targetILNS1_3genE3ELNS1_11target_archE908ELNS1_3gpuE7ELNS1_3repE0EEENS1_30default_config_static_selectorELNS0_4arch9wavefront6targetE0EEEvT1_
	.p2align	8
	.type	_ZN7rocprim17ROCPRIM_400000_NS6detail17trampoline_kernelINS0_14default_configENS1_25partition_config_selectorILNS1_17partition_subalgoE6EiNS0_10empty_typeEbEEZZNS1_14partition_implILS5_6ELb0ES3_mN6thrust23THRUST_200600_302600_NS6detail15normal_iteratorINSA_10device_ptrIiEEEEPS6_SG_NS0_5tupleIJSF_S6_EEENSH_IJSG_SG_EEES6_PlJNSB_9not_fun_tI6is_oddIiEEEEEE10hipError_tPvRmT3_T4_T5_T6_T7_T9_mT8_P12ihipStream_tbDpT10_ENKUlT_T0_E_clISt17integral_constantIbLb0EES17_IbLb1EEEEDaS13_S14_EUlS13_E_NS1_11comp_targetILNS1_3genE3ELNS1_11target_archE908ELNS1_3gpuE7ELNS1_3repE0EEENS1_30default_config_static_selectorELNS0_4arch9wavefront6targetE0EEEvT1_,@function
_ZN7rocprim17ROCPRIM_400000_NS6detail17trampoline_kernelINS0_14default_configENS1_25partition_config_selectorILNS1_17partition_subalgoE6EiNS0_10empty_typeEbEEZZNS1_14partition_implILS5_6ELb0ES3_mN6thrust23THRUST_200600_302600_NS6detail15normal_iteratorINSA_10device_ptrIiEEEEPS6_SG_NS0_5tupleIJSF_S6_EEENSH_IJSG_SG_EEES6_PlJNSB_9not_fun_tI6is_oddIiEEEEEE10hipError_tPvRmT3_T4_T5_T6_T7_T9_mT8_P12ihipStream_tbDpT10_ENKUlT_T0_E_clISt17integral_constantIbLb0EES17_IbLb1EEEEDaS13_S14_EUlS13_E_NS1_11comp_targetILNS1_3genE3ELNS1_11target_archE908ELNS1_3gpuE7ELNS1_3repE0EEENS1_30default_config_static_selectorELNS0_4arch9wavefront6targetE0EEEvT1_: ; @_ZN7rocprim17ROCPRIM_400000_NS6detail17trampoline_kernelINS0_14default_configENS1_25partition_config_selectorILNS1_17partition_subalgoE6EiNS0_10empty_typeEbEEZZNS1_14partition_implILS5_6ELb0ES3_mN6thrust23THRUST_200600_302600_NS6detail15normal_iteratorINSA_10device_ptrIiEEEEPS6_SG_NS0_5tupleIJSF_S6_EEENSH_IJSG_SG_EEES6_PlJNSB_9not_fun_tI6is_oddIiEEEEEE10hipError_tPvRmT3_T4_T5_T6_T7_T9_mT8_P12ihipStream_tbDpT10_ENKUlT_T0_E_clISt17integral_constantIbLb0EES17_IbLb1EEEEDaS13_S14_EUlS13_E_NS1_11comp_targetILNS1_3genE3ELNS1_11target_archE908ELNS1_3gpuE7ELNS1_3repE0EEENS1_30default_config_static_selectorELNS0_4arch9wavefront6targetE0EEEvT1_
; %bb.0:
	.section	.rodata,"a",@progbits
	.p2align	6, 0x0
	.amdhsa_kernel _ZN7rocprim17ROCPRIM_400000_NS6detail17trampoline_kernelINS0_14default_configENS1_25partition_config_selectorILNS1_17partition_subalgoE6EiNS0_10empty_typeEbEEZZNS1_14partition_implILS5_6ELb0ES3_mN6thrust23THRUST_200600_302600_NS6detail15normal_iteratorINSA_10device_ptrIiEEEEPS6_SG_NS0_5tupleIJSF_S6_EEENSH_IJSG_SG_EEES6_PlJNSB_9not_fun_tI6is_oddIiEEEEEE10hipError_tPvRmT3_T4_T5_T6_T7_T9_mT8_P12ihipStream_tbDpT10_ENKUlT_T0_E_clISt17integral_constantIbLb0EES17_IbLb1EEEEDaS13_S14_EUlS13_E_NS1_11comp_targetILNS1_3genE3ELNS1_11target_archE908ELNS1_3gpuE7ELNS1_3repE0EEENS1_30default_config_static_selectorELNS0_4arch9wavefront6targetE0EEEvT1_
		.amdhsa_group_segment_fixed_size 0
		.amdhsa_private_segment_fixed_size 0
		.amdhsa_kernarg_size 128
		.amdhsa_user_sgpr_count 2
		.amdhsa_user_sgpr_dispatch_ptr 0
		.amdhsa_user_sgpr_queue_ptr 0
		.amdhsa_user_sgpr_kernarg_segment_ptr 1
		.amdhsa_user_sgpr_dispatch_id 0
		.amdhsa_user_sgpr_private_segment_size 0
		.amdhsa_wavefront_size32 1
		.amdhsa_uses_dynamic_stack 0
		.amdhsa_enable_private_segment 0
		.amdhsa_system_sgpr_workgroup_id_x 1
		.amdhsa_system_sgpr_workgroup_id_y 0
		.amdhsa_system_sgpr_workgroup_id_z 0
		.amdhsa_system_sgpr_workgroup_info 0
		.amdhsa_system_vgpr_workitem_id 0
		.amdhsa_next_free_vgpr 1
		.amdhsa_next_free_sgpr 1
		.amdhsa_reserve_vcc 0
		.amdhsa_float_round_mode_32 0
		.amdhsa_float_round_mode_16_64 0
		.amdhsa_float_denorm_mode_32 3
		.amdhsa_float_denorm_mode_16_64 3
		.amdhsa_fp16_overflow 0
		.amdhsa_workgroup_processor_mode 1
		.amdhsa_memory_ordered 1
		.amdhsa_forward_progress 1
		.amdhsa_inst_pref_size 0
		.amdhsa_round_robin_scheduling 0
		.amdhsa_exception_fp_ieee_invalid_op 0
		.amdhsa_exception_fp_denorm_src 0
		.amdhsa_exception_fp_ieee_div_zero 0
		.amdhsa_exception_fp_ieee_overflow 0
		.amdhsa_exception_fp_ieee_underflow 0
		.amdhsa_exception_fp_ieee_inexact 0
		.amdhsa_exception_int_div_zero 0
	.end_amdhsa_kernel
	.section	.text._ZN7rocprim17ROCPRIM_400000_NS6detail17trampoline_kernelINS0_14default_configENS1_25partition_config_selectorILNS1_17partition_subalgoE6EiNS0_10empty_typeEbEEZZNS1_14partition_implILS5_6ELb0ES3_mN6thrust23THRUST_200600_302600_NS6detail15normal_iteratorINSA_10device_ptrIiEEEEPS6_SG_NS0_5tupleIJSF_S6_EEENSH_IJSG_SG_EEES6_PlJNSB_9not_fun_tI6is_oddIiEEEEEE10hipError_tPvRmT3_T4_T5_T6_T7_T9_mT8_P12ihipStream_tbDpT10_ENKUlT_T0_E_clISt17integral_constantIbLb0EES17_IbLb1EEEEDaS13_S14_EUlS13_E_NS1_11comp_targetILNS1_3genE3ELNS1_11target_archE908ELNS1_3gpuE7ELNS1_3repE0EEENS1_30default_config_static_selectorELNS0_4arch9wavefront6targetE0EEEvT1_,"axG",@progbits,_ZN7rocprim17ROCPRIM_400000_NS6detail17trampoline_kernelINS0_14default_configENS1_25partition_config_selectorILNS1_17partition_subalgoE6EiNS0_10empty_typeEbEEZZNS1_14partition_implILS5_6ELb0ES3_mN6thrust23THRUST_200600_302600_NS6detail15normal_iteratorINSA_10device_ptrIiEEEEPS6_SG_NS0_5tupleIJSF_S6_EEENSH_IJSG_SG_EEES6_PlJNSB_9not_fun_tI6is_oddIiEEEEEE10hipError_tPvRmT3_T4_T5_T6_T7_T9_mT8_P12ihipStream_tbDpT10_ENKUlT_T0_E_clISt17integral_constantIbLb0EES17_IbLb1EEEEDaS13_S14_EUlS13_E_NS1_11comp_targetILNS1_3genE3ELNS1_11target_archE908ELNS1_3gpuE7ELNS1_3repE0EEENS1_30default_config_static_selectorELNS0_4arch9wavefront6targetE0EEEvT1_,comdat
.Lfunc_end110:
	.size	_ZN7rocprim17ROCPRIM_400000_NS6detail17trampoline_kernelINS0_14default_configENS1_25partition_config_selectorILNS1_17partition_subalgoE6EiNS0_10empty_typeEbEEZZNS1_14partition_implILS5_6ELb0ES3_mN6thrust23THRUST_200600_302600_NS6detail15normal_iteratorINSA_10device_ptrIiEEEEPS6_SG_NS0_5tupleIJSF_S6_EEENSH_IJSG_SG_EEES6_PlJNSB_9not_fun_tI6is_oddIiEEEEEE10hipError_tPvRmT3_T4_T5_T6_T7_T9_mT8_P12ihipStream_tbDpT10_ENKUlT_T0_E_clISt17integral_constantIbLb0EES17_IbLb1EEEEDaS13_S14_EUlS13_E_NS1_11comp_targetILNS1_3genE3ELNS1_11target_archE908ELNS1_3gpuE7ELNS1_3repE0EEENS1_30default_config_static_selectorELNS0_4arch9wavefront6targetE0EEEvT1_, .Lfunc_end110-_ZN7rocprim17ROCPRIM_400000_NS6detail17trampoline_kernelINS0_14default_configENS1_25partition_config_selectorILNS1_17partition_subalgoE6EiNS0_10empty_typeEbEEZZNS1_14partition_implILS5_6ELb0ES3_mN6thrust23THRUST_200600_302600_NS6detail15normal_iteratorINSA_10device_ptrIiEEEEPS6_SG_NS0_5tupleIJSF_S6_EEENSH_IJSG_SG_EEES6_PlJNSB_9not_fun_tI6is_oddIiEEEEEE10hipError_tPvRmT3_T4_T5_T6_T7_T9_mT8_P12ihipStream_tbDpT10_ENKUlT_T0_E_clISt17integral_constantIbLb0EES17_IbLb1EEEEDaS13_S14_EUlS13_E_NS1_11comp_targetILNS1_3genE3ELNS1_11target_archE908ELNS1_3gpuE7ELNS1_3repE0EEENS1_30default_config_static_selectorELNS0_4arch9wavefront6targetE0EEEvT1_
                                        ; -- End function
	.set _ZN7rocprim17ROCPRIM_400000_NS6detail17trampoline_kernelINS0_14default_configENS1_25partition_config_selectorILNS1_17partition_subalgoE6EiNS0_10empty_typeEbEEZZNS1_14partition_implILS5_6ELb0ES3_mN6thrust23THRUST_200600_302600_NS6detail15normal_iteratorINSA_10device_ptrIiEEEEPS6_SG_NS0_5tupleIJSF_S6_EEENSH_IJSG_SG_EEES6_PlJNSB_9not_fun_tI6is_oddIiEEEEEE10hipError_tPvRmT3_T4_T5_T6_T7_T9_mT8_P12ihipStream_tbDpT10_ENKUlT_T0_E_clISt17integral_constantIbLb0EES17_IbLb1EEEEDaS13_S14_EUlS13_E_NS1_11comp_targetILNS1_3genE3ELNS1_11target_archE908ELNS1_3gpuE7ELNS1_3repE0EEENS1_30default_config_static_selectorELNS0_4arch9wavefront6targetE0EEEvT1_.num_vgpr, 0
	.set _ZN7rocprim17ROCPRIM_400000_NS6detail17trampoline_kernelINS0_14default_configENS1_25partition_config_selectorILNS1_17partition_subalgoE6EiNS0_10empty_typeEbEEZZNS1_14partition_implILS5_6ELb0ES3_mN6thrust23THRUST_200600_302600_NS6detail15normal_iteratorINSA_10device_ptrIiEEEEPS6_SG_NS0_5tupleIJSF_S6_EEENSH_IJSG_SG_EEES6_PlJNSB_9not_fun_tI6is_oddIiEEEEEE10hipError_tPvRmT3_T4_T5_T6_T7_T9_mT8_P12ihipStream_tbDpT10_ENKUlT_T0_E_clISt17integral_constantIbLb0EES17_IbLb1EEEEDaS13_S14_EUlS13_E_NS1_11comp_targetILNS1_3genE3ELNS1_11target_archE908ELNS1_3gpuE7ELNS1_3repE0EEENS1_30default_config_static_selectorELNS0_4arch9wavefront6targetE0EEEvT1_.num_agpr, 0
	.set _ZN7rocprim17ROCPRIM_400000_NS6detail17trampoline_kernelINS0_14default_configENS1_25partition_config_selectorILNS1_17partition_subalgoE6EiNS0_10empty_typeEbEEZZNS1_14partition_implILS5_6ELb0ES3_mN6thrust23THRUST_200600_302600_NS6detail15normal_iteratorINSA_10device_ptrIiEEEEPS6_SG_NS0_5tupleIJSF_S6_EEENSH_IJSG_SG_EEES6_PlJNSB_9not_fun_tI6is_oddIiEEEEEE10hipError_tPvRmT3_T4_T5_T6_T7_T9_mT8_P12ihipStream_tbDpT10_ENKUlT_T0_E_clISt17integral_constantIbLb0EES17_IbLb1EEEEDaS13_S14_EUlS13_E_NS1_11comp_targetILNS1_3genE3ELNS1_11target_archE908ELNS1_3gpuE7ELNS1_3repE0EEENS1_30default_config_static_selectorELNS0_4arch9wavefront6targetE0EEEvT1_.numbered_sgpr, 0
	.set _ZN7rocprim17ROCPRIM_400000_NS6detail17trampoline_kernelINS0_14default_configENS1_25partition_config_selectorILNS1_17partition_subalgoE6EiNS0_10empty_typeEbEEZZNS1_14partition_implILS5_6ELb0ES3_mN6thrust23THRUST_200600_302600_NS6detail15normal_iteratorINSA_10device_ptrIiEEEEPS6_SG_NS0_5tupleIJSF_S6_EEENSH_IJSG_SG_EEES6_PlJNSB_9not_fun_tI6is_oddIiEEEEEE10hipError_tPvRmT3_T4_T5_T6_T7_T9_mT8_P12ihipStream_tbDpT10_ENKUlT_T0_E_clISt17integral_constantIbLb0EES17_IbLb1EEEEDaS13_S14_EUlS13_E_NS1_11comp_targetILNS1_3genE3ELNS1_11target_archE908ELNS1_3gpuE7ELNS1_3repE0EEENS1_30default_config_static_selectorELNS0_4arch9wavefront6targetE0EEEvT1_.num_named_barrier, 0
	.set _ZN7rocprim17ROCPRIM_400000_NS6detail17trampoline_kernelINS0_14default_configENS1_25partition_config_selectorILNS1_17partition_subalgoE6EiNS0_10empty_typeEbEEZZNS1_14partition_implILS5_6ELb0ES3_mN6thrust23THRUST_200600_302600_NS6detail15normal_iteratorINSA_10device_ptrIiEEEEPS6_SG_NS0_5tupleIJSF_S6_EEENSH_IJSG_SG_EEES6_PlJNSB_9not_fun_tI6is_oddIiEEEEEE10hipError_tPvRmT3_T4_T5_T6_T7_T9_mT8_P12ihipStream_tbDpT10_ENKUlT_T0_E_clISt17integral_constantIbLb0EES17_IbLb1EEEEDaS13_S14_EUlS13_E_NS1_11comp_targetILNS1_3genE3ELNS1_11target_archE908ELNS1_3gpuE7ELNS1_3repE0EEENS1_30default_config_static_selectorELNS0_4arch9wavefront6targetE0EEEvT1_.private_seg_size, 0
	.set _ZN7rocprim17ROCPRIM_400000_NS6detail17trampoline_kernelINS0_14default_configENS1_25partition_config_selectorILNS1_17partition_subalgoE6EiNS0_10empty_typeEbEEZZNS1_14partition_implILS5_6ELb0ES3_mN6thrust23THRUST_200600_302600_NS6detail15normal_iteratorINSA_10device_ptrIiEEEEPS6_SG_NS0_5tupleIJSF_S6_EEENSH_IJSG_SG_EEES6_PlJNSB_9not_fun_tI6is_oddIiEEEEEE10hipError_tPvRmT3_T4_T5_T6_T7_T9_mT8_P12ihipStream_tbDpT10_ENKUlT_T0_E_clISt17integral_constantIbLb0EES17_IbLb1EEEEDaS13_S14_EUlS13_E_NS1_11comp_targetILNS1_3genE3ELNS1_11target_archE908ELNS1_3gpuE7ELNS1_3repE0EEENS1_30default_config_static_selectorELNS0_4arch9wavefront6targetE0EEEvT1_.uses_vcc, 0
	.set _ZN7rocprim17ROCPRIM_400000_NS6detail17trampoline_kernelINS0_14default_configENS1_25partition_config_selectorILNS1_17partition_subalgoE6EiNS0_10empty_typeEbEEZZNS1_14partition_implILS5_6ELb0ES3_mN6thrust23THRUST_200600_302600_NS6detail15normal_iteratorINSA_10device_ptrIiEEEEPS6_SG_NS0_5tupleIJSF_S6_EEENSH_IJSG_SG_EEES6_PlJNSB_9not_fun_tI6is_oddIiEEEEEE10hipError_tPvRmT3_T4_T5_T6_T7_T9_mT8_P12ihipStream_tbDpT10_ENKUlT_T0_E_clISt17integral_constantIbLb0EES17_IbLb1EEEEDaS13_S14_EUlS13_E_NS1_11comp_targetILNS1_3genE3ELNS1_11target_archE908ELNS1_3gpuE7ELNS1_3repE0EEENS1_30default_config_static_selectorELNS0_4arch9wavefront6targetE0EEEvT1_.uses_flat_scratch, 0
	.set _ZN7rocprim17ROCPRIM_400000_NS6detail17trampoline_kernelINS0_14default_configENS1_25partition_config_selectorILNS1_17partition_subalgoE6EiNS0_10empty_typeEbEEZZNS1_14partition_implILS5_6ELb0ES3_mN6thrust23THRUST_200600_302600_NS6detail15normal_iteratorINSA_10device_ptrIiEEEEPS6_SG_NS0_5tupleIJSF_S6_EEENSH_IJSG_SG_EEES6_PlJNSB_9not_fun_tI6is_oddIiEEEEEE10hipError_tPvRmT3_T4_T5_T6_T7_T9_mT8_P12ihipStream_tbDpT10_ENKUlT_T0_E_clISt17integral_constantIbLb0EES17_IbLb1EEEEDaS13_S14_EUlS13_E_NS1_11comp_targetILNS1_3genE3ELNS1_11target_archE908ELNS1_3gpuE7ELNS1_3repE0EEENS1_30default_config_static_selectorELNS0_4arch9wavefront6targetE0EEEvT1_.has_dyn_sized_stack, 0
	.set _ZN7rocprim17ROCPRIM_400000_NS6detail17trampoline_kernelINS0_14default_configENS1_25partition_config_selectorILNS1_17partition_subalgoE6EiNS0_10empty_typeEbEEZZNS1_14partition_implILS5_6ELb0ES3_mN6thrust23THRUST_200600_302600_NS6detail15normal_iteratorINSA_10device_ptrIiEEEEPS6_SG_NS0_5tupleIJSF_S6_EEENSH_IJSG_SG_EEES6_PlJNSB_9not_fun_tI6is_oddIiEEEEEE10hipError_tPvRmT3_T4_T5_T6_T7_T9_mT8_P12ihipStream_tbDpT10_ENKUlT_T0_E_clISt17integral_constantIbLb0EES17_IbLb1EEEEDaS13_S14_EUlS13_E_NS1_11comp_targetILNS1_3genE3ELNS1_11target_archE908ELNS1_3gpuE7ELNS1_3repE0EEENS1_30default_config_static_selectorELNS0_4arch9wavefront6targetE0EEEvT1_.has_recursion, 0
	.set _ZN7rocprim17ROCPRIM_400000_NS6detail17trampoline_kernelINS0_14default_configENS1_25partition_config_selectorILNS1_17partition_subalgoE6EiNS0_10empty_typeEbEEZZNS1_14partition_implILS5_6ELb0ES3_mN6thrust23THRUST_200600_302600_NS6detail15normal_iteratorINSA_10device_ptrIiEEEEPS6_SG_NS0_5tupleIJSF_S6_EEENSH_IJSG_SG_EEES6_PlJNSB_9not_fun_tI6is_oddIiEEEEEE10hipError_tPvRmT3_T4_T5_T6_T7_T9_mT8_P12ihipStream_tbDpT10_ENKUlT_T0_E_clISt17integral_constantIbLb0EES17_IbLb1EEEEDaS13_S14_EUlS13_E_NS1_11comp_targetILNS1_3genE3ELNS1_11target_archE908ELNS1_3gpuE7ELNS1_3repE0EEENS1_30default_config_static_selectorELNS0_4arch9wavefront6targetE0EEEvT1_.has_indirect_call, 0
	.section	.AMDGPU.csdata,"",@progbits
; Kernel info:
; codeLenInByte = 0
; TotalNumSgprs: 0
; NumVgprs: 0
; ScratchSize: 0
; MemoryBound: 0
; FloatMode: 240
; IeeeMode: 1
; LDSByteSize: 0 bytes/workgroup (compile time only)
; SGPRBlocks: 0
; VGPRBlocks: 0
; NumSGPRsForWavesPerEU: 1
; NumVGPRsForWavesPerEU: 1
; Occupancy: 16
; WaveLimiterHint : 0
; COMPUTE_PGM_RSRC2:SCRATCH_EN: 0
; COMPUTE_PGM_RSRC2:USER_SGPR: 2
; COMPUTE_PGM_RSRC2:TRAP_HANDLER: 0
; COMPUTE_PGM_RSRC2:TGID_X_EN: 1
; COMPUTE_PGM_RSRC2:TGID_Y_EN: 0
; COMPUTE_PGM_RSRC2:TGID_Z_EN: 0
; COMPUTE_PGM_RSRC2:TIDIG_COMP_CNT: 0
	.section	.text._ZN7rocprim17ROCPRIM_400000_NS6detail17trampoline_kernelINS0_14default_configENS1_25partition_config_selectorILNS1_17partition_subalgoE6EiNS0_10empty_typeEbEEZZNS1_14partition_implILS5_6ELb0ES3_mN6thrust23THRUST_200600_302600_NS6detail15normal_iteratorINSA_10device_ptrIiEEEEPS6_SG_NS0_5tupleIJSF_S6_EEENSH_IJSG_SG_EEES6_PlJNSB_9not_fun_tI6is_oddIiEEEEEE10hipError_tPvRmT3_T4_T5_T6_T7_T9_mT8_P12ihipStream_tbDpT10_ENKUlT_T0_E_clISt17integral_constantIbLb0EES17_IbLb1EEEEDaS13_S14_EUlS13_E_NS1_11comp_targetILNS1_3genE2ELNS1_11target_archE906ELNS1_3gpuE6ELNS1_3repE0EEENS1_30default_config_static_selectorELNS0_4arch9wavefront6targetE0EEEvT1_,"axG",@progbits,_ZN7rocprim17ROCPRIM_400000_NS6detail17trampoline_kernelINS0_14default_configENS1_25partition_config_selectorILNS1_17partition_subalgoE6EiNS0_10empty_typeEbEEZZNS1_14partition_implILS5_6ELb0ES3_mN6thrust23THRUST_200600_302600_NS6detail15normal_iteratorINSA_10device_ptrIiEEEEPS6_SG_NS0_5tupleIJSF_S6_EEENSH_IJSG_SG_EEES6_PlJNSB_9not_fun_tI6is_oddIiEEEEEE10hipError_tPvRmT3_T4_T5_T6_T7_T9_mT8_P12ihipStream_tbDpT10_ENKUlT_T0_E_clISt17integral_constantIbLb0EES17_IbLb1EEEEDaS13_S14_EUlS13_E_NS1_11comp_targetILNS1_3genE2ELNS1_11target_archE906ELNS1_3gpuE6ELNS1_3repE0EEENS1_30default_config_static_selectorELNS0_4arch9wavefront6targetE0EEEvT1_,comdat
	.protected	_ZN7rocprim17ROCPRIM_400000_NS6detail17trampoline_kernelINS0_14default_configENS1_25partition_config_selectorILNS1_17partition_subalgoE6EiNS0_10empty_typeEbEEZZNS1_14partition_implILS5_6ELb0ES3_mN6thrust23THRUST_200600_302600_NS6detail15normal_iteratorINSA_10device_ptrIiEEEEPS6_SG_NS0_5tupleIJSF_S6_EEENSH_IJSG_SG_EEES6_PlJNSB_9not_fun_tI6is_oddIiEEEEEE10hipError_tPvRmT3_T4_T5_T6_T7_T9_mT8_P12ihipStream_tbDpT10_ENKUlT_T0_E_clISt17integral_constantIbLb0EES17_IbLb1EEEEDaS13_S14_EUlS13_E_NS1_11comp_targetILNS1_3genE2ELNS1_11target_archE906ELNS1_3gpuE6ELNS1_3repE0EEENS1_30default_config_static_selectorELNS0_4arch9wavefront6targetE0EEEvT1_ ; -- Begin function _ZN7rocprim17ROCPRIM_400000_NS6detail17trampoline_kernelINS0_14default_configENS1_25partition_config_selectorILNS1_17partition_subalgoE6EiNS0_10empty_typeEbEEZZNS1_14partition_implILS5_6ELb0ES3_mN6thrust23THRUST_200600_302600_NS6detail15normal_iteratorINSA_10device_ptrIiEEEEPS6_SG_NS0_5tupleIJSF_S6_EEENSH_IJSG_SG_EEES6_PlJNSB_9not_fun_tI6is_oddIiEEEEEE10hipError_tPvRmT3_T4_T5_T6_T7_T9_mT8_P12ihipStream_tbDpT10_ENKUlT_T0_E_clISt17integral_constantIbLb0EES17_IbLb1EEEEDaS13_S14_EUlS13_E_NS1_11comp_targetILNS1_3genE2ELNS1_11target_archE906ELNS1_3gpuE6ELNS1_3repE0EEENS1_30default_config_static_selectorELNS0_4arch9wavefront6targetE0EEEvT1_
	.globl	_ZN7rocprim17ROCPRIM_400000_NS6detail17trampoline_kernelINS0_14default_configENS1_25partition_config_selectorILNS1_17partition_subalgoE6EiNS0_10empty_typeEbEEZZNS1_14partition_implILS5_6ELb0ES3_mN6thrust23THRUST_200600_302600_NS6detail15normal_iteratorINSA_10device_ptrIiEEEEPS6_SG_NS0_5tupleIJSF_S6_EEENSH_IJSG_SG_EEES6_PlJNSB_9not_fun_tI6is_oddIiEEEEEE10hipError_tPvRmT3_T4_T5_T6_T7_T9_mT8_P12ihipStream_tbDpT10_ENKUlT_T0_E_clISt17integral_constantIbLb0EES17_IbLb1EEEEDaS13_S14_EUlS13_E_NS1_11comp_targetILNS1_3genE2ELNS1_11target_archE906ELNS1_3gpuE6ELNS1_3repE0EEENS1_30default_config_static_selectorELNS0_4arch9wavefront6targetE0EEEvT1_
	.p2align	8
	.type	_ZN7rocprim17ROCPRIM_400000_NS6detail17trampoline_kernelINS0_14default_configENS1_25partition_config_selectorILNS1_17partition_subalgoE6EiNS0_10empty_typeEbEEZZNS1_14partition_implILS5_6ELb0ES3_mN6thrust23THRUST_200600_302600_NS6detail15normal_iteratorINSA_10device_ptrIiEEEEPS6_SG_NS0_5tupleIJSF_S6_EEENSH_IJSG_SG_EEES6_PlJNSB_9not_fun_tI6is_oddIiEEEEEE10hipError_tPvRmT3_T4_T5_T6_T7_T9_mT8_P12ihipStream_tbDpT10_ENKUlT_T0_E_clISt17integral_constantIbLb0EES17_IbLb1EEEEDaS13_S14_EUlS13_E_NS1_11comp_targetILNS1_3genE2ELNS1_11target_archE906ELNS1_3gpuE6ELNS1_3repE0EEENS1_30default_config_static_selectorELNS0_4arch9wavefront6targetE0EEEvT1_,@function
_ZN7rocprim17ROCPRIM_400000_NS6detail17trampoline_kernelINS0_14default_configENS1_25partition_config_selectorILNS1_17partition_subalgoE6EiNS0_10empty_typeEbEEZZNS1_14partition_implILS5_6ELb0ES3_mN6thrust23THRUST_200600_302600_NS6detail15normal_iteratorINSA_10device_ptrIiEEEEPS6_SG_NS0_5tupleIJSF_S6_EEENSH_IJSG_SG_EEES6_PlJNSB_9not_fun_tI6is_oddIiEEEEEE10hipError_tPvRmT3_T4_T5_T6_T7_T9_mT8_P12ihipStream_tbDpT10_ENKUlT_T0_E_clISt17integral_constantIbLb0EES17_IbLb1EEEEDaS13_S14_EUlS13_E_NS1_11comp_targetILNS1_3genE2ELNS1_11target_archE906ELNS1_3gpuE6ELNS1_3repE0EEENS1_30default_config_static_selectorELNS0_4arch9wavefront6targetE0EEEvT1_: ; @_ZN7rocprim17ROCPRIM_400000_NS6detail17trampoline_kernelINS0_14default_configENS1_25partition_config_selectorILNS1_17partition_subalgoE6EiNS0_10empty_typeEbEEZZNS1_14partition_implILS5_6ELb0ES3_mN6thrust23THRUST_200600_302600_NS6detail15normal_iteratorINSA_10device_ptrIiEEEEPS6_SG_NS0_5tupleIJSF_S6_EEENSH_IJSG_SG_EEES6_PlJNSB_9not_fun_tI6is_oddIiEEEEEE10hipError_tPvRmT3_T4_T5_T6_T7_T9_mT8_P12ihipStream_tbDpT10_ENKUlT_T0_E_clISt17integral_constantIbLb0EES17_IbLb1EEEEDaS13_S14_EUlS13_E_NS1_11comp_targetILNS1_3genE2ELNS1_11target_archE906ELNS1_3gpuE6ELNS1_3repE0EEENS1_30default_config_static_selectorELNS0_4arch9wavefront6targetE0EEEvT1_
; %bb.0:
	.section	.rodata,"a",@progbits
	.p2align	6, 0x0
	.amdhsa_kernel _ZN7rocprim17ROCPRIM_400000_NS6detail17trampoline_kernelINS0_14default_configENS1_25partition_config_selectorILNS1_17partition_subalgoE6EiNS0_10empty_typeEbEEZZNS1_14partition_implILS5_6ELb0ES3_mN6thrust23THRUST_200600_302600_NS6detail15normal_iteratorINSA_10device_ptrIiEEEEPS6_SG_NS0_5tupleIJSF_S6_EEENSH_IJSG_SG_EEES6_PlJNSB_9not_fun_tI6is_oddIiEEEEEE10hipError_tPvRmT3_T4_T5_T6_T7_T9_mT8_P12ihipStream_tbDpT10_ENKUlT_T0_E_clISt17integral_constantIbLb0EES17_IbLb1EEEEDaS13_S14_EUlS13_E_NS1_11comp_targetILNS1_3genE2ELNS1_11target_archE906ELNS1_3gpuE6ELNS1_3repE0EEENS1_30default_config_static_selectorELNS0_4arch9wavefront6targetE0EEEvT1_
		.amdhsa_group_segment_fixed_size 0
		.amdhsa_private_segment_fixed_size 0
		.amdhsa_kernarg_size 128
		.amdhsa_user_sgpr_count 2
		.amdhsa_user_sgpr_dispatch_ptr 0
		.amdhsa_user_sgpr_queue_ptr 0
		.amdhsa_user_sgpr_kernarg_segment_ptr 1
		.amdhsa_user_sgpr_dispatch_id 0
		.amdhsa_user_sgpr_private_segment_size 0
		.amdhsa_wavefront_size32 1
		.amdhsa_uses_dynamic_stack 0
		.amdhsa_enable_private_segment 0
		.amdhsa_system_sgpr_workgroup_id_x 1
		.amdhsa_system_sgpr_workgroup_id_y 0
		.amdhsa_system_sgpr_workgroup_id_z 0
		.amdhsa_system_sgpr_workgroup_info 0
		.amdhsa_system_vgpr_workitem_id 0
		.amdhsa_next_free_vgpr 1
		.amdhsa_next_free_sgpr 1
		.amdhsa_reserve_vcc 0
		.amdhsa_float_round_mode_32 0
		.amdhsa_float_round_mode_16_64 0
		.amdhsa_float_denorm_mode_32 3
		.amdhsa_float_denorm_mode_16_64 3
		.amdhsa_fp16_overflow 0
		.amdhsa_workgroup_processor_mode 1
		.amdhsa_memory_ordered 1
		.amdhsa_forward_progress 1
		.amdhsa_inst_pref_size 0
		.amdhsa_round_robin_scheduling 0
		.amdhsa_exception_fp_ieee_invalid_op 0
		.amdhsa_exception_fp_denorm_src 0
		.amdhsa_exception_fp_ieee_div_zero 0
		.amdhsa_exception_fp_ieee_overflow 0
		.amdhsa_exception_fp_ieee_underflow 0
		.amdhsa_exception_fp_ieee_inexact 0
		.amdhsa_exception_int_div_zero 0
	.end_amdhsa_kernel
	.section	.text._ZN7rocprim17ROCPRIM_400000_NS6detail17trampoline_kernelINS0_14default_configENS1_25partition_config_selectorILNS1_17partition_subalgoE6EiNS0_10empty_typeEbEEZZNS1_14partition_implILS5_6ELb0ES3_mN6thrust23THRUST_200600_302600_NS6detail15normal_iteratorINSA_10device_ptrIiEEEEPS6_SG_NS0_5tupleIJSF_S6_EEENSH_IJSG_SG_EEES6_PlJNSB_9not_fun_tI6is_oddIiEEEEEE10hipError_tPvRmT3_T4_T5_T6_T7_T9_mT8_P12ihipStream_tbDpT10_ENKUlT_T0_E_clISt17integral_constantIbLb0EES17_IbLb1EEEEDaS13_S14_EUlS13_E_NS1_11comp_targetILNS1_3genE2ELNS1_11target_archE906ELNS1_3gpuE6ELNS1_3repE0EEENS1_30default_config_static_selectorELNS0_4arch9wavefront6targetE0EEEvT1_,"axG",@progbits,_ZN7rocprim17ROCPRIM_400000_NS6detail17trampoline_kernelINS0_14default_configENS1_25partition_config_selectorILNS1_17partition_subalgoE6EiNS0_10empty_typeEbEEZZNS1_14partition_implILS5_6ELb0ES3_mN6thrust23THRUST_200600_302600_NS6detail15normal_iteratorINSA_10device_ptrIiEEEEPS6_SG_NS0_5tupleIJSF_S6_EEENSH_IJSG_SG_EEES6_PlJNSB_9not_fun_tI6is_oddIiEEEEEE10hipError_tPvRmT3_T4_T5_T6_T7_T9_mT8_P12ihipStream_tbDpT10_ENKUlT_T0_E_clISt17integral_constantIbLb0EES17_IbLb1EEEEDaS13_S14_EUlS13_E_NS1_11comp_targetILNS1_3genE2ELNS1_11target_archE906ELNS1_3gpuE6ELNS1_3repE0EEENS1_30default_config_static_selectorELNS0_4arch9wavefront6targetE0EEEvT1_,comdat
.Lfunc_end111:
	.size	_ZN7rocprim17ROCPRIM_400000_NS6detail17trampoline_kernelINS0_14default_configENS1_25partition_config_selectorILNS1_17partition_subalgoE6EiNS0_10empty_typeEbEEZZNS1_14partition_implILS5_6ELb0ES3_mN6thrust23THRUST_200600_302600_NS6detail15normal_iteratorINSA_10device_ptrIiEEEEPS6_SG_NS0_5tupleIJSF_S6_EEENSH_IJSG_SG_EEES6_PlJNSB_9not_fun_tI6is_oddIiEEEEEE10hipError_tPvRmT3_T4_T5_T6_T7_T9_mT8_P12ihipStream_tbDpT10_ENKUlT_T0_E_clISt17integral_constantIbLb0EES17_IbLb1EEEEDaS13_S14_EUlS13_E_NS1_11comp_targetILNS1_3genE2ELNS1_11target_archE906ELNS1_3gpuE6ELNS1_3repE0EEENS1_30default_config_static_selectorELNS0_4arch9wavefront6targetE0EEEvT1_, .Lfunc_end111-_ZN7rocprim17ROCPRIM_400000_NS6detail17trampoline_kernelINS0_14default_configENS1_25partition_config_selectorILNS1_17partition_subalgoE6EiNS0_10empty_typeEbEEZZNS1_14partition_implILS5_6ELb0ES3_mN6thrust23THRUST_200600_302600_NS6detail15normal_iteratorINSA_10device_ptrIiEEEEPS6_SG_NS0_5tupleIJSF_S6_EEENSH_IJSG_SG_EEES6_PlJNSB_9not_fun_tI6is_oddIiEEEEEE10hipError_tPvRmT3_T4_T5_T6_T7_T9_mT8_P12ihipStream_tbDpT10_ENKUlT_T0_E_clISt17integral_constantIbLb0EES17_IbLb1EEEEDaS13_S14_EUlS13_E_NS1_11comp_targetILNS1_3genE2ELNS1_11target_archE906ELNS1_3gpuE6ELNS1_3repE0EEENS1_30default_config_static_selectorELNS0_4arch9wavefront6targetE0EEEvT1_
                                        ; -- End function
	.set _ZN7rocprim17ROCPRIM_400000_NS6detail17trampoline_kernelINS0_14default_configENS1_25partition_config_selectorILNS1_17partition_subalgoE6EiNS0_10empty_typeEbEEZZNS1_14partition_implILS5_6ELb0ES3_mN6thrust23THRUST_200600_302600_NS6detail15normal_iteratorINSA_10device_ptrIiEEEEPS6_SG_NS0_5tupleIJSF_S6_EEENSH_IJSG_SG_EEES6_PlJNSB_9not_fun_tI6is_oddIiEEEEEE10hipError_tPvRmT3_T4_T5_T6_T7_T9_mT8_P12ihipStream_tbDpT10_ENKUlT_T0_E_clISt17integral_constantIbLb0EES17_IbLb1EEEEDaS13_S14_EUlS13_E_NS1_11comp_targetILNS1_3genE2ELNS1_11target_archE906ELNS1_3gpuE6ELNS1_3repE0EEENS1_30default_config_static_selectorELNS0_4arch9wavefront6targetE0EEEvT1_.num_vgpr, 0
	.set _ZN7rocprim17ROCPRIM_400000_NS6detail17trampoline_kernelINS0_14default_configENS1_25partition_config_selectorILNS1_17partition_subalgoE6EiNS0_10empty_typeEbEEZZNS1_14partition_implILS5_6ELb0ES3_mN6thrust23THRUST_200600_302600_NS6detail15normal_iteratorINSA_10device_ptrIiEEEEPS6_SG_NS0_5tupleIJSF_S6_EEENSH_IJSG_SG_EEES6_PlJNSB_9not_fun_tI6is_oddIiEEEEEE10hipError_tPvRmT3_T4_T5_T6_T7_T9_mT8_P12ihipStream_tbDpT10_ENKUlT_T0_E_clISt17integral_constantIbLb0EES17_IbLb1EEEEDaS13_S14_EUlS13_E_NS1_11comp_targetILNS1_3genE2ELNS1_11target_archE906ELNS1_3gpuE6ELNS1_3repE0EEENS1_30default_config_static_selectorELNS0_4arch9wavefront6targetE0EEEvT1_.num_agpr, 0
	.set _ZN7rocprim17ROCPRIM_400000_NS6detail17trampoline_kernelINS0_14default_configENS1_25partition_config_selectorILNS1_17partition_subalgoE6EiNS0_10empty_typeEbEEZZNS1_14partition_implILS5_6ELb0ES3_mN6thrust23THRUST_200600_302600_NS6detail15normal_iteratorINSA_10device_ptrIiEEEEPS6_SG_NS0_5tupleIJSF_S6_EEENSH_IJSG_SG_EEES6_PlJNSB_9not_fun_tI6is_oddIiEEEEEE10hipError_tPvRmT3_T4_T5_T6_T7_T9_mT8_P12ihipStream_tbDpT10_ENKUlT_T0_E_clISt17integral_constantIbLb0EES17_IbLb1EEEEDaS13_S14_EUlS13_E_NS1_11comp_targetILNS1_3genE2ELNS1_11target_archE906ELNS1_3gpuE6ELNS1_3repE0EEENS1_30default_config_static_selectorELNS0_4arch9wavefront6targetE0EEEvT1_.numbered_sgpr, 0
	.set _ZN7rocprim17ROCPRIM_400000_NS6detail17trampoline_kernelINS0_14default_configENS1_25partition_config_selectorILNS1_17partition_subalgoE6EiNS0_10empty_typeEbEEZZNS1_14partition_implILS5_6ELb0ES3_mN6thrust23THRUST_200600_302600_NS6detail15normal_iteratorINSA_10device_ptrIiEEEEPS6_SG_NS0_5tupleIJSF_S6_EEENSH_IJSG_SG_EEES6_PlJNSB_9not_fun_tI6is_oddIiEEEEEE10hipError_tPvRmT3_T4_T5_T6_T7_T9_mT8_P12ihipStream_tbDpT10_ENKUlT_T0_E_clISt17integral_constantIbLb0EES17_IbLb1EEEEDaS13_S14_EUlS13_E_NS1_11comp_targetILNS1_3genE2ELNS1_11target_archE906ELNS1_3gpuE6ELNS1_3repE0EEENS1_30default_config_static_selectorELNS0_4arch9wavefront6targetE0EEEvT1_.num_named_barrier, 0
	.set _ZN7rocprim17ROCPRIM_400000_NS6detail17trampoline_kernelINS0_14default_configENS1_25partition_config_selectorILNS1_17partition_subalgoE6EiNS0_10empty_typeEbEEZZNS1_14partition_implILS5_6ELb0ES3_mN6thrust23THRUST_200600_302600_NS6detail15normal_iteratorINSA_10device_ptrIiEEEEPS6_SG_NS0_5tupleIJSF_S6_EEENSH_IJSG_SG_EEES6_PlJNSB_9not_fun_tI6is_oddIiEEEEEE10hipError_tPvRmT3_T4_T5_T6_T7_T9_mT8_P12ihipStream_tbDpT10_ENKUlT_T0_E_clISt17integral_constantIbLb0EES17_IbLb1EEEEDaS13_S14_EUlS13_E_NS1_11comp_targetILNS1_3genE2ELNS1_11target_archE906ELNS1_3gpuE6ELNS1_3repE0EEENS1_30default_config_static_selectorELNS0_4arch9wavefront6targetE0EEEvT1_.private_seg_size, 0
	.set _ZN7rocprim17ROCPRIM_400000_NS6detail17trampoline_kernelINS0_14default_configENS1_25partition_config_selectorILNS1_17partition_subalgoE6EiNS0_10empty_typeEbEEZZNS1_14partition_implILS5_6ELb0ES3_mN6thrust23THRUST_200600_302600_NS6detail15normal_iteratorINSA_10device_ptrIiEEEEPS6_SG_NS0_5tupleIJSF_S6_EEENSH_IJSG_SG_EEES6_PlJNSB_9not_fun_tI6is_oddIiEEEEEE10hipError_tPvRmT3_T4_T5_T6_T7_T9_mT8_P12ihipStream_tbDpT10_ENKUlT_T0_E_clISt17integral_constantIbLb0EES17_IbLb1EEEEDaS13_S14_EUlS13_E_NS1_11comp_targetILNS1_3genE2ELNS1_11target_archE906ELNS1_3gpuE6ELNS1_3repE0EEENS1_30default_config_static_selectorELNS0_4arch9wavefront6targetE0EEEvT1_.uses_vcc, 0
	.set _ZN7rocprim17ROCPRIM_400000_NS6detail17trampoline_kernelINS0_14default_configENS1_25partition_config_selectorILNS1_17partition_subalgoE6EiNS0_10empty_typeEbEEZZNS1_14partition_implILS5_6ELb0ES3_mN6thrust23THRUST_200600_302600_NS6detail15normal_iteratorINSA_10device_ptrIiEEEEPS6_SG_NS0_5tupleIJSF_S6_EEENSH_IJSG_SG_EEES6_PlJNSB_9not_fun_tI6is_oddIiEEEEEE10hipError_tPvRmT3_T4_T5_T6_T7_T9_mT8_P12ihipStream_tbDpT10_ENKUlT_T0_E_clISt17integral_constantIbLb0EES17_IbLb1EEEEDaS13_S14_EUlS13_E_NS1_11comp_targetILNS1_3genE2ELNS1_11target_archE906ELNS1_3gpuE6ELNS1_3repE0EEENS1_30default_config_static_selectorELNS0_4arch9wavefront6targetE0EEEvT1_.uses_flat_scratch, 0
	.set _ZN7rocprim17ROCPRIM_400000_NS6detail17trampoline_kernelINS0_14default_configENS1_25partition_config_selectorILNS1_17partition_subalgoE6EiNS0_10empty_typeEbEEZZNS1_14partition_implILS5_6ELb0ES3_mN6thrust23THRUST_200600_302600_NS6detail15normal_iteratorINSA_10device_ptrIiEEEEPS6_SG_NS0_5tupleIJSF_S6_EEENSH_IJSG_SG_EEES6_PlJNSB_9not_fun_tI6is_oddIiEEEEEE10hipError_tPvRmT3_T4_T5_T6_T7_T9_mT8_P12ihipStream_tbDpT10_ENKUlT_T0_E_clISt17integral_constantIbLb0EES17_IbLb1EEEEDaS13_S14_EUlS13_E_NS1_11comp_targetILNS1_3genE2ELNS1_11target_archE906ELNS1_3gpuE6ELNS1_3repE0EEENS1_30default_config_static_selectorELNS0_4arch9wavefront6targetE0EEEvT1_.has_dyn_sized_stack, 0
	.set _ZN7rocprim17ROCPRIM_400000_NS6detail17trampoline_kernelINS0_14default_configENS1_25partition_config_selectorILNS1_17partition_subalgoE6EiNS0_10empty_typeEbEEZZNS1_14partition_implILS5_6ELb0ES3_mN6thrust23THRUST_200600_302600_NS6detail15normal_iteratorINSA_10device_ptrIiEEEEPS6_SG_NS0_5tupleIJSF_S6_EEENSH_IJSG_SG_EEES6_PlJNSB_9not_fun_tI6is_oddIiEEEEEE10hipError_tPvRmT3_T4_T5_T6_T7_T9_mT8_P12ihipStream_tbDpT10_ENKUlT_T0_E_clISt17integral_constantIbLb0EES17_IbLb1EEEEDaS13_S14_EUlS13_E_NS1_11comp_targetILNS1_3genE2ELNS1_11target_archE906ELNS1_3gpuE6ELNS1_3repE0EEENS1_30default_config_static_selectorELNS0_4arch9wavefront6targetE0EEEvT1_.has_recursion, 0
	.set _ZN7rocprim17ROCPRIM_400000_NS6detail17trampoline_kernelINS0_14default_configENS1_25partition_config_selectorILNS1_17partition_subalgoE6EiNS0_10empty_typeEbEEZZNS1_14partition_implILS5_6ELb0ES3_mN6thrust23THRUST_200600_302600_NS6detail15normal_iteratorINSA_10device_ptrIiEEEEPS6_SG_NS0_5tupleIJSF_S6_EEENSH_IJSG_SG_EEES6_PlJNSB_9not_fun_tI6is_oddIiEEEEEE10hipError_tPvRmT3_T4_T5_T6_T7_T9_mT8_P12ihipStream_tbDpT10_ENKUlT_T0_E_clISt17integral_constantIbLb0EES17_IbLb1EEEEDaS13_S14_EUlS13_E_NS1_11comp_targetILNS1_3genE2ELNS1_11target_archE906ELNS1_3gpuE6ELNS1_3repE0EEENS1_30default_config_static_selectorELNS0_4arch9wavefront6targetE0EEEvT1_.has_indirect_call, 0
	.section	.AMDGPU.csdata,"",@progbits
; Kernel info:
; codeLenInByte = 0
; TotalNumSgprs: 0
; NumVgprs: 0
; ScratchSize: 0
; MemoryBound: 0
; FloatMode: 240
; IeeeMode: 1
; LDSByteSize: 0 bytes/workgroup (compile time only)
; SGPRBlocks: 0
; VGPRBlocks: 0
; NumSGPRsForWavesPerEU: 1
; NumVGPRsForWavesPerEU: 1
; Occupancy: 16
; WaveLimiterHint : 0
; COMPUTE_PGM_RSRC2:SCRATCH_EN: 0
; COMPUTE_PGM_RSRC2:USER_SGPR: 2
; COMPUTE_PGM_RSRC2:TRAP_HANDLER: 0
; COMPUTE_PGM_RSRC2:TGID_X_EN: 1
; COMPUTE_PGM_RSRC2:TGID_Y_EN: 0
; COMPUTE_PGM_RSRC2:TGID_Z_EN: 0
; COMPUTE_PGM_RSRC2:TIDIG_COMP_CNT: 0
	.section	.text._ZN7rocprim17ROCPRIM_400000_NS6detail17trampoline_kernelINS0_14default_configENS1_25partition_config_selectorILNS1_17partition_subalgoE6EiNS0_10empty_typeEbEEZZNS1_14partition_implILS5_6ELb0ES3_mN6thrust23THRUST_200600_302600_NS6detail15normal_iteratorINSA_10device_ptrIiEEEEPS6_SG_NS0_5tupleIJSF_S6_EEENSH_IJSG_SG_EEES6_PlJNSB_9not_fun_tI6is_oddIiEEEEEE10hipError_tPvRmT3_T4_T5_T6_T7_T9_mT8_P12ihipStream_tbDpT10_ENKUlT_T0_E_clISt17integral_constantIbLb0EES17_IbLb1EEEEDaS13_S14_EUlS13_E_NS1_11comp_targetILNS1_3genE10ELNS1_11target_archE1200ELNS1_3gpuE4ELNS1_3repE0EEENS1_30default_config_static_selectorELNS0_4arch9wavefront6targetE0EEEvT1_,"axG",@progbits,_ZN7rocprim17ROCPRIM_400000_NS6detail17trampoline_kernelINS0_14default_configENS1_25partition_config_selectorILNS1_17partition_subalgoE6EiNS0_10empty_typeEbEEZZNS1_14partition_implILS5_6ELb0ES3_mN6thrust23THRUST_200600_302600_NS6detail15normal_iteratorINSA_10device_ptrIiEEEEPS6_SG_NS0_5tupleIJSF_S6_EEENSH_IJSG_SG_EEES6_PlJNSB_9not_fun_tI6is_oddIiEEEEEE10hipError_tPvRmT3_T4_T5_T6_T7_T9_mT8_P12ihipStream_tbDpT10_ENKUlT_T0_E_clISt17integral_constantIbLb0EES17_IbLb1EEEEDaS13_S14_EUlS13_E_NS1_11comp_targetILNS1_3genE10ELNS1_11target_archE1200ELNS1_3gpuE4ELNS1_3repE0EEENS1_30default_config_static_selectorELNS0_4arch9wavefront6targetE0EEEvT1_,comdat
	.protected	_ZN7rocprim17ROCPRIM_400000_NS6detail17trampoline_kernelINS0_14default_configENS1_25partition_config_selectorILNS1_17partition_subalgoE6EiNS0_10empty_typeEbEEZZNS1_14partition_implILS5_6ELb0ES3_mN6thrust23THRUST_200600_302600_NS6detail15normal_iteratorINSA_10device_ptrIiEEEEPS6_SG_NS0_5tupleIJSF_S6_EEENSH_IJSG_SG_EEES6_PlJNSB_9not_fun_tI6is_oddIiEEEEEE10hipError_tPvRmT3_T4_T5_T6_T7_T9_mT8_P12ihipStream_tbDpT10_ENKUlT_T0_E_clISt17integral_constantIbLb0EES17_IbLb1EEEEDaS13_S14_EUlS13_E_NS1_11comp_targetILNS1_3genE10ELNS1_11target_archE1200ELNS1_3gpuE4ELNS1_3repE0EEENS1_30default_config_static_selectorELNS0_4arch9wavefront6targetE0EEEvT1_ ; -- Begin function _ZN7rocprim17ROCPRIM_400000_NS6detail17trampoline_kernelINS0_14default_configENS1_25partition_config_selectorILNS1_17partition_subalgoE6EiNS0_10empty_typeEbEEZZNS1_14partition_implILS5_6ELb0ES3_mN6thrust23THRUST_200600_302600_NS6detail15normal_iteratorINSA_10device_ptrIiEEEEPS6_SG_NS0_5tupleIJSF_S6_EEENSH_IJSG_SG_EEES6_PlJNSB_9not_fun_tI6is_oddIiEEEEEE10hipError_tPvRmT3_T4_T5_T6_T7_T9_mT8_P12ihipStream_tbDpT10_ENKUlT_T0_E_clISt17integral_constantIbLb0EES17_IbLb1EEEEDaS13_S14_EUlS13_E_NS1_11comp_targetILNS1_3genE10ELNS1_11target_archE1200ELNS1_3gpuE4ELNS1_3repE0EEENS1_30default_config_static_selectorELNS0_4arch9wavefront6targetE0EEEvT1_
	.globl	_ZN7rocprim17ROCPRIM_400000_NS6detail17trampoline_kernelINS0_14default_configENS1_25partition_config_selectorILNS1_17partition_subalgoE6EiNS0_10empty_typeEbEEZZNS1_14partition_implILS5_6ELb0ES3_mN6thrust23THRUST_200600_302600_NS6detail15normal_iteratorINSA_10device_ptrIiEEEEPS6_SG_NS0_5tupleIJSF_S6_EEENSH_IJSG_SG_EEES6_PlJNSB_9not_fun_tI6is_oddIiEEEEEE10hipError_tPvRmT3_T4_T5_T6_T7_T9_mT8_P12ihipStream_tbDpT10_ENKUlT_T0_E_clISt17integral_constantIbLb0EES17_IbLb1EEEEDaS13_S14_EUlS13_E_NS1_11comp_targetILNS1_3genE10ELNS1_11target_archE1200ELNS1_3gpuE4ELNS1_3repE0EEENS1_30default_config_static_selectorELNS0_4arch9wavefront6targetE0EEEvT1_
	.p2align	8
	.type	_ZN7rocprim17ROCPRIM_400000_NS6detail17trampoline_kernelINS0_14default_configENS1_25partition_config_selectorILNS1_17partition_subalgoE6EiNS0_10empty_typeEbEEZZNS1_14partition_implILS5_6ELb0ES3_mN6thrust23THRUST_200600_302600_NS6detail15normal_iteratorINSA_10device_ptrIiEEEEPS6_SG_NS0_5tupleIJSF_S6_EEENSH_IJSG_SG_EEES6_PlJNSB_9not_fun_tI6is_oddIiEEEEEE10hipError_tPvRmT3_T4_T5_T6_T7_T9_mT8_P12ihipStream_tbDpT10_ENKUlT_T0_E_clISt17integral_constantIbLb0EES17_IbLb1EEEEDaS13_S14_EUlS13_E_NS1_11comp_targetILNS1_3genE10ELNS1_11target_archE1200ELNS1_3gpuE4ELNS1_3repE0EEENS1_30default_config_static_selectorELNS0_4arch9wavefront6targetE0EEEvT1_,@function
_ZN7rocprim17ROCPRIM_400000_NS6detail17trampoline_kernelINS0_14default_configENS1_25partition_config_selectorILNS1_17partition_subalgoE6EiNS0_10empty_typeEbEEZZNS1_14partition_implILS5_6ELb0ES3_mN6thrust23THRUST_200600_302600_NS6detail15normal_iteratorINSA_10device_ptrIiEEEEPS6_SG_NS0_5tupleIJSF_S6_EEENSH_IJSG_SG_EEES6_PlJNSB_9not_fun_tI6is_oddIiEEEEEE10hipError_tPvRmT3_T4_T5_T6_T7_T9_mT8_P12ihipStream_tbDpT10_ENKUlT_T0_E_clISt17integral_constantIbLb0EES17_IbLb1EEEEDaS13_S14_EUlS13_E_NS1_11comp_targetILNS1_3genE10ELNS1_11target_archE1200ELNS1_3gpuE4ELNS1_3repE0EEENS1_30default_config_static_selectorELNS0_4arch9wavefront6targetE0EEEvT1_: ; @_ZN7rocprim17ROCPRIM_400000_NS6detail17trampoline_kernelINS0_14default_configENS1_25partition_config_selectorILNS1_17partition_subalgoE6EiNS0_10empty_typeEbEEZZNS1_14partition_implILS5_6ELb0ES3_mN6thrust23THRUST_200600_302600_NS6detail15normal_iteratorINSA_10device_ptrIiEEEEPS6_SG_NS0_5tupleIJSF_S6_EEENSH_IJSG_SG_EEES6_PlJNSB_9not_fun_tI6is_oddIiEEEEEE10hipError_tPvRmT3_T4_T5_T6_T7_T9_mT8_P12ihipStream_tbDpT10_ENKUlT_T0_E_clISt17integral_constantIbLb0EES17_IbLb1EEEEDaS13_S14_EUlS13_E_NS1_11comp_targetILNS1_3genE10ELNS1_11target_archE1200ELNS1_3gpuE4ELNS1_3repE0EEENS1_30default_config_static_selectorELNS0_4arch9wavefront6targetE0EEEvT1_
; %bb.0:
	s_clause 0x3
	s_load_b64 s[12:13], s[0:1], 0x28
	s_load_b128 s[8:11], s[0:1], 0x40
	s_load_b64 s[16:17], s[0:1], 0x50
	s_load_b64 s[14:15], s[0:1], 0x60
	v_cmp_eq_u32_e64 s2, 0, v0
	s_and_saveexec_b32 s3, s2
	s_cbranch_execz .LBB112_4
; %bb.1:
	s_mov_b32 s5, exec_lo
	s_mov_b32 s4, exec_lo
	v_mbcnt_lo_u32_b32 v1, s5, 0
                                        ; implicit-def: $vgpr2
	s_delay_alu instid0(VALU_DEP_1)
	v_cmpx_eq_u32_e32 0, v1
	s_cbranch_execz .LBB112_3
; %bb.2:
	s_load_b64 s[6:7], s[0:1], 0x70
	s_bcnt1_i32_b32 s5, s5
	s_wait_alu 0xfffe
	v_dual_mov_b32 v2, 0 :: v_dual_mov_b32 v3, s5
	s_wait_kmcnt 0x0
	global_atomic_add_u32 v2, v2, v3, s[6:7] th:TH_ATOMIC_RETURN scope:SCOPE_DEV
.LBB112_3:
	s_or_b32 exec_lo, exec_lo, s4
	s_wait_loadcnt 0x0
	v_readfirstlane_b32 s4, v2
	s_wait_alu 0xf1ff
	s_delay_alu instid0(VALU_DEP_1)
	v_dual_mov_b32 v2, 0 :: v_dual_add_nc_u32 v1, s4, v1
	ds_store_b32 v2, v1
.LBB112_4:
	s_or_b32 exec_lo, exec_lo, s3
	v_mov_b32_e32 v2, 0
	s_clause 0x1
	s_load_b128 s[4:7], s[0:1], 0x8
	s_load_b32 s0, s[0:1], 0x68
	s_wait_dscnt 0x0
	s_barrier_signal -1
	s_barrier_wait -1
	global_inv scope:SCOPE_SE
	ds_load_b32 v1, v2
	s_wait_loadcnt_dscnt 0x0
	s_barrier_signal -1
	s_barrier_wait -1
	global_inv scope:SCOPE_SE
	s_wait_kmcnt 0x0
	global_load_b64 v[9:10], v2, s[10:11]
	s_mov_b32 s1, 0
	v_lshlrev_b32_e32 v8, 2, v0
	s_lshl_b64 s[18:19], s[6:7], 2
	s_add_co_i32 s3, s0, -1
	s_mulk_i32 s0, 0xa80
	s_delay_alu instid0(SALU_CYCLE_1)
	s_add_co_i32 s11, s0, s6
	s_add_nc_u64 s[6:7], s[6:7], s[0:1]
	v_readfirstlane_b32 s10, v1
	v_mul_lo_u32 v1, 0xa80, v1
	v_cmp_le_u64_e64 s1, s[16:17], s[6:7]
	s_sub_co_i32 s0, s16, s11
	s_add_nc_u64 s[16:17], s[4:5], s[18:19]
	s_cmp_eq_u32 s10, s3
	s_cselect_b32 s6, -1, 0
	v_lshlrev_b64_e32 v[1:2], 2, v[1:2]
	s_wait_alu 0xfffe
	s_and_b32 s1, s1, s6
	s_delay_alu instid0(SALU_CYCLE_1) | instskip(SKIP_1) | instid1(VALU_DEP_1)
	s_xor_b32 s5, s1, -1
	s_mov_b32 s1, -1
	v_add_co_u32 v11, vcc_lo, s16, v1
	s_delay_alu instid0(VALU_DEP_1)
	v_add_co_ci_u32_e64 v12, null, s17, v2, vcc_lo
	s_wait_alu 0xfffe
	s_and_b32 vcc_lo, exec_lo, s5
	s_wait_alu 0xfffe
	s_cbranch_vccz .LBB112_6
; %bb.5:
	v_add_co_u32 v1, vcc_lo, v11, v8
	s_wait_alu 0xfffd
	v_add_co_ci_u32_e64 v2, null, 0, v12, vcc_lo
	s_mov_b32 s1, 0
	s_clause 0x6
	flat_load_b32 v3, v[1:2]
	flat_load_b32 v4, v[1:2] offset:1536
	flat_load_b32 v5, v[1:2] offset:3072
	;; [unrolled: 1-line block ×6, first 2 shown]
	s_wait_loadcnt_dscnt 0x505
	ds_store_2addr_stride64_b32 v8, v3, v4 offset1:6
	s_wait_loadcnt_dscnt 0x304
	ds_store_2addr_stride64_b32 v8, v5, v6 offset0:12 offset1:18
	s_wait_loadcnt_dscnt 0x103
	ds_store_2addr_stride64_b32 v8, v7, v13 offset0:24 offset1:30
	s_wait_loadcnt_dscnt 0x3
	ds_store_b32 v8, v1 offset:9216
	s_wait_dscnt 0x0
	s_barrier_signal -1
	s_barrier_wait -1
.LBB112_6:
	s_and_not1_b32 vcc_lo, exec_lo, s1
	s_addk_co_i32 s0, 0xa80
	s_wait_alu 0xfffe
	s_cbranch_vccnz .LBB112_22
; %bb.7:
	v_mov_b32_e32 v1, 0
	s_mov_b32 s1, exec_lo
	s_delay_alu instid0(VALU_DEP_1)
	v_dual_mov_b32 v2, v1 :: v_dual_mov_b32 v3, v1
	v_dual_mov_b32 v4, v1 :: v_dual_mov_b32 v5, v1
	;; [unrolled: 1-line block ×3, first 2 shown]
	v_cmpx_gt_u32_e64 s0, v0
	s_cbranch_execz .LBB112_9
; %bb.8:
	v_add_co_u32 v2, vcc_lo, v11, v8
	s_wait_alu 0xfffd
	v_add_co_ci_u32_e64 v3, null, 0, v12, vcc_lo
	v_dual_mov_b32 v14, v1 :: v_dual_mov_b32 v15, v1
	v_dual_mov_b32 v16, v1 :: v_dual_mov_b32 v17, v1
	flat_load_b32 v13, v[2:3]
	v_dual_mov_b32 v18, v1 :: v_dual_mov_b32 v19, v1
	s_wait_loadcnt_dscnt 0x0
	v_dual_mov_b32 v1, v13 :: v_dual_mov_b32 v2, v14
	v_dual_mov_b32 v3, v15 :: v_dual_mov_b32 v4, v16
	s_delay_alu instid0(VALU_DEP_3)
	v_dual_mov_b32 v5, v17 :: v_dual_mov_b32 v6, v18
	v_mov_b32_e32 v7, v19
.LBB112_9:
	s_or_b32 exec_lo, exec_lo, s1
	v_add_nc_u32_e32 v13, 0x180, v0
	s_mov_b32 s1, exec_lo
	s_delay_alu instid0(VALU_DEP_1)
	v_cmpx_gt_u32_e64 s0, v13
	s_cbranch_execz .LBB112_11
; %bb.10:
	v_add_co_u32 v13, vcc_lo, v11, v8
	s_wait_alu 0xfffd
	v_add_co_ci_u32_e64 v14, null, 0, v12, vcc_lo
	flat_load_b32 v2, v[13:14] offset:1536
.LBB112_11:
	s_wait_alu 0xfffe
	s_or_b32 exec_lo, exec_lo, s1
	v_add_nc_u32_e32 v13, 0x300, v0
	s_mov_b32 s1, exec_lo
	s_delay_alu instid0(VALU_DEP_1)
	v_cmpx_gt_u32_e64 s0, v13
	s_cbranch_execz .LBB112_13
; %bb.12:
	v_add_co_u32 v13, vcc_lo, v11, v8
	s_wait_alu 0xfffd
	v_add_co_ci_u32_e64 v14, null, 0, v12, vcc_lo
	flat_load_b32 v3, v[13:14] offset:3072
.LBB112_13:
	s_wait_alu 0xfffe
	;; [unrolled: 13-line block ×3, first 2 shown]
	s_or_b32 exec_lo, exec_lo, s1
	v_or_b32_e32 v13, 0x600, v0
	s_mov_b32 s1, exec_lo
	s_delay_alu instid0(VALU_DEP_1)
	v_cmpx_gt_u32_e64 s0, v13
	s_cbranch_execz .LBB112_17
; %bb.16:
	v_add_co_u32 v13, vcc_lo, v11, v8
	s_wait_alu 0xfffd
	v_add_co_ci_u32_e64 v14, null, 0, v12, vcc_lo
	flat_load_b32 v5, v[13:14] offset:6144
.LBB112_17:
	s_wait_alu 0xfffe
	s_or_b32 exec_lo, exec_lo, s1
	v_add_nc_u32_e32 v13, 0x780, v0
	s_mov_b32 s1, exec_lo
	s_delay_alu instid0(VALU_DEP_1)
	v_cmpx_gt_u32_e64 s0, v13
	s_cbranch_execz .LBB112_19
; %bb.18:
	v_add_co_u32 v13, vcc_lo, v11, v8
	s_wait_alu 0xfffd
	v_add_co_ci_u32_e64 v14, null, 0, v12, vcc_lo
	flat_load_b32 v6, v[13:14] offset:7680
.LBB112_19:
	s_wait_alu 0xfffe
	s_or_b32 exec_lo, exec_lo, s1
	v_add_nc_u32_e32 v13, 0x900, v0
	s_mov_b32 s1, exec_lo
	s_delay_alu instid0(VALU_DEP_1)
	v_cmpx_gt_u32_e64 s0, v13
	s_cbranch_execz .LBB112_21
; %bb.20:
	v_add_co_u32 v11, vcc_lo, v11, v8
	s_wait_alu 0xfffd
	v_add_co_ci_u32_e64 v12, null, 0, v12, vcc_lo
	flat_load_b32 v7, v[11:12] offset:9216
.LBB112_21:
	s_wait_alu 0xfffe
	s_or_b32 exec_lo, exec_lo, s1
	s_wait_loadcnt_dscnt 0x0
	ds_store_2addr_stride64_b32 v8, v1, v2 offset1:6
	ds_store_2addr_stride64_b32 v8, v3, v4 offset0:12 offset1:18
	ds_store_2addr_stride64_b32 v8, v5, v6 offset0:24 offset1:30
	ds_store_b32 v8, v7 offset:9216
	s_wait_dscnt 0x0
	s_barrier_signal -1
	s_barrier_wait -1
.LBB112_22:
	v_mul_u32_u24_e32 v1, 7, v0
	s_wait_loadcnt 0x0
	global_inv scope:SCOPE_SE
	s_and_not1_b32 vcc_lo, exec_lo, s5
	v_lshlrev_b32_e32 v31, 2, v1
	ds_load_2addr_b32 v[13:14], v31 offset0:2 offset1:3
	ds_load_2addr_b32 v[15:16], v31 offset1:1
	ds_load_2addr_b32 v[11:12], v31 offset0:4 offset1:5
	ds_load_b32 v33, v31 offset:24
	s_wait_loadcnt_dscnt 0x0
	s_barrier_signal -1
	s_barrier_wait -1
	global_inv scope:SCOPE_SE
	v_xor_b32_e32 v5, -1, v13
	v_xor_b32_e32 v6, -1, v15
	;; [unrolled: 1-line block ×7, first 2 shown]
	s_wait_alu 0xfffe
	s_cbranch_vccnz .LBB112_24
; %bb.23:
	v_and_b32_e32 v17, 1, v7
	v_and_b32_e32 v18, 1, v8
	;; [unrolled: 1-line block ×5, first 2 shown]
	v_lshlrev_b16 v17, 8, v17
	v_lshlrev_b16 v18, 8, v18
	v_and_b32_e32 v36, 1, v2
	s_delay_alu instid0(VALU_DEP_3) | instskip(NEXT) | instid1(VALU_DEP_3)
	v_lshrrev_b32_e32 v17, 8, v17
	v_lshrrev_b32_e32 v18, 8, v18
	s_delay_alu instid0(VALU_DEP_2) | instskip(NEXT) | instid1(VALU_DEP_2)
	v_lshlrev_b16 v17, 8, v17
	v_lshlrev_b16 v18, 8, v18
	s_delay_alu instid0(VALU_DEP_2) | instskip(NEXT) | instid1(VALU_DEP_2)
	v_or_b32_e32 v17, v19, v17
	v_or_b32_e32 v18, v20, v18
	v_and_b32_e32 v19, 1, v3
	v_lshlrev_b16 v20, 8, v34
	s_delay_alu instid0(VALU_DEP_4) | instskip(NEXT) | instid1(VALU_DEP_4)
	v_and_b32_e32 v17, 0xffff, v17
	v_lshlrev_b32_e32 v18, 16, v18
	s_delay_alu instid0(VALU_DEP_3) | instskip(NEXT) | instid1(VALU_DEP_2)
	v_or_b32_e32 v35, v19, v20
	v_or_b32_e32 v32, v17, v18
	s_cbranch_execz .LBB112_25
	s_branch .LBB112_26
.LBB112_24:
                                        ; implicit-def: $vgpr34
                                        ; implicit-def: $vgpr35
                                        ; implicit-def: $vgpr36
                                        ; implicit-def: $vgpr32
.LBB112_25:
	v_add_nc_u32_e32 v17, 3, v1
	v_add_nc_u32_e32 v18, 1, v1
	v_add_nc_u32_e32 v19, 4, v1
	s_delay_alu instid0(VALU_DEP_3) | instskip(SKIP_3) | instid1(VALU_DEP_2)
	v_cmp_gt_u32_e32 vcc_lo, s0, v17
	s_wait_alu 0xfffd
	v_cndmask_b32_e64 v17, 0, 1, vcc_lo
	v_cmp_gt_u32_e32 vcc_lo, s0, v18
	v_and_b32_e32 v8, v17, v8
	s_wait_alu 0xfffd
	v_cndmask_b32_e64 v18, 0, 1, vcc_lo
	v_add_nc_u32_e32 v17, 2, v1
	v_cmp_gt_u32_e32 vcc_lo, s0, v1
	v_lshlrev_b16 v8, 8, v8
	s_delay_alu instid0(VALU_DEP_4)
	v_and_b32_e32 v7, v18, v7
	s_wait_alu 0xfffd
	v_cndmask_b32_e64 v18, 0, 1, vcc_lo
	v_cmp_gt_u32_e32 vcc_lo, s0, v17
	v_lshrrev_b32_e32 v8, 8, v8
	v_lshlrev_b16 v7, 8, v7
	s_delay_alu instid0(VALU_DEP_4)
	v_and_b32_e32 v6, v18, v6
	s_wait_alu 0xfffd
	v_cndmask_b32_e64 v17, 0, 1, vcc_lo
	v_and_b32_e32 v8, 1, v8
	v_lshrrev_b32_e32 v7, 8, v7
	v_cmp_gt_u32_e32 vcc_lo, s0, v19
	v_and_b32_e32 v6, 1, v6
	v_and_b32_e32 v5, v17, v5
	v_add_nc_u32_e32 v17, 5, v1
	v_lshlrev_b16 v7, 8, v7
	v_lshlrev_b16 v8, 8, v8
	v_add_nc_u32_e32 v1, 6, v1
	v_and_b32_e32 v5, 1, v5
	s_wait_alu 0xfffd
	v_cndmask_b32_e64 v18, 0, 1, vcc_lo
	v_cmp_gt_u32_e32 vcc_lo, s0, v17
	v_or_b32_e32 v6, v6, v7
	v_or_b32_e32 v5, v5, v8
	s_delay_alu instid0(VALU_DEP_4)
	v_and_b32_e32 v36, v18, v2
	s_wait_alu 0xfffd
	v_cndmask_b32_e64 v7, 0, 1, vcc_lo
	v_cmp_gt_u32_e32 vcc_lo, s0, v1
	v_and_b32_e32 v6, 0xffff, v6
	v_lshlrev_b32_e32 v5, 16, v5
	s_delay_alu instid0(VALU_DEP_4) | instskip(SKIP_2) | instid1(VALU_DEP_3)
	v_and_b32_e32 v35, v7, v3
	s_wait_alu 0xfffd
	v_cndmask_b32_e64 v1, 0, 1, vcc_lo
	v_or_b32_e32 v32, v6, v5
	s_delay_alu instid0(VALU_DEP_2)
	v_and_b32_e32 v34, v1, v4
.LBB112_26:
	s_delay_alu instid0(VALU_DEP_1)
	v_and_b32_e32 v42, 0xff, v32
	v_bfe_u32 v40, v32, 8, 8
	v_bfe_u32 v39, v32, 16, 8
	v_lshrrev_b32_e32 v37, 24, v32
	v_dual_mov_b32 v2, 0 :: v_dual_and_b32 v41, 0xff, v36
	v_and_b32_e32 v38, 0xff, v35
	s_delay_alu instid0(VALU_DEP_4)
	v_add3_u32 v1, v40, v42, v39
	v_mbcnt_lo_u32_b32 v43, -1, 0
	v_and_b32_e32 v4, 0xff, v34
	s_cmp_lg_u32 s10, 0
	s_mov_b32 s1, -1
	v_add_co_u32 v1, s0, v1, v37
	s_wait_alu 0xf1ff
	v_add_co_ci_u32_e64 v3, null, 0, 0, s0
	v_and_b32_e32 v44, 15, v43
	s_delay_alu instid0(VALU_DEP_3) | instskip(SKIP_1) | instid1(VALU_DEP_3)
	v_add_co_u32 v1, vcc_lo, v1, v41
	s_wait_alu 0xfffd
	v_add_co_ci_u32_e64 v3, null, 0, v3, vcc_lo
	s_delay_alu instid0(VALU_DEP_3) | instskip(NEXT) | instid1(VALU_DEP_3)
	v_cmp_ne_u32_e64 s0, 0, v44
	v_add_co_u32 v1, vcc_lo, v1, v38
	s_wait_alu 0xfffd
	s_delay_alu instid0(VALU_DEP_3) | instskip(NEXT) | instid1(VALU_DEP_2)
	v_add_co_ci_u32_e64 v3, null, 0, v3, vcc_lo
	v_add_co_u32 v17, vcc_lo, v1, v4
	s_wait_alu 0xfffd
	s_delay_alu instid0(VALU_DEP_2)
	v_add_co_ci_u32_e64 v18, null, 0, v3, vcc_lo
	s_cbranch_scc0 .LBB112_85
; %bb.27:
	v_mov_b32_e32 v3, v17
	v_mov_b32_dpp v1, v17 row_shr:1 row_mask:0xf bank_mask:0xf
	v_mov_b32_dpp v6, v2 row_shr:1 row_mask:0xf bank_mask:0xf
	v_dual_mov_b32 v5, v17 :: v_dual_mov_b32 v4, v18
	s_and_saveexec_b32 s1, s0
; %bb.28:
	s_delay_alu instid0(VALU_DEP_3) | instskip(SKIP_2) | instid1(VALU_DEP_2)
	v_add_co_u32 v5, vcc_lo, v17, v1
	s_wait_alu 0xfffd
	v_add_co_ci_u32_e64 v2, null, 0, v18, vcc_lo
	v_add_co_u32 v1, vcc_lo, 0, v5
	s_wait_alu 0xfffd
	s_delay_alu instid0(VALU_DEP_2) | instskip(NEXT) | instid1(VALU_DEP_1)
	v_add_co_ci_u32_e64 v2, null, v6, v2, vcc_lo
	v_dual_mov_b32 v4, v2 :: v_dual_mov_b32 v3, v1
; %bb.29:
	s_wait_alu 0xfffe
	s_or_b32 exec_lo, exec_lo, s1
	v_mov_b32_dpp v1, v5 row_shr:2 row_mask:0xf bank_mask:0xf
	v_mov_b32_dpp v6, v2 row_shr:2 row_mask:0xf bank_mask:0xf
	v_cmp_lt_u32_e32 vcc_lo, 1, v44
	s_and_saveexec_b32 s3, vcc_lo
; %bb.30:
	s_delay_alu instid0(VALU_DEP_3) | instskip(SKIP_2) | instid1(VALU_DEP_2)
	v_add_co_u32 v5, s1, v3, v1
	s_wait_alu 0xf1ff
	v_add_co_ci_u32_e64 v2, null, 0, v4, s1
	v_add_co_u32 v1, s1, 0, v5
	s_wait_alu 0xf1ff
	s_delay_alu instid0(VALU_DEP_2) | instskip(NEXT) | instid1(VALU_DEP_1)
	v_add_co_ci_u32_e64 v2, null, v6, v2, s1
	v_dual_mov_b32 v4, v2 :: v_dual_mov_b32 v3, v1
; %bb.31:
	s_or_b32 exec_lo, exec_lo, s3
	v_mov_b32_dpp v1, v5 row_shr:4 row_mask:0xf bank_mask:0xf
	v_mov_b32_dpp v6, v2 row_shr:4 row_mask:0xf bank_mask:0xf
	v_cmp_lt_u32_e64 s1, 3, v44
	s_and_saveexec_b32 s4, s1
; %bb.32:
	v_add_co_u32 v5, s3, v3, v1
	s_delay_alu instid0(VALU_DEP_1) | instskip(NEXT) | instid1(VALU_DEP_2)
	v_add_co_ci_u32_e64 v2, null, 0, v4, s3
	v_add_co_u32 v1, s3, 0, v5
	s_wait_alu 0xf1ff
	s_delay_alu instid0(VALU_DEP_2) | instskip(NEXT) | instid1(VALU_DEP_1)
	v_add_co_ci_u32_e64 v2, null, v6, v2, s3
	v_dual_mov_b32 v4, v2 :: v_dual_mov_b32 v3, v1
; %bb.33:
	s_wait_alu 0xfffe
	s_or_b32 exec_lo, exec_lo, s4
	v_mov_b32_dpp v6, v5 row_shr:8 row_mask:0xf bank_mask:0xf
	v_mov_b32_dpp v1, v2 row_shr:8 row_mask:0xf bank_mask:0xf
	v_cmp_lt_u32_e64 s3, 7, v44
	s_and_saveexec_b32 s7, s3
; %bb.34:
	v_add_co_u32 v5, s4, v3, v6
	s_wait_alu 0xf1ff
	v_add_co_ci_u32_e64 v2, null, 0, v4, s4
	s_delay_alu instid0(VALU_DEP_2) | instskip(SKIP_1) | instid1(VALU_DEP_2)
	v_add_co_u32 v3, s4, 0, v5
	s_wait_alu 0xf1ff
	v_add_co_ci_u32_e64 v4, null, v1, v2, s4
	s_delay_alu instid0(VALU_DEP_1)
	v_mov_b32_e32 v2, v4
; %bb.35:
	s_wait_alu 0xfffe
	s_or_b32 exec_lo, exec_lo, s7
	ds_swizzle_b32 v1, v5 offset:swizzle(BROADCAST,32,15)
	ds_swizzle_b32 v6, v2 offset:swizzle(BROADCAST,32,15)
	v_and_b32_e32 v7, 16, v43
	s_mov_b32 s7, exec_lo
	s_delay_alu instid0(VALU_DEP_1)
	v_cmpx_ne_u32_e32 0, v7
	s_cbranch_execz .LBB112_37
; %bb.36:
	s_wait_dscnt 0x1
	v_add_co_u32 v5, s4, v3, v1
	s_wait_alu 0xf1ff
	v_add_co_ci_u32_e64 v2, null, 0, v4, s4
	s_delay_alu instid0(VALU_DEP_2) | instskip(SKIP_2) | instid1(VALU_DEP_2)
	v_add_co_u32 v1, s4, 0, v5
	s_wait_dscnt 0x0
	s_wait_alu 0xf1ff
	v_add_co_ci_u32_e64 v2, null, v6, v2, s4
	s_delay_alu instid0(VALU_DEP_1)
	v_dual_mov_b32 v4, v2 :: v_dual_mov_b32 v3, v1
.LBB112_37:
	s_wait_alu 0xfffe
	s_or_b32 exec_lo, exec_lo, s7
	s_wait_dscnt 0x1
	v_and_b32_e32 v1, 0x1e0, v0
	s_mov_b32 s7, exec_lo
	s_delay_alu instid0(VALU_DEP_1) | instskip(SKIP_1) | instid1(VALU_DEP_1)
	v_min_u32_e32 v1, 0x160, v1
	s_wait_dscnt 0x0
	v_or_b32_e32 v6, 31, v1
	v_lshrrev_b32_e32 v1, 5, v0
	s_delay_alu instid0(VALU_DEP_2)
	v_cmpx_eq_u32_e64 v0, v6
; %bb.38:
	s_delay_alu instid0(VALU_DEP_2)
	v_lshlrev_b32_e32 v6, 3, v1
	ds_store_b64 v6, v[3:4]
; %bb.39:
	s_wait_alu 0xfffe
	s_or_b32 exec_lo, exec_lo, s7
	s_delay_alu instid0(SALU_CYCLE_1)
	s_mov_b32 s7, exec_lo
	s_wait_loadcnt_dscnt 0x0
	s_barrier_signal -1
	s_barrier_wait -1
	global_inv scope:SCOPE_SE
	v_cmpx_gt_u32_e32 12, v0
	s_cbranch_execz .LBB112_49
; %bb.40:
	v_lshlrev_b32_e32 v6, 3, v0
	ds_load_b64 v[3:4], v6
	s_wait_dscnt 0x0
	v_mov_b32_dpp v19, v3 row_shr:1 row_mask:0xf bank_mask:0xf
	v_mov_b32_dpp v8, v4 row_shr:1 row_mask:0xf bank_mask:0xf
	v_mov_b32_e32 v7, v3
	s_and_saveexec_b32 s11, s0
; %bb.41:
	s_delay_alu instid0(VALU_DEP_3) | instskip(SKIP_2) | instid1(VALU_DEP_2)
	v_add_co_u32 v7, s4, v3, v19
	s_wait_alu 0xf1ff
	v_add_co_ci_u32_e64 v4, null, 0, v4, s4
	v_add_co_u32 v3, s4, 0, v7
	s_wait_alu 0xf1ff
	s_delay_alu instid0(VALU_DEP_2)
	v_add_co_ci_u32_e64 v4, null, v8, v4, s4
; %bb.42:
	s_or_b32 exec_lo, exec_lo, s11
	v_mov_b32_dpp v19, v7 row_shr:2 row_mask:0xf bank_mask:0xf
	s_delay_alu instid0(VALU_DEP_2)
	v_mov_b32_dpp v8, v4 row_shr:2 row_mask:0xf bank_mask:0xf
	s_and_saveexec_b32 s4, vcc_lo
; %bb.43:
	s_delay_alu instid0(VALU_DEP_2) | instskip(SKIP_2) | instid1(VALU_DEP_2)
	v_add_co_u32 v7, vcc_lo, v3, v19
	s_wait_alu 0xfffd
	v_add_co_ci_u32_e64 v4, null, 0, v4, vcc_lo
	v_add_co_u32 v3, vcc_lo, 0, v7
	s_wait_alu 0xfffd
	s_delay_alu instid0(VALU_DEP_2)
	v_add_co_ci_u32_e64 v4, null, v8, v4, vcc_lo
; %bb.44:
	s_wait_alu 0xfffe
	s_or_b32 exec_lo, exec_lo, s4
	v_mov_b32_dpp v19, v7 row_shr:4 row_mask:0xf bank_mask:0xf
	s_delay_alu instid0(VALU_DEP_2)
	v_mov_b32_dpp v8, v4 row_shr:4 row_mask:0xf bank_mask:0xf
	s_and_saveexec_b32 s4, s1
; %bb.45:
	s_delay_alu instid0(VALU_DEP_2) | instskip(SKIP_2) | instid1(VALU_DEP_2)
	v_add_co_u32 v7, vcc_lo, v3, v19
	s_wait_alu 0xfffd
	v_add_co_ci_u32_e64 v4, null, 0, v4, vcc_lo
	v_add_co_u32 v3, vcc_lo, 0, v7
	s_wait_alu 0xfffd
	s_delay_alu instid0(VALU_DEP_2)
	v_add_co_ci_u32_e64 v4, null, v8, v4, vcc_lo
; %bb.46:
	s_wait_alu 0xfffe
	s_or_b32 exec_lo, exec_lo, s4
	v_mov_b32_dpp v8, v7 row_shr:8 row_mask:0xf bank_mask:0xf
	s_delay_alu instid0(VALU_DEP_2)
	v_mov_b32_dpp v7, v4 row_shr:8 row_mask:0xf bank_mask:0xf
	s_and_saveexec_b32 s1, s3
; %bb.47:
	s_delay_alu instid0(VALU_DEP_2) | instskip(SKIP_2) | instid1(VALU_DEP_2)
	v_add_co_u32 v3, vcc_lo, v3, v8
	s_wait_alu 0xfffd
	v_add_co_ci_u32_e64 v4, null, 0, v4, vcc_lo
	v_add_co_u32 v3, vcc_lo, v3, 0
	s_wait_alu 0xfffd
	s_delay_alu instid0(VALU_DEP_2)
	v_add_co_ci_u32_e64 v4, null, v4, v7, vcc_lo
; %bb.48:
	s_wait_alu 0xfffe
	s_or_b32 exec_lo, exec_lo, s1
	ds_store_b64 v6, v[3:4]
.LBB112_49:
	s_wait_alu 0xfffe
	s_or_b32 exec_lo, exec_lo, s7
	s_delay_alu instid0(SALU_CYCLE_1)
	s_mov_b32 s3, exec_lo
	v_cmp_gt_u32_e32 vcc_lo, 32, v0
	s_wait_loadcnt_dscnt 0x0
	s_barrier_signal -1
	s_barrier_wait -1
	global_inv scope:SCOPE_SE
                                        ; implicit-def: $vgpr19_vgpr20
	v_cmpx_lt_u32_e32 31, v0
	s_cbranch_execz .LBB112_51
; %bb.50:
	v_lshl_add_u32 v1, v1, 3, -8
	ds_load_b64 v[19:20], v1
	s_wait_dscnt 0x0
	v_add_co_u32 v5, s1, v5, v19
	s_wait_alu 0xf1ff
	v_add_co_ci_u32_e64 v2, null, v2, v20, s1
.LBB112_51:
	s_wait_alu 0xfffe
	s_or_b32 exec_lo, exec_lo, s3
	v_sub_co_u32 v1, s1, v43, 1
	s_delay_alu instid0(VALU_DEP_1) | instskip(SKIP_1) | instid1(VALU_DEP_1)
	v_cmp_gt_i32_e64 s3, 0, v1
	s_wait_alu 0xf1ff
	v_cndmask_b32_e64 v1, v1, v43, s3
	s_delay_alu instid0(VALU_DEP_1)
	v_lshlrev_b32_e32 v1, 2, v1
	ds_bpermute_b32 v25, v1, v5
	ds_bpermute_b32 v26, v1, v2
	s_and_saveexec_b32 s3, vcc_lo
	s_cbranch_execz .LBB112_90
; %bb.52:
	v_mov_b32_e32 v4, 0
	ds_load_b64 v[1:2], v4 offset:88
	s_and_saveexec_b32 s4, s1
	s_cbranch_execz .LBB112_54
; %bb.53:
	s_add_co_i32 s16, s10, 32
	s_mov_b32 s17, 0
	s_wait_alu 0xfffe
	s_lshl_b64 s[16:17], s[16:17], 4
	s_wait_alu 0xfffe
	s_add_nc_u64 s[16:17], s[14:15], s[16:17]
	v_mov_b32_e32 v3, 1
	s_wait_alu 0xfffe
	v_dual_mov_b32 v5, s16 :: v_dual_mov_b32 v6, s17
	s_wait_dscnt 0x0
	;;#ASMSTART
	global_store_b128 v[5:6], v[1:4] off scope:SCOPE_DEV	
s_wait_storecnt 0x0
	;;#ASMEND
.LBB112_54:
	s_wait_alu 0xfffe
	s_or_b32 exec_lo, exec_lo, s4
	v_xad_u32 v21, v43, -1, s10
	s_mov_b32 s7, 0
	s_mov_b32 s4, exec_lo
	s_delay_alu instid0(VALU_DEP_1) | instskip(NEXT) | instid1(VALU_DEP_1)
	v_add_nc_u32_e32 v3, 32, v21
	v_lshlrev_b64_e32 v[3:4], 4, v[3:4]
	s_delay_alu instid0(VALU_DEP_1) | instskip(SKIP_1) | instid1(VALU_DEP_2)
	v_add_co_u32 v3, vcc_lo, s14, v3
	s_wait_alu 0xfffd
	v_add_co_ci_u32_e64 v4, null, s15, v4, vcc_lo
	;;#ASMSTART
	global_load_b128 v[5:8], v[3:4] off scope:SCOPE_DEV	
s_wait_loadcnt 0x0
	;;#ASMEND
	v_and_b32_e32 v8, 0xff, v7
	s_delay_alu instid0(VALU_DEP_1)
	v_cmpx_eq_u16_e32 0, v8
	s_cbranch_execz .LBB112_57
.LBB112_55:                             ; =>This Inner Loop Header: Depth=1
	;;#ASMSTART
	global_load_b128 v[5:8], v[3:4] off scope:SCOPE_DEV	
s_wait_loadcnt 0x0
	;;#ASMEND
	v_and_b32_e32 v8, 0xff, v7
	s_delay_alu instid0(VALU_DEP_1)
	v_cmp_ne_u16_e32 vcc_lo, 0, v8
	s_wait_alu 0xfffe
	s_or_b32 s7, vcc_lo, s7
	s_wait_alu 0xfffe
	s_and_not1_b32 exec_lo, exec_lo, s7
	s_cbranch_execnz .LBB112_55
; %bb.56:
	s_or_b32 exec_lo, exec_lo, s7
.LBB112_57:
	s_wait_alu 0xfffe
	s_or_b32 exec_lo, exec_lo, s4
	v_cmp_ne_u32_e32 vcc_lo, 31, v43
	v_and_b32_e32 v4, 0xff, v7
	v_lshlrev_b32_e64 v28, v43, -1
	s_mov_b32 s4, exec_lo
	s_wait_alu 0xfffd
	v_add_co_ci_u32_e64 v3, null, 0, v43, vcc_lo
	v_cmp_eq_u16_e32 vcc_lo, 2, v4
	s_delay_alu instid0(VALU_DEP_2)
	v_dual_mov_b32 v4, v5 :: v_dual_lshlrev_b32 v27, 2, v3
	s_wait_alu 0xfffd
	v_and_or_b32 v3, vcc_lo, v28, 0x80000000
	ds_bpermute_b32 v22, v27, v5
	ds_bpermute_b32 v8, v27, v6
	v_ctz_i32_b32_e32 v3, v3
	s_delay_alu instid0(VALU_DEP_1)
	v_cmpx_lt_u32_e64 v43, v3
	s_cbranch_execz .LBB112_59
; %bb.58:
	s_wait_dscnt 0x1
	v_add_co_u32 v4, vcc_lo, v5, v22
	s_wait_alu 0xfffd
	v_add_co_ci_u32_e64 v6, null, 0, v6, vcc_lo
	s_delay_alu instid0(VALU_DEP_2) | instskip(SKIP_2) | instid1(VALU_DEP_2)
	v_add_co_u32 v5, vcc_lo, 0, v4
	s_wait_dscnt 0x0
	s_wait_alu 0xfffd
	v_add_co_ci_u32_e64 v6, null, v8, v6, vcc_lo
.LBB112_59:
	s_wait_alu 0xfffe
	s_or_b32 exec_lo, exec_lo, s4
	v_cmp_gt_u32_e32 vcc_lo, 30, v43
	v_add_nc_u32_e32 v30, 2, v43
	s_mov_b32 s4, exec_lo
	s_wait_dscnt 0x0
	s_wait_alu 0xfffd
	v_cndmask_b32_e64 v8, 0, 2, vcc_lo
	s_delay_alu instid0(VALU_DEP_1)
	v_add_lshl_u32 v29, v8, v43, 2
	ds_bpermute_b32 v22, v29, v4
	ds_bpermute_b32 v8, v29, v6
	v_cmpx_le_u32_e64 v30, v3
	s_cbranch_execz .LBB112_61
; %bb.60:
	s_wait_dscnt 0x1
	v_add_co_u32 v4, vcc_lo, v5, v22
	s_wait_alu 0xfffd
	v_add_co_ci_u32_e64 v6, null, 0, v6, vcc_lo
	s_delay_alu instid0(VALU_DEP_2) | instskip(SKIP_2) | instid1(VALU_DEP_2)
	v_add_co_u32 v5, vcc_lo, 0, v4
	s_wait_dscnt 0x0
	s_wait_alu 0xfffd
	v_add_co_ci_u32_e64 v6, null, v8, v6, vcc_lo
.LBB112_61:
	s_wait_alu 0xfffe
	s_or_b32 exec_lo, exec_lo, s4
	v_cmp_gt_u32_e32 vcc_lo, 28, v43
	v_add_nc_u32_e32 v46, 4, v43
	s_mov_b32 s4, exec_lo
	s_wait_dscnt 0x0
	s_wait_alu 0xfffd
	v_cndmask_b32_e64 v8, 0, 4, vcc_lo
	s_delay_alu instid0(VALU_DEP_1)
	v_add_lshl_u32 v45, v8, v43, 2
	ds_bpermute_b32 v22, v45, v4
	ds_bpermute_b32 v8, v45, v6
	v_cmpx_le_u32_e64 v46, v3
	;; [unrolled: 25-line block ×3, first 2 shown]
	s_cbranch_execz .LBB112_65
; %bb.64:
	s_wait_dscnt 0x1
	v_add_co_u32 v4, vcc_lo, v5, v22
	s_wait_alu 0xfffd
	v_add_co_ci_u32_e64 v6, null, 0, v6, vcc_lo
	s_delay_alu instid0(VALU_DEP_2) | instskip(SKIP_2) | instid1(VALU_DEP_2)
	v_add_co_u32 v5, vcc_lo, 0, v4
	s_wait_dscnt 0x0
	s_wait_alu 0xfffd
	v_add_co_ci_u32_e64 v6, null, v8, v6, vcc_lo
.LBB112_65:
	s_wait_alu 0xfffe
	s_or_b32 exec_lo, exec_lo, s4
	v_lshl_or_b32 v49, v43, 2, 64
	v_add_nc_u32_e32 v50, 16, v43
	s_mov_b32 s4, exec_lo
	s_wait_dscnt 0x0
	ds_bpermute_b32 v8, v49, v4
	ds_bpermute_b32 v4, v49, v6
	v_cmpx_le_u32_e64 v50, v3
	s_cbranch_execz .LBB112_67
; %bb.66:
	s_wait_dscnt 0x1
	v_add_co_u32 v3, vcc_lo, v5, v8
	s_wait_alu 0xfffd
	v_add_co_ci_u32_e64 v6, null, 0, v6, vcc_lo
	s_delay_alu instid0(VALU_DEP_2) | instskip(SKIP_2) | instid1(VALU_DEP_2)
	v_add_co_u32 v5, vcc_lo, v3, 0
	s_wait_dscnt 0x0
	s_wait_alu 0xfffd
	v_add_co_ci_u32_e64 v6, null, v6, v4, vcc_lo
.LBB112_67:
	s_wait_alu 0xfffe
	s_or_b32 exec_lo, exec_lo, s4
	v_mov_b32_e32 v22, 0
	s_branch .LBB112_70
.LBB112_68:                             ;   in Loop: Header=BB112_70 Depth=1
	s_wait_alu 0xfffe
	s_or_b32 exec_lo, exec_lo, s4
	v_add_co_u32 v5, vcc_lo, v5, v3
	v_subrev_nc_u32_e32 v21, 32, v21
	s_wait_alu 0xfffd
	v_add_co_ci_u32_e64 v6, null, v6, v4, vcc_lo
	s_mov_b32 s4, 0
.LBB112_69:                             ;   in Loop: Header=BB112_70 Depth=1
	s_wait_alu 0xfffe
	s_and_b32 vcc_lo, exec_lo, s4
	s_wait_alu 0xfffe
	s_cbranch_vccnz .LBB112_86
.LBB112_70:                             ; =>This Loop Header: Depth=1
                                        ;     Child Loop BB112_73 Depth 2
	v_and_b32_e32 v3, 0xff, v7
	s_mov_b32 s4, -1
	s_delay_alu instid0(VALU_DEP_1)
	v_cmp_ne_u16_e32 vcc_lo, 2, v3
	s_wait_dscnt 0x0
	v_dual_mov_b32 v3, v5 :: v_dual_mov_b32 v4, v6
                                        ; implicit-def: $vgpr5_vgpr6
	s_cmp_lg_u32 vcc_lo, exec_lo
	s_cbranch_scc1 .LBB112_69
; %bb.71:                               ;   in Loop: Header=BB112_70 Depth=1
	v_lshlrev_b64_e32 v[5:6], 4, v[21:22]
	s_mov_b32 s4, exec_lo
	s_delay_alu instid0(VALU_DEP_1) | instskip(SKIP_1) | instid1(VALU_DEP_2)
	v_add_co_u32 v23, vcc_lo, s14, v5
	s_wait_alu 0xfffd
	v_add_co_ci_u32_e64 v24, null, s15, v6, vcc_lo
	;;#ASMSTART
	global_load_b128 v[5:8], v[23:24] off scope:SCOPE_DEV	
s_wait_loadcnt 0x0
	;;#ASMEND
	v_and_b32_e32 v8, 0xff, v7
	s_delay_alu instid0(VALU_DEP_1)
	v_cmpx_eq_u16_e32 0, v8
	s_cbranch_execz .LBB112_75
; %bb.72:                               ;   in Loop: Header=BB112_70 Depth=1
	s_mov_b32 s7, 0
.LBB112_73:                             ;   Parent Loop BB112_70 Depth=1
                                        ; =>  This Inner Loop Header: Depth=2
	;;#ASMSTART
	global_load_b128 v[5:8], v[23:24] off scope:SCOPE_DEV	
s_wait_loadcnt 0x0
	;;#ASMEND
	v_and_b32_e32 v8, 0xff, v7
	s_delay_alu instid0(VALU_DEP_1)
	v_cmp_ne_u16_e32 vcc_lo, 0, v8
	s_wait_alu 0xfffe
	s_or_b32 s7, vcc_lo, s7
	s_wait_alu 0xfffe
	s_and_not1_b32 exec_lo, exec_lo, s7
	s_cbranch_execnz .LBB112_73
; %bb.74:                               ;   in Loop: Header=BB112_70 Depth=1
	s_or_b32 exec_lo, exec_lo, s7
.LBB112_75:                             ;   in Loop: Header=BB112_70 Depth=1
	s_wait_alu 0xfffe
	s_or_b32 exec_lo, exec_lo, s4
	v_dual_mov_b32 v23, v5 :: v_dual_and_b32 v8, 0xff, v7
	ds_bpermute_b32 v51, v27, v5
	ds_bpermute_b32 v24, v27, v6
	s_mov_b32 s4, exec_lo
	v_cmp_eq_u16_e32 vcc_lo, 2, v8
	s_wait_alu 0xfffd
	v_and_or_b32 v8, vcc_lo, v28, 0x80000000
	s_delay_alu instid0(VALU_DEP_1) | instskip(NEXT) | instid1(VALU_DEP_1)
	v_ctz_i32_b32_e32 v8, v8
	v_cmpx_lt_u32_e64 v43, v8
	s_cbranch_execz .LBB112_77
; %bb.76:                               ;   in Loop: Header=BB112_70 Depth=1
	s_wait_dscnt 0x1
	v_add_co_u32 v23, vcc_lo, v5, v51
	s_wait_alu 0xfffd
	v_add_co_ci_u32_e64 v6, null, 0, v6, vcc_lo
	s_delay_alu instid0(VALU_DEP_2) | instskip(SKIP_2) | instid1(VALU_DEP_2)
	v_add_co_u32 v5, vcc_lo, 0, v23
	s_wait_dscnt 0x0
	s_wait_alu 0xfffd
	v_add_co_ci_u32_e64 v6, null, v24, v6, vcc_lo
.LBB112_77:                             ;   in Loop: Header=BB112_70 Depth=1
	s_wait_alu 0xfffe
	s_or_b32 exec_lo, exec_lo, s4
	s_wait_dscnt 0x1
	ds_bpermute_b32 v51, v29, v23
	s_wait_dscnt 0x1
	ds_bpermute_b32 v24, v29, v6
	s_mov_b32 s4, exec_lo
	v_cmpx_le_u32_e64 v30, v8
	s_cbranch_execz .LBB112_79
; %bb.78:                               ;   in Loop: Header=BB112_70 Depth=1
	s_wait_dscnt 0x1
	v_add_co_u32 v23, vcc_lo, v5, v51
	s_wait_alu 0xfffd
	v_add_co_ci_u32_e64 v6, null, 0, v6, vcc_lo
	s_delay_alu instid0(VALU_DEP_2) | instskip(SKIP_2) | instid1(VALU_DEP_2)
	v_add_co_u32 v5, vcc_lo, 0, v23
	s_wait_dscnt 0x0
	s_wait_alu 0xfffd
	v_add_co_ci_u32_e64 v6, null, v24, v6, vcc_lo
.LBB112_79:                             ;   in Loop: Header=BB112_70 Depth=1
	s_wait_alu 0xfffe
	s_or_b32 exec_lo, exec_lo, s4
	s_wait_dscnt 0x1
	ds_bpermute_b32 v51, v45, v23
	s_wait_dscnt 0x1
	ds_bpermute_b32 v24, v45, v6
	s_mov_b32 s4, exec_lo
	v_cmpx_le_u32_e64 v46, v8
	;; [unrolled: 20-line block ×3, first 2 shown]
	s_cbranch_execz .LBB112_83
; %bb.82:                               ;   in Loop: Header=BB112_70 Depth=1
	s_wait_dscnt 0x1
	v_add_co_u32 v23, vcc_lo, v5, v51
	s_wait_alu 0xfffd
	v_add_co_ci_u32_e64 v6, null, 0, v6, vcc_lo
	s_delay_alu instid0(VALU_DEP_2) | instskip(SKIP_2) | instid1(VALU_DEP_2)
	v_add_co_u32 v5, vcc_lo, 0, v23
	s_wait_dscnt 0x0
	s_wait_alu 0xfffd
	v_add_co_ci_u32_e64 v6, null, v24, v6, vcc_lo
.LBB112_83:                             ;   in Loop: Header=BB112_70 Depth=1
	s_wait_alu 0xfffe
	s_or_b32 exec_lo, exec_lo, s4
	s_wait_dscnt 0x0
	ds_bpermute_b32 v24, v49, v23
	ds_bpermute_b32 v23, v49, v6
	s_mov_b32 s4, exec_lo
	v_cmpx_le_u32_e64 v50, v8
	s_cbranch_execz .LBB112_68
; %bb.84:                               ;   in Loop: Header=BB112_70 Depth=1
	s_wait_dscnt 0x1
	v_add_co_u32 v5, vcc_lo, v5, v24
	s_wait_alu 0xfffd
	v_add_co_ci_u32_e64 v6, null, 0, v6, vcc_lo
	s_delay_alu instid0(VALU_DEP_2) | instskip(SKIP_2) | instid1(VALU_DEP_2)
	v_add_co_u32 v5, vcc_lo, v5, 0
	s_wait_dscnt 0x0
	s_wait_alu 0xfffd
	v_add_co_ci_u32_e64 v6, null, v6, v23, vcc_lo
	s_branch .LBB112_68
.LBB112_85:
                                        ; implicit-def: $vgpr19_vgpr20
                                        ; implicit-def: $vgpr6_vgpr7
                                        ; implicit-def: $vgpr21_vgpr22
                                        ; implicit-def: $vgpr23_vgpr24
                                        ; implicit-def: $vgpr25_vgpr26
                                        ; implicit-def: $vgpr27_vgpr28
                                        ; implicit-def: $vgpr29_vgpr30
                                        ; implicit-def: $vgpr4_vgpr5
	s_wait_alu 0xfffe
	s_and_b32 vcc_lo, exec_lo, s1
	s_wait_alu 0xfffe
	s_cbranch_vccnz .LBB112_91
	s_branch .LBB112_118
.LBB112_86:
	s_and_saveexec_b32 s4, s1
	s_cbranch_execz .LBB112_88
; %bb.87:
	s_add_co_i32 s10, s10, 32
	s_mov_b32 s11, 0
	v_add_co_u32 v5, vcc_lo, v3, v1
	s_wait_alu 0xfffe
	s_lshl_b64 s[10:11], s[10:11], 4
	v_dual_mov_b32 v7, 2 :: v_dual_mov_b32 v8, 0
	s_wait_alu 0xfffe
	s_add_nc_u64 s[10:11], s[14:15], s[10:11]
	s_wait_alu 0xfffd
	v_add_co_ci_u32_e64 v6, null, v4, v2, vcc_lo
	s_wait_alu 0xfffe
	v_dual_mov_b32 v22, s11 :: v_dual_mov_b32 v21, s10
	;;#ASMSTART
	global_store_b128 v[21:22], v[5:8] off scope:SCOPE_DEV	
s_wait_storecnt 0x0
	;;#ASMEND
	ds_store_b128 v8, v[1:4] offset:10752
.LBB112_88:
	s_wait_alu 0xfffe
	s_or_b32 exec_lo, exec_lo, s4
	s_delay_alu instid0(SALU_CYCLE_1)
	s_and_b32 exec_lo, exec_lo, s2
; %bb.89:
	v_mov_b32_e32 v1, 0
	ds_store_b64 v1, v[3:4] offset:88
.LBB112_90:
	s_wait_alu 0xfffe
	s_or_b32 exec_lo, exec_lo, s3
	v_mov_b32_e32 v3, 0
	s_wait_loadcnt_dscnt 0x0
	s_barrier_signal -1
	s_barrier_wait -1
	global_inv scope:SCOPE_SE
	ds_load_b64 v[1:2], v3 offset:88
	v_cndmask_b32_e64 v4, v25, v19, s1
	v_cndmask_b32_e64 v5, v26, v20, s1
	s_wait_loadcnt_dscnt 0x0
	s_barrier_signal -1
	s_barrier_wait -1
	v_cndmask_b32_e64 v4, v4, 0, s2
	v_cndmask_b32_e64 v5, v5, 0, s2
	global_inv scope:SCOPE_SE
	v_add_co_u32 v29, vcc_lo, v1, v4
	s_wait_alu 0xfffd
	v_add_co_ci_u32_e64 v30, null, v2, v5, vcc_lo
	ds_load_b128 v[2:5], v3 offset:10752
	v_add_co_u32 v27, vcc_lo, v29, v42
	s_wait_alu 0xfffd
	v_add_co_ci_u32_e64 v28, null, 0, v30, vcc_lo
	s_delay_alu instid0(VALU_DEP_2) | instskip(SKIP_1) | instid1(VALU_DEP_2)
	v_add_co_u32 v25, vcc_lo, v27, v40
	s_wait_alu 0xfffd
	v_add_co_ci_u32_e64 v26, null, 0, v28, vcc_lo
	s_delay_alu instid0(VALU_DEP_2) | instskip(SKIP_1) | instid1(VALU_DEP_2)
	;; [unrolled: 4-line block ×5, first 2 shown]
	v_add_co_u32 v19, vcc_lo, v6, v38
	s_wait_alu 0xfffd
	v_add_co_ci_u32_e64 v20, null, 0, v7, vcc_lo
	s_branch .LBB112_118
.LBB112_91:
	s_wait_dscnt 0x0
	v_dual_mov_b32 v2, 0 :: v_dual_mov_b32 v3, v17
	v_mov_b32_dpp v4, v17 row_shr:1 row_mask:0xf bank_mask:0xf
	s_delay_alu instid0(VALU_DEP_2)
	v_mov_b32_dpp v1, v2 row_shr:1 row_mask:0xf bank_mask:0xf
	s_and_saveexec_b32 s1, s0
; %bb.92:
	s_delay_alu instid0(VALU_DEP_2) | instskip(SKIP_2) | instid1(VALU_DEP_2)
	v_add_co_u32 v3, vcc_lo, v17, v4
	s_wait_alu 0xfffd
	v_add_co_ci_u32_e64 v2, null, 0, v18, vcc_lo
	v_add_co_u32 v17, vcc_lo, 0, v3
	s_wait_alu 0xfffd
	s_delay_alu instid0(VALU_DEP_2) | instskip(NEXT) | instid1(VALU_DEP_1)
	v_add_co_ci_u32_e64 v18, null, v1, v2, vcc_lo
	v_mov_b32_e32 v2, v18
; %bb.93:
	s_wait_alu 0xfffe
	s_or_b32 exec_lo, exec_lo, s1
	v_mov_b32_dpp v1, v3 row_shr:2 row_mask:0xf bank_mask:0xf
	s_delay_alu instid0(VALU_DEP_2)
	v_mov_b32_dpp v4, v2 row_shr:2 row_mask:0xf bank_mask:0xf
	v_cmp_lt_u32_e32 vcc_lo, 1, v44
	s_and_saveexec_b32 s3, vcc_lo
; %bb.94:
	s_delay_alu instid0(VALU_DEP_3) | instskip(SKIP_2) | instid1(VALU_DEP_2)
	v_add_co_u32 v3, s1, v17, v1
	s_wait_alu 0xf1ff
	v_add_co_ci_u32_e64 v2, null, 0, v18, s1
	v_add_co_u32 v1, s1, 0, v3
	s_wait_alu 0xf1ff
	s_delay_alu instid0(VALU_DEP_2) | instskip(NEXT) | instid1(VALU_DEP_1)
	v_add_co_ci_u32_e64 v2, null, v4, v2, s1
	v_dual_mov_b32 v18, v2 :: v_dual_mov_b32 v17, v1
; %bb.95:
	s_or_b32 exec_lo, exec_lo, s3
	v_mov_b32_dpp v1, v3 row_shr:4 row_mask:0xf bank_mask:0xf
	v_mov_b32_dpp v4, v2 row_shr:4 row_mask:0xf bank_mask:0xf
	v_cmp_lt_u32_e64 s1, 3, v44
	s_and_saveexec_b32 s4, s1
; %bb.96:
	v_add_co_u32 v3, s3, v17, v1
	s_delay_alu instid0(VALU_DEP_1) | instskip(NEXT) | instid1(VALU_DEP_2)
	v_add_co_ci_u32_e64 v2, null, 0, v18, s3
	v_add_co_u32 v1, s3, 0, v3
	s_wait_alu 0xf1ff
	s_delay_alu instid0(VALU_DEP_2) | instskip(NEXT) | instid1(VALU_DEP_1)
	v_add_co_ci_u32_e64 v2, null, v4, v2, s3
	v_dual_mov_b32 v18, v2 :: v_dual_mov_b32 v17, v1
; %bb.97:
	s_wait_alu 0xfffe
	s_or_b32 exec_lo, exec_lo, s4
	v_mov_b32_dpp v4, v3 row_shr:8 row_mask:0xf bank_mask:0xf
	v_mov_b32_dpp v1, v2 row_shr:8 row_mask:0xf bank_mask:0xf
	v_cmp_lt_u32_e64 s3, 7, v44
	s_and_saveexec_b32 s7, s3
; %bb.98:
	v_add_co_u32 v3, s4, v17, v4
	s_wait_alu 0xf1ff
	v_add_co_ci_u32_e64 v2, null, 0, v18, s4
	s_delay_alu instid0(VALU_DEP_2) | instskip(SKIP_1) | instid1(VALU_DEP_2)
	v_add_co_u32 v17, s4, 0, v3
	s_wait_alu 0xf1ff
	v_add_co_ci_u32_e64 v18, null, v1, v2, s4
	s_delay_alu instid0(VALU_DEP_1)
	v_mov_b32_e32 v2, v18
; %bb.99:
	s_wait_alu 0xfffe
	s_or_b32 exec_lo, exec_lo, s7
	ds_swizzle_b32 v3, v3 offset:swizzle(BROADCAST,32,15)
	ds_swizzle_b32 v1, v2 offset:swizzle(BROADCAST,32,15)
	v_and_b32_e32 v2, 16, v43
	s_mov_b32 s7, exec_lo
	s_delay_alu instid0(VALU_DEP_1)
	v_cmpx_ne_u32_e32 0, v2
	s_cbranch_execz .LBB112_101
; %bb.100:
	s_wait_dscnt 0x1
	v_add_co_u32 v2, s4, v17, v3
	s_wait_alu 0xf1ff
	v_add_co_ci_u32_e64 v3, null, 0, v18, s4
	s_delay_alu instid0(VALU_DEP_2) | instskip(SKIP_2) | instid1(VALU_DEP_2)
	v_add_co_u32 v17, s4, v2, 0
	s_wait_dscnt 0x0
	s_wait_alu 0xf1ff
	v_add_co_ci_u32_e64 v18, null, v3, v1, s4
.LBB112_101:
	s_wait_alu 0xfffe
	s_or_b32 exec_lo, exec_lo, s7
	s_wait_dscnt 0x0
	v_and_b32_e32 v1, 0x1e0, v0
	v_lshrrev_b32_e32 v3, 5, v0
	s_mov_b32 s7, exec_lo
	s_delay_alu instid0(VALU_DEP_2) | instskip(NEXT) | instid1(VALU_DEP_1)
	v_min_u32_e32 v1, 0x160, v1
	v_or_b32_e32 v1, 31, v1
	s_delay_alu instid0(VALU_DEP_1)
	v_cmpx_eq_u32_e64 v0, v1
; %bb.102:
	v_lshlrev_b32_e32 v1, 3, v3
	ds_store_b64 v1, v[17:18]
; %bb.103:
	s_wait_alu 0xfffe
	s_or_b32 exec_lo, exec_lo, s7
	s_delay_alu instid0(SALU_CYCLE_1)
	s_mov_b32 s7, exec_lo
	s_wait_loadcnt_dscnt 0x0
	s_barrier_signal -1
	s_barrier_wait -1
	global_inv scope:SCOPE_SE
	v_cmpx_gt_u32_e32 12, v0
	s_cbranch_execz .LBB112_113
; %bb.104:
	v_mad_i32_i24 v1, 0xffffffec, v0, v31
	ds_load_b64 v[1:2], v1
	s_wait_dscnt 0x0
	v_mov_b32_dpp v6, v1 row_shr:1 row_mask:0xf bank_mask:0xf
	v_mov_b32_dpp v5, v2 row_shr:1 row_mask:0xf bank_mask:0xf
	v_mov_b32_e32 v4, v1
	s_and_saveexec_b32 s4, s0
; %bb.105:
	s_delay_alu instid0(VALU_DEP_3) | instskip(SKIP_2) | instid1(VALU_DEP_2)
	v_add_co_u32 v4, s0, v1, v6
	s_wait_alu 0xf1ff
	v_add_co_ci_u32_e64 v2, null, 0, v2, s0
	v_add_co_u32 v1, s0, 0, v4
	s_wait_alu 0xf1ff
	s_delay_alu instid0(VALU_DEP_2)
	v_add_co_ci_u32_e64 v2, null, v5, v2, s0
; %bb.106:
	s_wait_alu 0xfffe
	s_or_b32 exec_lo, exec_lo, s4
	v_mov_b32_dpp v6, v4 row_shr:2 row_mask:0xf bank_mask:0xf
	s_delay_alu instid0(VALU_DEP_2)
	v_mov_b32_dpp v5, v2 row_shr:2 row_mask:0xf bank_mask:0xf
	s_and_saveexec_b32 s0, vcc_lo
; %bb.107:
	s_delay_alu instid0(VALU_DEP_2) | instskip(SKIP_2) | instid1(VALU_DEP_2)
	v_add_co_u32 v4, vcc_lo, v1, v6
	s_wait_alu 0xfffd
	v_add_co_ci_u32_e64 v2, null, 0, v2, vcc_lo
	v_add_co_u32 v1, vcc_lo, 0, v4
	s_wait_alu 0xfffd
	s_delay_alu instid0(VALU_DEP_2)
	v_add_co_ci_u32_e64 v2, null, v5, v2, vcc_lo
; %bb.108:
	s_wait_alu 0xfffe
	s_or_b32 exec_lo, exec_lo, s0
	v_mov_b32_dpp v6, v4 row_shr:4 row_mask:0xf bank_mask:0xf
	s_delay_alu instid0(VALU_DEP_2)
	v_mov_b32_dpp v5, v2 row_shr:4 row_mask:0xf bank_mask:0xf
	s_and_saveexec_b32 s0, s1
; %bb.109:
	s_delay_alu instid0(VALU_DEP_2) | instskip(SKIP_2) | instid1(VALU_DEP_2)
	v_add_co_u32 v4, vcc_lo, v1, v6
	s_wait_alu 0xfffd
	v_add_co_ci_u32_e64 v2, null, 0, v2, vcc_lo
	v_add_co_u32 v1, vcc_lo, 0, v4
	s_wait_alu 0xfffd
	s_delay_alu instid0(VALU_DEP_2)
	v_add_co_ci_u32_e64 v2, null, v5, v2, vcc_lo
; %bb.110:
	s_wait_alu 0xfffe
	s_or_b32 exec_lo, exec_lo, s0
	v_mul_i32_i24_e32 v5, 0xffffffec, v0
	v_mov_b32_dpp v6, v4 row_shr:8 row_mask:0xf bank_mask:0xf
	v_mov_b32_dpp v4, v2 row_shr:8 row_mask:0xf bank_mask:0xf
	s_and_saveexec_b32 s0, s3
; %bb.111:
	s_delay_alu instid0(VALU_DEP_2) | instskip(SKIP_2) | instid1(VALU_DEP_2)
	v_add_co_u32 v1, vcc_lo, v1, v6
	s_wait_alu 0xfffd
	v_add_co_ci_u32_e64 v2, null, 0, v2, vcc_lo
	v_add_co_u32 v1, vcc_lo, v1, 0
	s_wait_alu 0xfffd
	s_delay_alu instid0(VALU_DEP_2)
	v_add_co_ci_u32_e64 v2, null, v2, v4, vcc_lo
; %bb.112:
	s_wait_alu 0xfffe
	s_or_b32 exec_lo, exec_lo, s0
	v_add_nc_u32_e32 v4, v31, v5
	ds_store_b64 v4, v[1:2]
.LBB112_113:
	s_wait_alu 0xfffe
	s_or_b32 exec_lo, exec_lo, s7
	v_mov_b32_e32 v6, 0
	v_mov_b32_e32 v7, 0
	s_mov_b32 s0, exec_lo
	s_wait_loadcnt_dscnt 0x0
	s_barrier_signal -1
	s_barrier_wait -1
	global_inv scope:SCOPE_SE
	v_cmpx_lt_u32_e32 31, v0
; %bb.114:
	v_lshl_add_u32 v1, v3, 3, -8
	ds_load_b64 v[6:7], v1
; %bb.115:
	s_wait_alu 0xfffe
	s_or_b32 exec_lo, exec_lo, s0
	v_sub_co_u32 v1, vcc_lo, v43, 1
	v_mov_b32_e32 v5, 0
	s_delay_alu instid0(VALU_DEP_2) | instskip(SKIP_1) | instid1(VALU_DEP_1)
	v_cmp_gt_i32_e64 s0, 0, v1
	s_wait_alu 0xf1ff
	v_cndmask_b32_e64 v1, v1, v43, s0
	s_delay_alu instid0(VALU_DEP_1)
	v_lshlrev_b32_e32 v2, 2, v1
	s_wait_dscnt 0x0
	v_add_co_u32 v1, s0, v6, v17
	s_wait_alu 0xf1ff
	v_add_co_ci_u32_e64 v3, null, v7, v18, s0
	ds_bpermute_b32 v1, v2, v1
	ds_bpermute_b32 v8, v2, v3
	ds_load_b64 v[2:3], v5 offset:88
	s_and_saveexec_b32 s0, s2
	s_cbranch_execz .LBB112_117
; %bb.116:
	s_add_nc_u64 s[10:11], s[14:15], 0x200
	v_mov_b32_e32 v4, 2
	v_dual_mov_b32 v18, s11 :: v_dual_mov_b32 v17, s10
	s_wait_dscnt 0x0
	;;#ASMSTART
	global_store_b128 v[17:18], v[2:5] off scope:SCOPE_DEV	
s_wait_storecnt 0x0
	;;#ASMEND
.LBB112_117:
	s_wait_alu 0xfffe
	s_or_b32 exec_lo, exec_lo, s0
	s_wait_dscnt 0x1
	s_wait_alu 0xfffd
	v_dual_cndmask_b32 v1, v1, v6 :: v_dual_cndmask_b32 v4, v8, v7
	s_wait_loadcnt_dscnt 0x0
	s_barrier_signal -1
	s_barrier_wait -1
	s_delay_alu instid0(VALU_DEP_1)
	v_cndmask_b32_e64 v29, v1, 0, s2
	v_cndmask_b32_e64 v30, v4, 0, s2
	v_mov_b32_e32 v4, 0
	v_mov_b32_e32 v5, 0
	global_inv scope:SCOPE_SE
	v_add_co_u32 v27, vcc_lo, v29, v42
	s_wait_alu 0xfffd
	v_add_co_ci_u32_e64 v28, null, 0, v30, vcc_lo
	s_delay_alu instid0(VALU_DEP_2) | instskip(SKIP_1) | instid1(VALU_DEP_2)
	v_add_co_u32 v25, vcc_lo, v27, v40
	s_wait_alu 0xfffd
	v_add_co_ci_u32_e64 v26, null, 0, v28, vcc_lo
	s_delay_alu instid0(VALU_DEP_2) | instskip(SKIP_1) | instid1(VALU_DEP_2)
	;; [unrolled: 4-line block ×5, first 2 shown]
	v_add_co_u32 v19, vcc_lo, v6, v38
	s_wait_alu 0xfffd
	v_add_co_ci_u32_e64 v20, null, 0, v7, vcc_lo
.LBB112_118:
	v_and_b32_e32 v38, 1, v32
	s_wait_dscnt 0x0
	v_cmp_gt_u64_e32 vcc_lo, 0x181, v[2:3]
	v_lshlrev_b64_e32 v[17:18], 2, v[9:10]
	v_lshrrev_b32_e32 v8, 8, v32
	v_lshrrev_b32_e32 v1, 16, v32
	v_cmp_eq_u32_e64 s0, 1, v38
	s_mov_b32 s1, -1
	s_cbranch_vccnz .LBB112_122
; %bb.119:
	s_wait_alu 0xfffe
	s_and_b32 vcc_lo, exec_lo, s1
	s_wait_alu 0xfffe
	s_cbranch_vccnz .LBB112_137
.LBB112_120:
	s_and_b32 s0, s2, s6
	s_wait_alu 0xfffe
	s_and_saveexec_b32 s1, s0
	s_cbranch_execnz .LBB112_154
.LBB112_121:
	s_endpgm
.LBB112_122:
	v_add_co_u32 v31, vcc_lo, v4, v2
	s_wait_alu 0xfffd
	v_add_co_ci_u32_e64 v32, null, v5, v3, vcc_lo
	v_add_co_u32 v39, s1, s12, v17
	s_wait_alu 0xf1fe
	v_add_co_ci_u32_e64 v40, null, s13, v18, s1
	s_delay_alu instid0(VALU_DEP_3)
	v_cmp_lt_u64_e32 vcc_lo, v[29:30], v[31:32]
	s_or_b32 s1, s5, vcc_lo
	s_wait_alu 0xfffe
	s_and_b32 s1, s1, s0
	s_wait_alu 0xfffe
	s_and_saveexec_b32 s0, s1
	s_cbranch_execz .LBB112_124
; %bb.123:
	v_lshlrev_b64_e32 v[41:42], 2, v[29:30]
	s_delay_alu instid0(VALU_DEP_1) | instskip(SKIP_1) | instid1(VALU_DEP_2)
	v_add_co_u32 v41, vcc_lo, v39, v41
	s_wait_alu 0xfffd
	v_add_co_ci_u32_e64 v42, null, v40, v42, vcc_lo
	global_store_b32 v[41:42], v15, off
.LBB112_124:
	s_wait_alu 0xfffe
	s_or_b32 exec_lo, exec_lo, s0
	v_and_b32_e32 v30, 1, v8
	v_cmp_lt_u64_e32 vcc_lo, v[27:28], v[31:32]
	s_delay_alu instid0(VALU_DEP_2)
	v_cmp_eq_u32_e64 s0, 1, v30
	s_or_b32 s1, s5, vcc_lo
	s_wait_alu 0xfffe
	s_and_b32 s1, s1, s0
	s_wait_alu 0xfffe
	s_and_saveexec_b32 s0, s1
	s_cbranch_execz .LBB112_126
; %bb.125:
	v_lshlrev_b64_e32 v[41:42], 2, v[27:28]
	s_delay_alu instid0(VALU_DEP_1) | instskip(SKIP_1) | instid1(VALU_DEP_2)
	v_add_co_u32 v41, vcc_lo, v39, v41
	s_wait_alu 0xfffd
	v_add_co_ci_u32_e64 v42, null, v40, v42, vcc_lo
	global_store_b32 v[41:42], v16, off
.LBB112_126:
	s_wait_alu 0xfffe
	s_or_b32 exec_lo, exec_lo, s0
	v_and_b32_e32 v28, 1, v1
	v_cmp_lt_u64_e32 vcc_lo, v[25:26], v[31:32]
	s_delay_alu instid0(VALU_DEP_2)
	v_cmp_eq_u32_e64 s0, 1, v28
	;; [unrolled: 20-line block ×6, first 2 shown]
	s_or_b32 s1, s5, vcc_lo
	s_wait_alu 0xfffe
	s_and_b32 s1, s1, s0
	s_wait_alu 0xfffe
	s_and_saveexec_b32 s0, s1
	s_cbranch_execz .LBB112_136
; %bb.135:
	v_lshlrev_b64_e32 v[30:31], 2, v[19:20]
	s_delay_alu instid0(VALU_DEP_1) | instskip(SKIP_1) | instid1(VALU_DEP_2)
	v_add_co_u32 v30, vcc_lo, v39, v30
	s_wait_alu 0xfffd
	v_add_co_ci_u32_e64 v31, null, v40, v31, vcc_lo
	global_store_b32 v[30:31], v33, off
.LBB112_136:
	s_wait_alu 0xfffe
	s_or_b32 exec_lo, exec_lo, s0
	s_branch .LBB112_120
.LBB112_137:
	s_mov_b32 s0, exec_lo
	v_cmpx_eq_u32_e32 1, v38
; %bb.138:
	v_sub_nc_u32_e32 v7, v29, v4
	s_delay_alu instid0(VALU_DEP_1)
	v_lshlrev_b32_e32 v7, 2, v7
	ds_store_b32 v7, v15
; %bb.139:
	s_wait_alu 0xfffe
	s_or_b32 exec_lo, exec_lo, s0
	v_and_b32_e32 v7, 1, v8
	s_mov_b32 s0, exec_lo
	s_delay_alu instid0(VALU_DEP_1)
	v_cmpx_eq_u32_e32 1, v7
; %bb.140:
	v_sub_nc_u32_e32 v7, v27, v4
	s_delay_alu instid0(VALU_DEP_1)
	v_lshlrev_b32_e32 v7, 2, v7
	ds_store_b32 v7, v16
; %bb.141:
	s_wait_alu 0xfffe
	s_or_b32 exec_lo, exec_lo, s0
	v_and_b32_e32 v1, 1, v1
	s_mov_b32 s0, exec_lo
	s_delay_alu instid0(VALU_DEP_1)
	;; [unrolled: 12-line block ×6, first 2 shown]
	v_cmpx_eq_u32_e32 1, v1
; %bb.150:
	v_sub_nc_u32_e32 v1, v19, v4
	s_delay_alu instid0(VALU_DEP_1)
	v_lshlrev_b32_e32 v1, 2, v1
	ds_store_b32 v1, v33
; %bb.151:
	s_wait_alu 0xfffe
	s_or_b32 exec_lo, exec_lo, s0
	v_lshlrev_b64_e32 v[6:7], 2, v[4:5]
	v_mov_b32_e32 v1, 0
	s_mov_b32 s1, 0
	s_wait_storecnt 0x0
	s_wait_loadcnt_dscnt 0x0
	s_barrier_signal -1
	s_barrier_wait -1
	v_add_co_u32 v8, vcc_lo, s12, v6
	s_wait_alu 0xfffd
	v_add_co_ci_u32_e64 v11, null, s13, v7, vcc_lo
	v_dual_mov_b32 v7, v1 :: v_dual_mov_b32 v6, v0
	s_delay_alu instid0(VALU_DEP_3) | instskip(SKIP_1) | instid1(VALU_DEP_3)
	v_add_co_u32 v8, vcc_lo, v8, v17
	s_wait_alu 0xfffd
	v_add_co_ci_u32_e64 v11, null, v11, v18, vcc_lo
	v_add_nc_u32_e32 v0, 0x180, v0
	global_inv scope:SCOPE_SE
.LBB112_152:                            ; =>This Inner Loop Header: Depth=1
	v_lshlrev_b32_e32 v12, 2, v6
	v_cmp_le_u64_e32 vcc_lo, v[2:3], v[0:1]
	ds_load_b32 v14, v12
	v_lshlrev_b64_e32 v[12:13], 2, v[6:7]
	v_dual_mov_b32 v7, v1 :: v_dual_mov_b32 v6, v0
	v_add_nc_u32_e32 v0, 0x180, v0
	s_wait_alu 0xfffe
	s_or_b32 s1, vcc_lo, s1
	s_delay_alu instid0(VALU_DEP_3)
	v_add_co_u32 v12, s0, v8, v12
	s_wait_alu 0xf1ff
	v_add_co_ci_u32_e64 v13, null, v11, v13, s0
	s_wait_dscnt 0x0
	global_store_b32 v[12:13], v14, off
	s_wait_alu 0xfffe
	s_and_not1_b32 exec_lo, exec_lo, s1
	s_cbranch_execnz .LBB112_152
; %bb.153:
	s_or_b32 exec_lo, exec_lo, s1
	s_and_b32 s0, s2, s6
	s_wait_alu 0xfffe
	s_and_saveexec_b32 s1, s0
	s_cbranch_execz .LBB112_121
.LBB112_154:
	v_add_co_u32 v0, vcc_lo, v4, v2
	s_wait_alu 0xfffd
	v_add_co_ci_u32_e64 v1, null, v5, v3, vcc_lo
	v_mov_b32_e32 v2, 0
	s_delay_alu instid0(VALU_DEP_3) | instskip(SKIP_1) | instid1(VALU_DEP_3)
	v_add_co_u32 v0, vcc_lo, v0, v9
	s_wait_alu 0xfffd
	v_add_co_ci_u32_e64 v1, null, v1, v10, vcc_lo
	global_store_b64 v2, v[0:1], s[8:9]
	s_endpgm
	.section	.rodata,"a",@progbits
	.p2align	6, 0x0
	.amdhsa_kernel _ZN7rocprim17ROCPRIM_400000_NS6detail17trampoline_kernelINS0_14default_configENS1_25partition_config_selectorILNS1_17partition_subalgoE6EiNS0_10empty_typeEbEEZZNS1_14partition_implILS5_6ELb0ES3_mN6thrust23THRUST_200600_302600_NS6detail15normal_iteratorINSA_10device_ptrIiEEEEPS6_SG_NS0_5tupleIJSF_S6_EEENSH_IJSG_SG_EEES6_PlJNSB_9not_fun_tI6is_oddIiEEEEEE10hipError_tPvRmT3_T4_T5_T6_T7_T9_mT8_P12ihipStream_tbDpT10_ENKUlT_T0_E_clISt17integral_constantIbLb0EES17_IbLb1EEEEDaS13_S14_EUlS13_E_NS1_11comp_targetILNS1_3genE10ELNS1_11target_archE1200ELNS1_3gpuE4ELNS1_3repE0EEENS1_30default_config_static_selectorELNS0_4arch9wavefront6targetE0EEEvT1_
		.amdhsa_group_segment_fixed_size 10768
		.amdhsa_private_segment_fixed_size 0
		.amdhsa_kernarg_size 128
		.amdhsa_user_sgpr_count 2
		.amdhsa_user_sgpr_dispatch_ptr 0
		.amdhsa_user_sgpr_queue_ptr 0
		.amdhsa_user_sgpr_kernarg_segment_ptr 1
		.amdhsa_user_sgpr_dispatch_id 0
		.amdhsa_user_sgpr_private_segment_size 0
		.amdhsa_wavefront_size32 1
		.amdhsa_uses_dynamic_stack 0
		.amdhsa_enable_private_segment 0
		.amdhsa_system_sgpr_workgroup_id_x 1
		.amdhsa_system_sgpr_workgroup_id_y 0
		.amdhsa_system_sgpr_workgroup_id_z 0
		.amdhsa_system_sgpr_workgroup_info 0
		.amdhsa_system_vgpr_workitem_id 0
		.amdhsa_next_free_vgpr 52
		.amdhsa_next_free_sgpr 20
		.amdhsa_reserve_vcc 1
		.amdhsa_float_round_mode_32 0
		.amdhsa_float_round_mode_16_64 0
		.amdhsa_float_denorm_mode_32 3
		.amdhsa_float_denorm_mode_16_64 3
		.amdhsa_fp16_overflow 0
		.amdhsa_workgroup_processor_mode 1
		.amdhsa_memory_ordered 1
		.amdhsa_forward_progress 1
		.amdhsa_inst_pref_size 60
		.amdhsa_round_robin_scheduling 0
		.amdhsa_exception_fp_ieee_invalid_op 0
		.amdhsa_exception_fp_denorm_src 0
		.amdhsa_exception_fp_ieee_div_zero 0
		.amdhsa_exception_fp_ieee_overflow 0
		.amdhsa_exception_fp_ieee_underflow 0
		.amdhsa_exception_fp_ieee_inexact 0
		.amdhsa_exception_int_div_zero 0
	.end_amdhsa_kernel
	.section	.text._ZN7rocprim17ROCPRIM_400000_NS6detail17trampoline_kernelINS0_14default_configENS1_25partition_config_selectorILNS1_17partition_subalgoE6EiNS0_10empty_typeEbEEZZNS1_14partition_implILS5_6ELb0ES3_mN6thrust23THRUST_200600_302600_NS6detail15normal_iteratorINSA_10device_ptrIiEEEEPS6_SG_NS0_5tupleIJSF_S6_EEENSH_IJSG_SG_EEES6_PlJNSB_9not_fun_tI6is_oddIiEEEEEE10hipError_tPvRmT3_T4_T5_T6_T7_T9_mT8_P12ihipStream_tbDpT10_ENKUlT_T0_E_clISt17integral_constantIbLb0EES17_IbLb1EEEEDaS13_S14_EUlS13_E_NS1_11comp_targetILNS1_3genE10ELNS1_11target_archE1200ELNS1_3gpuE4ELNS1_3repE0EEENS1_30default_config_static_selectorELNS0_4arch9wavefront6targetE0EEEvT1_,"axG",@progbits,_ZN7rocprim17ROCPRIM_400000_NS6detail17trampoline_kernelINS0_14default_configENS1_25partition_config_selectorILNS1_17partition_subalgoE6EiNS0_10empty_typeEbEEZZNS1_14partition_implILS5_6ELb0ES3_mN6thrust23THRUST_200600_302600_NS6detail15normal_iteratorINSA_10device_ptrIiEEEEPS6_SG_NS0_5tupleIJSF_S6_EEENSH_IJSG_SG_EEES6_PlJNSB_9not_fun_tI6is_oddIiEEEEEE10hipError_tPvRmT3_T4_T5_T6_T7_T9_mT8_P12ihipStream_tbDpT10_ENKUlT_T0_E_clISt17integral_constantIbLb0EES17_IbLb1EEEEDaS13_S14_EUlS13_E_NS1_11comp_targetILNS1_3genE10ELNS1_11target_archE1200ELNS1_3gpuE4ELNS1_3repE0EEENS1_30default_config_static_selectorELNS0_4arch9wavefront6targetE0EEEvT1_,comdat
.Lfunc_end112:
	.size	_ZN7rocprim17ROCPRIM_400000_NS6detail17trampoline_kernelINS0_14default_configENS1_25partition_config_selectorILNS1_17partition_subalgoE6EiNS0_10empty_typeEbEEZZNS1_14partition_implILS5_6ELb0ES3_mN6thrust23THRUST_200600_302600_NS6detail15normal_iteratorINSA_10device_ptrIiEEEEPS6_SG_NS0_5tupleIJSF_S6_EEENSH_IJSG_SG_EEES6_PlJNSB_9not_fun_tI6is_oddIiEEEEEE10hipError_tPvRmT3_T4_T5_T6_T7_T9_mT8_P12ihipStream_tbDpT10_ENKUlT_T0_E_clISt17integral_constantIbLb0EES17_IbLb1EEEEDaS13_S14_EUlS13_E_NS1_11comp_targetILNS1_3genE10ELNS1_11target_archE1200ELNS1_3gpuE4ELNS1_3repE0EEENS1_30default_config_static_selectorELNS0_4arch9wavefront6targetE0EEEvT1_, .Lfunc_end112-_ZN7rocprim17ROCPRIM_400000_NS6detail17trampoline_kernelINS0_14default_configENS1_25partition_config_selectorILNS1_17partition_subalgoE6EiNS0_10empty_typeEbEEZZNS1_14partition_implILS5_6ELb0ES3_mN6thrust23THRUST_200600_302600_NS6detail15normal_iteratorINSA_10device_ptrIiEEEEPS6_SG_NS0_5tupleIJSF_S6_EEENSH_IJSG_SG_EEES6_PlJNSB_9not_fun_tI6is_oddIiEEEEEE10hipError_tPvRmT3_T4_T5_T6_T7_T9_mT8_P12ihipStream_tbDpT10_ENKUlT_T0_E_clISt17integral_constantIbLb0EES17_IbLb1EEEEDaS13_S14_EUlS13_E_NS1_11comp_targetILNS1_3genE10ELNS1_11target_archE1200ELNS1_3gpuE4ELNS1_3repE0EEENS1_30default_config_static_selectorELNS0_4arch9wavefront6targetE0EEEvT1_
                                        ; -- End function
	.set _ZN7rocprim17ROCPRIM_400000_NS6detail17trampoline_kernelINS0_14default_configENS1_25partition_config_selectorILNS1_17partition_subalgoE6EiNS0_10empty_typeEbEEZZNS1_14partition_implILS5_6ELb0ES3_mN6thrust23THRUST_200600_302600_NS6detail15normal_iteratorINSA_10device_ptrIiEEEEPS6_SG_NS0_5tupleIJSF_S6_EEENSH_IJSG_SG_EEES6_PlJNSB_9not_fun_tI6is_oddIiEEEEEE10hipError_tPvRmT3_T4_T5_T6_T7_T9_mT8_P12ihipStream_tbDpT10_ENKUlT_T0_E_clISt17integral_constantIbLb0EES17_IbLb1EEEEDaS13_S14_EUlS13_E_NS1_11comp_targetILNS1_3genE10ELNS1_11target_archE1200ELNS1_3gpuE4ELNS1_3repE0EEENS1_30default_config_static_selectorELNS0_4arch9wavefront6targetE0EEEvT1_.num_vgpr, 52
	.set _ZN7rocprim17ROCPRIM_400000_NS6detail17trampoline_kernelINS0_14default_configENS1_25partition_config_selectorILNS1_17partition_subalgoE6EiNS0_10empty_typeEbEEZZNS1_14partition_implILS5_6ELb0ES3_mN6thrust23THRUST_200600_302600_NS6detail15normal_iteratorINSA_10device_ptrIiEEEEPS6_SG_NS0_5tupleIJSF_S6_EEENSH_IJSG_SG_EEES6_PlJNSB_9not_fun_tI6is_oddIiEEEEEE10hipError_tPvRmT3_T4_T5_T6_T7_T9_mT8_P12ihipStream_tbDpT10_ENKUlT_T0_E_clISt17integral_constantIbLb0EES17_IbLb1EEEEDaS13_S14_EUlS13_E_NS1_11comp_targetILNS1_3genE10ELNS1_11target_archE1200ELNS1_3gpuE4ELNS1_3repE0EEENS1_30default_config_static_selectorELNS0_4arch9wavefront6targetE0EEEvT1_.num_agpr, 0
	.set _ZN7rocprim17ROCPRIM_400000_NS6detail17trampoline_kernelINS0_14default_configENS1_25partition_config_selectorILNS1_17partition_subalgoE6EiNS0_10empty_typeEbEEZZNS1_14partition_implILS5_6ELb0ES3_mN6thrust23THRUST_200600_302600_NS6detail15normal_iteratorINSA_10device_ptrIiEEEEPS6_SG_NS0_5tupleIJSF_S6_EEENSH_IJSG_SG_EEES6_PlJNSB_9not_fun_tI6is_oddIiEEEEEE10hipError_tPvRmT3_T4_T5_T6_T7_T9_mT8_P12ihipStream_tbDpT10_ENKUlT_T0_E_clISt17integral_constantIbLb0EES17_IbLb1EEEEDaS13_S14_EUlS13_E_NS1_11comp_targetILNS1_3genE10ELNS1_11target_archE1200ELNS1_3gpuE4ELNS1_3repE0EEENS1_30default_config_static_selectorELNS0_4arch9wavefront6targetE0EEEvT1_.numbered_sgpr, 20
	.set _ZN7rocprim17ROCPRIM_400000_NS6detail17trampoline_kernelINS0_14default_configENS1_25partition_config_selectorILNS1_17partition_subalgoE6EiNS0_10empty_typeEbEEZZNS1_14partition_implILS5_6ELb0ES3_mN6thrust23THRUST_200600_302600_NS6detail15normal_iteratorINSA_10device_ptrIiEEEEPS6_SG_NS0_5tupleIJSF_S6_EEENSH_IJSG_SG_EEES6_PlJNSB_9not_fun_tI6is_oddIiEEEEEE10hipError_tPvRmT3_T4_T5_T6_T7_T9_mT8_P12ihipStream_tbDpT10_ENKUlT_T0_E_clISt17integral_constantIbLb0EES17_IbLb1EEEEDaS13_S14_EUlS13_E_NS1_11comp_targetILNS1_3genE10ELNS1_11target_archE1200ELNS1_3gpuE4ELNS1_3repE0EEENS1_30default_config_static_selectorELNS0_4arch9wavefront6targetE0EEEvT1_.num_named_barrier, 0
	.set _ZN7rocprim17ROCPRIM_400000_NS6detail17trampoline_kernelINS0_14default_configENS1_25partition_config_selectorILNS1_17partition_subalgoE6EiNS0_10empty_typeEbEEZZNS1_14partition_implILS5_6ELb0ES3_mN6thrust23THRUST_200600_302600_NS6detail15normal_iteratorINSA_10device_ptrIiEEEEPS6_SG_NS0_5tupleIJSF_S6_EEENSH_IJSG_SG_EEES6_PlJNSB_9not_fun_tI6is_oddIiEEEEEE10hipError_tPvRmT3_T4_T5_T6_T7_T9_mT8_P12ihipStream_tbDpT10_ENKUlT_T0_E_clISt17integral_constantIbLb0EES17_IbLb1EEEEDaS13_S14_EUlS13_E_NS1_11comp_targetILNS1_3genE10ELNS1_11target_archE1200ELNS1_3gpuE4ELNS1_3repE0EEENS1_30default_config_static_selectorELNS0_4arch9wavefront6targetE0EEEvT1_.private_seg_size, 0
	.set _ZN7rocprim17ROCPRIM_400000_NS6detail17trampoline_kernelINS0_14default_configENS1_25partition_config_selectorILNS1_17partition_subalgoE6EiNS0_10empty_typeEbEEZZNS1_14partition_implILS5_6ELb0ES3_mN6thrust23THRUST_200600_302600_NS6detail15normal_iteratorINSA_10device_ptrIiEEEEPS6_SG_NS0_5tupleIJSF_S6_EEENSH_IJSG_SG_EEES6_PlJNSB_9not_fun_tI6is_oddIiEEEEEE10hipError_tPvRmT3_T4_T5_T6_T7_T9_mT8_P12ihipStream_tbDpT10_ENKUlT_T0_E_clISt17integral_constantIbLb0EES17_IbLb1EEEEDaS13_S14_EUlS13_E_NS1_11comp_targetILNS1_3genE10ELNS1_11target_archE1200ELNS1_3gpuE4ELNS1_3repE0EEENS1_30default_config_static_selectorELNS0_4arch9wavefront6targetE0EEEvT1_.uses_vcc, 1
	.set _ZN7rocprim17ROCPRIM_400000_NS6detail17trampoline_kernelINS0_14default_configENS1_25partition_config_selectorILNS1_17partition_subalgoE6EiNS0_10empty_typeEbEEZZNS1_14partition_implILS5_6ELb0ES3_mN6thrust23THRUST_200600_302600_NS6detail15normal_iteratorINSA_10device_ptrIiEEEEPS6_SG_NS0_5tupleIJSF_S6_EEENSH_IJSG_SG_EEES6_PlJNSB_9not_fun_tI6is_oddIiEEEEEE10hipError_tPvRmT3_T4_T5_T6_T7_T9_mT8_P12ihipStream_tbDpT10_ENKUlT_T0_E_clISt17integral_constantIbLb0EES17_IbLb1EEEEDaS13_S14_EUlS13_E_NS1_11comp_targetILNS1_3genE10ELNS1_11target_archE1200ELNS1_3gpuE4ELNS1_3repE0EEENS1_30default_config_static_selectorELNS0_4arch9wavefront6targetE0EEEvT1_.uses_flat_scratch, 1
	.set _ZN7rocprim17ROCPRIM_400000_NS6detail17trampoline_kernelINS0_14default_configENS1_25partition_config_selectorILNS1_17partition_subalgoE6EiNS0_10empty_typeEbEEZZNS1_14partition_implILS5_6ELb0ES3_mN6thrust23THRUST_200600_302600_NS6detail15normal_iteratorINSA_10device_ptrIiEEEEPS6_SG_NS0_5tupleIJSF_S6_EEENSH_IJSG_SG_EEES6_PlJNSB_9not_fun_tI6is_oddIiEEEEEE10hipError_tPvRmT3_T4_T5_T6_T7_T9_mT8_P12ihipStream_tbDpT10_ENKUlT_T0_E_clISt17integral_constantIbLb0EES17_IbLb1EEEEDaS13_S14_EUlS13_E_NS1_11comp_targetILNS1_3genE10ELNS1_11target_archE1200ELNS1_3gpuE4ELNS1_3repE0EEENS1_30default_config_static_selectorELNS0_4arch9wavefront6targetE0EEEvT1_.has_dyn_sized_stack, 0
	.set _ZN7rocprim17ROCPRIM_400000_NS6detail17trampoline_kernelINS0_14default_configENS1_25partition_config_selectorILNS1_17partition_subalgoE6EiNS0_10empty_typeEbEEZZNS1_14partition_implILS5_6ELb0ES3_mN6thrust23THRUST_200600_302600_NS6detail15normal_iteratorINSA_10device_ptrIiEEEEPS6_SG_NS0_5tupleIJSF_S6_EEENSH_IJSG_SG_EEES6_PlJNSB_9not_fun_tI6is_oddIiEEEEEE10hipError_tPvRmT3_T4_T5_T6_T7_T9_mT8_P12ihipStream_tbDpT10_ENKUlT_T0_E_clISt17integral_constantIbLb0EES17_IbLb1EEEEDaS13_S14_EUlS13_E_NS1_11comp_targetILNS1_3genE10ELNS1_11target_archE1200ELNS1_3gpuE4ELNS1_3repE0EEENS1_30default_config_static_selectorELNS0_4arch9wavefront6targetE0EEEvT1_.has_recursion, 0
	.set _ZN7rocprim17ROCPRIM_400000_NS6detail17trampoline_kernelINS0_14default_configENS1_25partition_config_selectorILNS1_17partition_subalgoE6EiNS0_10empty_typeEbEEZZNS1_14partition_implILS5_6ELb0ES3_mN6thrust23THRUST_200600_302600_NS6detail15normal_iteratorINSA_10device_ptrIiEEEEPS6_SG_NS0_5tupleIJSF_S6_EEENSH_IJSG_SG_EEES6_PlJNSB_9not_fun_tI6is_oddIiEEEEEE10hipError_tPvRmT3_T4_T5_T6_T7_T9_mT8_P12ihipStream_tbDpT10_ENKUlT_T0_E_clISt17integral_constantIbLb0EES17_IbLb1EEEEDaS13_S14_EUlS13_E_NS1_11comp_targetILNS1_3genE10ELNS1_11target_archE1200ELNS1_3gpuE4ELNS1_3repE0EEENS1_30default_config_static_selectorELNS0_4arch9wavefront6targetE0EEEvT1_.has_indirect_call, 0
	.section	.AMDGPU.csdata,"",@progbits
; Kernel info:
; codeLenInByte = 7624
; TotalNumSgprs: 22
; NumVgprs: 52
; ScratchSize: 0
; MemoryBound: 0
; FloatMode: 240
; IeeeMode: 1
; LDSByteSize: 10768 bytes/workgroup (compile time only)
; SGPRBlocks: 0
; VGPRBlocks: 6
; NumSGPRsForWavesPerEU: 22
; NumVGPRsForWavesPerEU: 52
; Occupancy: 15
; WaveLimiterHint : 1
; COMPUTE_PGM_RSRC2:SCRATCH_EN: 0
; COMPUTE_PGM_RSRC2:USER_SGPR: 2
; COMPUTE_PGM_RSRC2:TRAP_HANDLER: 0
; COMPUTE_PGM_RSRC2:TGID_X_EN: 1
; COMPUTE_PGM_RSRC2:TGID_Y_EN: 0
; COMPUTE_PGM_RSRC2:TGID_Z_EN: 0
; COMPUTE_PGM_RSRC2:TIDIG_COMP_CNT: 0
	.section	.text._ZN7rocprim17ROCPRIM_400000_NS6detail17trampoline_kernelINS0_14default_configENS1_25partition_config_selectorILNS1_17partition_subalgoE6EiNS0_10empty_typeEbEEZZNS1_14partition_implILS5_6ELb0ES3_mN6thrust23THRUST_200600_302600_NS6detail15normal_iteratorINSA_10device_ptrIiEEEEPS6_SG_NS0_5tupleIJSF_S6_EEENSH_IJSG_SG_EEES6_PlJNSB_9not_fun_tI6is_oddIiEEEEEE10hipError_tPvRmT3_T4_T5_T6_T7_T9_mT8_P12ihipStream_tbDpT10_ENKUlT_T0_E_clISt17integral_constantIbLb0EES17_IbLb1EEEEDaS13_S14_EUlS13_E_NS1_11comp_targetILNS1_3genE9ELNS1_11target_archE1100ELNS1_3gpuE3ELNS1_3repE0EEENS1_30default_config_static_selectorELNS0_4arch9wavefront6targetE0EEEvT1_,"axG",@progbits,_ZN7rocprim17ROCPRIM_400000_NS6detail17trampoline_kernelINS0_14default_configENS1_25partition_config_selectorILNS1_17partition_subalgoE6EiNS0_10empty_typeEbEEZZNS1_14partition_implILS5_6ELb0ES3_mN6thrust23THRUST_200600_302600_NS6detail15normal_iteratorINSA_10device_ptrIiEEEEPS6_SG_NS0_5tupleIJSF_S6_EEENSH_IJSG_SG_EEES6_PlJNSB_9not_fun_tI6is_oddIiEEEEEE10hipError_tPvRmT3_T4_T5_T6_T7_T9_mT8_P12ihipStream_tbDpT10_ENKUlT_T0_E_clISt17integral_constantIbLb0EES17_IbLb1EEEEDaS13_S14_EUlS13_E_NS1_11comp_targetILNS1_3genE9ELNS1_11target_archE1100ELNS1_3gpuE3ELNS1_3repE0EEENS1_30default_config_static_selectorELNS0_4arch9wavefront6targetE0EEEvT1_,comdat
	.protected	_ZN7rocprim17ROCPRIM_400000_NS6detail17trampoline_kernelINS0_14default_configENS1_25partition_config_selectorILNS1_17partition_subalgoE6EiNS0_10empty_typeEbEEZZNS1_14partition_implILS5_6ELb0ES3_mN6thrust23THRUST_200600_302600_NS6detail15normal_iteratorINSA_10device_ptrIiEEEEPS6_SG_NS0_5tupleIJSF_S6_EEENSH_IJSG_SG_EEES6_PlJNSB_9not_fun_tI6is_oddIiEEEEEE10hipError_tPvRmT3_T4_T5_T6_T7_T9_mT8_P12ihipStream_tbDpT10_ENKUlT_T0_E_clISt17integral_constantIbLb0EES17_IbLb1EEEEDaS13_S14_EUlS13_E_NS1_11comp_targetILNS1_3genE9ELNS1_11target_archE1100ELNS1_3gpuE3ELNS1_3repE0EEENS1_30default_config_static_selectorELNS0_4arch9wavefront6targetE0EEEvT1_ ; -- Begin function _ZN7rocprim17ROCPRIM_400000_NS6detail17trampoline_kernelINS0_14default_configENS1_25partition_config_selectorILNS1_17partition_subalgoE6EiNS0_10empty_typeEbEEZZNS1_14partition_implILS5_6ELb0ES3_mN6thrust23THRUST_200600_302600_NS6detail15normal_iteratorINSA_10device_ptrIiEEEEPS6_SG_NS0_5tupleIJSF_S6_EEENSH_IJSG_SG_EEES6_PlJNSB_9not_fun_tI6is_oddIiEEEEEE10hipError_tPvRmT3_T4_T5_T6_T7_T9_mT8_P12ihipStream_tbDpT10_ENKUlT_T0_E_clISt17integral_constantIbLb0EES17_IbLb1EEEEDaS13_S14_EUlS13_E_NS1_11comp_targetILNS1_3genE9ELNS1_11target_archE1100ELNS1_3gpuE3ELNS1_3repE0EEENS1_30default_config_static_selectorELNS0_4arch9wavefront6targetE0EEEvT1_
	.globl	_ZN7rocprim17ROCPRIM_400000_NS6detail17trampoline_kernelINS0_14default_configENS1_25partition_config_selectorILNS1_17partition_subalgoE6EiNS0_10empty_typeEbEEZZNS1_14partition_implILS5_6ELb0ES3_mN6thrust23THRUST_200600_302600_NS6detail15normal_iteratorINSA_10device_ptrIiEEEEPS6_SG_NS0_5tupleIJSF_S6_EEENSH_IJSG_SG_EEES6_PlJNSB_9not_fun_tI6is_oddIiEEEEEE10hipError_tPvRmT3_T4_T5_T6_T7_T9_mT8_P12ihipStream_tbDpT10_ENKUlT_T0_E_clISt17integral_constantIbLb0EES17_IbLb1EEEEDaS13_S14_EUlS13_E_NS1_11comp_targetILNS1_3genE9ELNS1_11target_archE1100ELNS1_3gpuE3ELNS1_3repE0EEENS1_30default_config_static_selectorELNS0_4arch9wavefront6targetE0EEEvT1_
	.p2align	8
	.type	_ZN7rocprim17ROCPRIM_400000_NS6detail17trampoline_kernelINS0_14default_configENS1_25partition_config_selectorILNS1_17partition_subalgoE6EiNS0_10empty_typeEbEEZZNS1_14partition_implILS5_6ELb0ES3_mN6thrust23THRUST_200600_302600_NS6detail15normal_iteratorINSA_10device_ptrIiEEEEPS6_SG_NS0_5tupleIJSF_S6_EEENSH_IJSG_SG_EEES6_PlJNSB_9not_fun_tI6is_oddIiEEEEEE10hipError_tPvRmT3_T4_T5_T6_T7_T9_mT8_P12ihipStream_tbDpT10_ENKUlT_T0_E_clISt17integral_constantIbLb0EES17_IbLb1EEEEDaS13_S14_EUlS13_E_NS1_11comp_targetILNS1_3genE9ELNS1_11target_archE1100ELNS1_3gpuE3ELNS1_3repE0EEENS1_30default_config_static_selectorELNS0_4arch9wavefront6targetE0EEEvT1_,@function
_ZN7rocprim17ROCPRIM_400000_NS6detail17trampoline_kernelINS0_14default_configENS1_25partition_config_selectorILNS1_17partition_subalgoE6EiNS0_10empty_typeEbEEZZNS1_14partition_implILS5_6ELb0ES3_mN6thrust23THRUST_200600_302600_NS6detail15normal_iteratorINSA_10device_ptrIiEEEEPS6_SG_NS0_5tupleIJSF_S6_EEENSH_IJSG_SG_EEES6_PlJNSB_9not_fun_tI6is_oddIiEEEEEE10hipError_tPvRmT3_T4_T5_T6_T7_T9_mT8_P12ihipStream_tbDpT10_ENKUlT_T0_E_clISt17integral_constantIbLb0EES17_IbLb1EEEEDaS13_S14_EUlS13_E_NS1_11comp_targetILNS1_3genE9ELNS1_11target_archE1100ELNS1_3gpuE3ELNS1_3repE0EEENS1_30default_config_static_selectorELNS0_4arch9wavefront6targetE0EEEvT1_: ; @_ZN7rocprim17ROCPRIM_400000_NS6detail17trampoline_kernelINS0_14default_configENS1_25partition_config_selectorILNS1_17partition_subalgoE6EiNS0_10empty_typeEbEEZZNS1_14partition_implILS5_6ELb0ES3_mN6thrust23THRUST_200600_302600_NS6detail15normal_iteratorINSA_10device_ptrIiEEEEPS6_SG_NS0_5tupleIJSF_S6_EEENSH_IJSG_SG_EEES6_PlJNSB_9not_fun_tI6is_oddIiEEEEEE10hipError_tPvRmT3_T4_T5_T6_T7_T9_mT8_P12ihipStream_tbDpT10_ENKUlT_T0_E_clISt17integral_constantIbLb0EES17_IbLb1EEEEDaS13_S14_EUlS13_E_NS1_11comp_targetILNS1_3genE9ELNS1_11target_archE1100ELNS1_3gpuE3ELNS1_3repE0EEENS1_30default_config_static_selectorELNS0_4arch9wavefront6targetE0EEEvT1_
; %bb.0:
	.section	.rodata,"a",@progbits
	.p2align	6, 0x0
	.amdhsa_kernel _ZN7rocprim17ROCPRIM_400000_NS6detail17trampoline_kernelINS0_14default_configENS1_25partition_config_selectorILNS1_17partition_subalgoE6EiNS0_10empty_typeEbEEZZNS1_14partition_implILS5_6ELb0ES3_mN6thrust23THRUST_200600_302600_NS6detail15normal_iteratorINSA_10device_ptrIiEEEEPS6_SG_NS0_5tupleIJSF_S6_EEENSH_IJSG_SG_EEES6_PlJNSB_9not_fun_tI6is_oddIiEEEEEE10hipError_tPvRmT3_T4_T5_T6_T7_T9_mT8_P12ihipStream_tbDpT10_ENKUlT_T0_E_clISt17integral_constantIbLb0EES17_IbLb1EEEEDaS13_S14_EUlS13_E_NS1_11comp_targetILNS1_3genE9ELNS1_11target_archE1100ELNS1_3gpuE3ELNS1_3repE0EEENS1_30default_config_static_selectorELNS0_4arch9wavefront6targetE0EEEvT1_
		.amdhsa_group_segment_fixed_size 0
		.amdhsa_private_segment_fixed_size 0
		.amdhsa_kernarg_size 128
		.amdhsa_user_sgpr_count 2
		.amdhsa_user_sgpr_dispatch_ptr 0
		.amdhsa_user_sgpr_queue_ptr 0
		.amdhsa_user_sgpr_kernarg_segment_ptr 1
		.amdhsa_user_sgpr_dispatch_id 0
		.amdhsa_user_sgpr_private_segment_size 0
		.amdhsa_wavefront_size32 1
		.amdhsa_uses_dynamic_stack 0
		.amdhsa_enable_private_segment 0
		.amdhsa_system_sgpr_workgroup_id_x 1
		.amdhsa_system_sgpr_workgroup_id_y 0
		.amdhsa_system_sgpr_workgroup_id_z 0
		.amdhsa_system_sgpr_workgroup_info 0
		.amdhsa_system_vgpr_workitem_id 0
		.amdhsa_next_free_vgpr 1
		.amdhsa_next_free_sgpr 1
		.amdhsa_reserve_vcc 0
		.amdhsa_float_round_mode_32 0
		.amdhsa_float_round_mode_16_64 0
		.amdhsa_float_denorm_mode_32 3
		.amdhsa_float_denorm_mode_16_64 3
		.amdhsa_fp16_overflow 0
		.amdhsa_workgroup_processor_mode 1
		.amdhsa_memory_ordered 1
		.amdhsa_forward_progress 1
		.amdhsa_inst_pref_size 0
		.amdhsa_round_robin_scheduling 0
		.amdhsa_exception_fp_ieee_invalid_op 0
		.amdhsa_exception_fp_denorm_src 0
		.amdhsa_exception_fp_ieee_div_zero 0
		.amdhsa_exception_fp_ieee_overflow 0
		.amdhsa_exception_fp_ieee_underflow 0
		.amdhsa_exception_fp_ieee_inexact 0
		.amdhsa_exception_int_div_zero 0
	.end_amdhsa_kernel
	.section	.text._ZN7rocprim17ROCPRIM_400000_NS6detail17trampoline_kernelINS0_14default_configENS1_25partition_config_selectorILNS1_17partition_subalgoE6EiNS0_10empty_typeEbEEZZNS1_14partition_implILS5_6ELb0ES3_mN6thrust23THRUST_200600_302600_NS6detail15normal_iteratorINSA_10device_ptrIiEEEEPS6_SG_NS0_5tupleIJSF_S6_EEENSH_IJSG_SG_EEES6_PlJNSB_9not_fun_tI6is_oddIiEEEEEE10hipError_tPvRmT3_T4_T5_T6_T7_T9_mT8_P12ihipStream_tbDpT10_ENKUlT_T0_E_clISt17integral_constantIbLb0EES17_IbLb1EEEEDaS13_S14_EUlS13_E_NS1_11comp_targetILNS1_3genE9ELNS1_11target_archE1100ELNS1_3gpuE3ELNS1_3repE0EEENS1_30default_config_static_selectorELNS0_4arch9wavefront6targetE0EEEvT1_,"axG",@progbits,_ZN7rocprim17ROCPRIM_400000_NS6detail17trampoline_kernelINS0_14default_configENS1_25partition_config_selectorILNS1_17partition_subalgoE6EiNS0_10empty_typeEbEEZZNS1_14partition_implILS5_6ELb0ES3_mN6thrust23THRUST_200600_302600_NS6detail15normal_iteratorINSA_10device_ptrIiEEEEPS6_SG_NS0_5tupleIJSF_S6_EEENSH_IJSG_SG_EEES6_PlJNSB_9not_fun_tI6is_oddIiEEEEEE10hipError_tPvRmT3_T4_T5_T6_T7_T9_mT8_P12ihipStream_tbDpT10_ENKUlT_T0_E_clISt17integral_constantIbLb0EES17_IbLb1EEEEDaS13_S14_EUlS13_E_NS1_11comp_targetILNS1_3genE9ELNS1_11target_archE1100ELNS1_3gpuE3ELNS1_3repE0EEENS1_30default_config_static_selectorELNS0_4arch9wavefront6targetE0EEEvT1_,comdat
.Lfunc_end113:
	.size	_ZN7rocprim17ROCPRIM_400000_NS6detail17trampoline_kernelINS0_14default_configENS1_25partition_config_selectorILNS1_17partition_subalgoE6EiNS0_10empty_typeEbEEZZNS1_14partition_implILS5_6ELb0ES3_mN6thrust23THRUST_200600_302600_NS6detail15normal_iteratorINSA_10device_ptrIiEEEEPS6_SG_NS0_5tupleIJSF_S6_EEENSH_IJSG_SG_EEES6_PlJNSB_9not_fun_tI6is_oddIiEEEEEE10hipError_tPvRmT3_T4_T5_T6_T7_T9_mT8_P12ihipStream_tbDpT10_ENKUlT_T0_E_clISt17integral_constantIbLb0EES17_IbLb1EEEEDaS13_S14_EUlS13_E_NS1_11comp_targetILNS1_3genE9ELNS1_11target_archE1100ELNS1_3gpuE3ELNS1_3repE0EEENS1_30default_config_static_selectorELNS0_4arch9wavefront6targetE0EEEvT1_, .Lfunc_end113-_ZN7rocprim17ROCPRIM_400000_NS6detail17trampoline_kernelINS0_14default_configENS1_25partition_config_selectorILNS1_17partition_subalgoE6EiNS0_10empty_typeEbEEZZNS1_14partition_implILS5_6ELb0ES3_mN6thrust23THRUST_200600_302600_NS6detail15normal_iteratorINSA_10device_ptrIiEEEEPS6_SG_NS0_5tupleIJSF_S6_EEENSH_IJSG_SG_EEES6_PlJNSB_9not_fun_tI6is_oddIiEEEEEE10hipError_tPvRmT3_T4_T5_T6_T7_T9_mT8_P12ihipStream_tbDpT10_ENKUlT_T0_E_clISt17integral_constantIbLb0EES17_IbLb1EEEEDaS13_S14_EUlS13_E_NS1_11comp_targetILNS1_3genE9ELNS1_11target_archE1100ELNS1_3gpuE3ELNS1_3repE0EEENS1_30default_config_static_selectorELNS0_4arch9wavefront6targetE0EEEvT1_
                                        ; -- End function
	.set _ZN7rocprim17ROCPRIM_400000_NS6detail17trampoline_kernelINS0_14default_configENS1_25partition_config_selectorILNS1_17partition_subalgoE6EiNS0_10empty_typeEbEEZZNS1_14partition_implILS5_6ELb0ES3_mN6thrust23THRUST_200600_302600_NS6detail15normal_iteratorINSA_10device_ptrIiEEEEPS6_SG_NS0_5tupleIJSF_S6_EEENSH_IJSG_SG_EEES6_PlJNSB_9not_fun_tI6is_oddIiEEEEEE10hipError_tPvRmT3_T4_T5_T6_T7_T9_mT8_P12ihipStream_tbDpT10_ENKUlT_T0_E_clISt17integral_constantIbLb0EES17_IbLb1EEEEDaS13_S14_EUlS13_E_NS1_11comp_targetILNS1_3genE9ELNS1_11target_archE1100ELNS1_3gpuE3ELNS1_3repE0EEENS1_30default_config_static_selectorELNS0_4arch9wavefront6targetE0EEEvT1_.num_vgpr, 0
	.set _ZN7rocprim17ROCPRIM_400000_NS6detail17trampoline_kernelINS0_14default_configENS1_25partition_config_selectorILNS1_17partition_subalgoE6EiNS0_10empty_typeEbEEZZNS1_14partition_implILS5_6ELb0ES3_mN6thrust23THRUST_200600_302600_NS6detail15normal_iteratorINSA_10device_ptrIiEEEEPS6_SG_NS0_5tupleIJSF_S6_EEENSH_IJSG_SG_EEES6_PlJNSB_9not_fun_tI6is_oddIiEEEEEE10hipError_tPvRmT3_T4_T5_T6_T7_T9_mT8_P12ihipStream_tbDpT10_ENKUlT_T0_E_clISt17integral_constantIbLb0EES17_IbLb1EEEEDaS13_S14_EUlS13_E_NS1_11comp_targetILNS1_3genE9ELNS1_11target_archE1100ELNS1_3gpuE3ELNS1_3repE0EEENS1_30default_config_static_selectorELNS0_4arch9wavefront6targetE0EEEvT1_.num_agpr, 0
	.set _ZN7rocprim17ROCPRIM_400000_NS6detail17trampoline_kernelINS0_14default_configENS1_25partition_config_selectorILNS1_17partition_subalgoE6EiNS0_10empty_typeEbEEZZNS1_14partition_implILS5_6ELb0ES3_mN6thrust23THRUST_200600_302600_NS6detail15normal_iteratorINSA_10device_ptrIiEEEEPS6_SG_NS0_5tupleIJSF_S6_EEENSH_IJSG_SG_EEES6_PlJNSB_9not_fun_tI6is_oddIiEEEEEE10hipError_tPvRmT3_T4_T5_T6_T7_T9_mT8_P12ihipStream_tbDpT10_ENKUlT_T0_E_clISt17integral_constantIbLb0EES17_IbLb1EEEEDaS13_S14_EUlS13_E_NS1_11comp_targetILNS1_3genE9ELNS1_11target_archE1100ELNS1_3gpuE3ELNS1_3repE0EEENS1_30default_config_static_selectorELNS0_4arch9wavefront6targetE0EEEvT1_.numbered_sgpr, 0
	.set _ZN7rocprim17ROCPRIM_400000_NS6detail17trampoline_kernelINS0_14default_configENS1_25partition_config_selectorILNS1_17partition_subalgoE6EiNS0_10empty_typeEbEEZZNS1_14partition_implILS5_6ELb0ES3_mN6thrust23THRUST_200600_302600_NS6detail15normal_iteratorINSA_10device_ptrIiEEEEPS6_SG_NS0_5tupleIJSF_S6_EEENSH_IJSG_SG_EEES6_PlJNSB_9not_fun_tI6is_oddIiEEEEEE10hipError_tPvRmT3_T4_T5_T6_T7_T9_mT8_P12ihipStream_tbDpT10_ENKUlT_T0_E_clISt17integral_constantIbLb0EES17_IbLb1EEEEDaS13_S14_EUlS13_E_NS1_11comp_targetILNS1_3genE9ELNS1_11target_archE1100ELNS1_3gpuE3ELNS1_3repE0EEENS1_30default_config_static_selectorELNS0_4arch9wavefront6targetE0EEEvT1_.num_named_barrier, 0
	.set _ZN7rocprim17ROCPRIM_400000_NS6detail17trampoline_kernelINS0_14default_configENS1_25partition_config_selectorILNS1_17partition_subalgoE6EiNS0_10empty_typeEbEEZZNS1_14partition_implILS5_6ELb0ES3_mN6thrust23THRUST_200600_302600_NS6detail15normal_iteratorINSA_10device_ptrIiEEEEPS6_SG_NS0_5tupleIJSF_S6_EEENSH_IJSG_SG_EEES6_PlJNSB_9not_fun_tI6is_oddIiEEEEEE10hipError_tPvRmT3_T4_T5_T6_T7_T9_mT8_P12ihipStream_tbDpT10_ENKUlT_T0_E_clISt17integral_constantIbLb0EES17_IbLb1EEEEDaS13_S14_EUlS13_E_NS1_11comp_targetILNS1_3genE9ELNS1_11target_archE1100ELNS1_3gpuE3ELNS1_3repE0EEENS1_30default_config_static_selectorELNS0_4arch9wavefront6targetE0EEEvT1_.private_seg_size, 0
	.set _ZN7rocprim17ROCPRIM_400000_NS6detail17trampoline_kernelINS0_14default_configENS1_25partition_config_selectorILNS1_17partition_subalgoE6EiNS0_10empty_typeEbEEZZNS1_14partition_implILS5_6ELb0ES3_mN6thrust23THRUST_200600_302600_NS6detail15normal_iteratorINSA_10device_ptrIiEEEEPS6_SG_NS0_5tupleIJSF_S6_EEENSH_IJSG_SG_EEES6_PlJNSB_9not_fun_tI6is_oddIiEEEEEE10hipError_tPvRmT3_T4_T5_T6_T7_T9_mT8_P12ihipStream_tbDpT10_ENKUlT_T0_E_clISt17integral_constantIbLb0EES17_IbLb1EEEEDaS13_S14_EUlS13_E_NS1_11comp_targetILNS1_3genE9ELNS1_11target_archE1100ELNS1_3gpuE3ELNS1_3repE0EEENS1_30default_config_static_selectorELNS0_4arch9wavefront6targetE0EEEvT1_.uses_vcc, 0
	.set _ZN7rocprim17ROCPRIM_400000_NS6detail17trampoline_kernelINS0_14default_configENS1_25partition_config_selectorILNS1_17partition_subalgoE6EiNS0_10empty_typeEbEEZZNS1_14partition_implILS5_6ELb0ES3_mN6thrust23THRUST_200600_302600_NS6detail15normal_iteratorINSA_10device_ptrIiEEEEPS6_SG_NS0_5tupleIJSF_S6_EEENSH_IJSG_SG_EEES6_PlJNSB_9not_fun_tI6is_oddIiEEEEEE10hipError_tPvRmT3_T4_T5_T6_T7_T9_mT8_P12ihipStream_tbDpT10_ENKUlT_T0_E_clISt17integral_constantIbLb0EES17_IbLb1EEEEDaS13_S14_EUlS13_E_NS1_11comp_targetILNS1_3genE9ELNS1_11target_archE1100ELNS1_3gpuE3ELNS1_3repE0EEENS1_30default_config_static_selectorELNS0_4arch9wavefront6targetE0EEEvT1_.uses_flat_scratch, 0
	.set _ZN7rocprim17ROCPRIM_400000_NS6detail17trampoline_kernelINS0_14default_configENS1_25partition_config_selectorILNS1_17partition_subalgoE6EiNS0_10empty_typeEbEEZZNS1_14partition_implILS5_6ELb0ES3_mN6thrust23THRUST_200600_302600_NS6detail15normal_iteratorINSA_10device_ptrIiEEEEPS6_SG_NS0_5tupleIJSF_S6_EEENSH_IJSG_SG_EEES6_PlJNSB_9not_fun_tI6is_oddIiEEEEEE10hipError_tPvRmT3_T4_T5_T6_T7_T9_mT8_P12ihipStream_tbDpT10_ENKUlT_T0_E_clISt17integral_constantIbLb0EES17_IbLb1EEEEDaS13_S14_EUlS13_E_NS1_11comp_targetILNS1_3genE9ELNS1_11target_archE1100ELNS1_3gpuE3ELNS1_3repE0EEENS1_30default_config_static_selectorELNS0_4arch9wavefront6targetE0EEEvT1_.has_dyn_sized_stack, 0
	.set _ZN7rocprim17ROCPRIM_400000_NS6detail17trampoline_kernelINS0_14default_configENS1_25partition_config_selectorILNS1_17partition_subalgoE6EiNS0_10empty_typeEbEEZZNS1_14partition_implILS5_6ELb0ES3_mN6thrust23THRUST_200600_302600_NS6detail15normal_iteratorINSA_10device_ptrIiEEEEPS6_SG_NS0_5tupleIJSF_S6_EEENSH_IJSG_SG_EEES6_PlJNSB_9not_fun_tI6is_oddIiEEEEEE10hipError_tPvRmT3_T4_T5_T6_T7_T9_mT8_P12ihipStream_tbDpT10_ENKUlT_T0_E_clISt17integral_constantIbLb0EES17_IbLb1EEEEDaS13_S14_EUlS13_E_NS1_11comp_targetILNS1_3genE9ELNS1_11target_archE1100ELNS1_3gpuE3ELNS1_3repE0EEENS1_30default_config_static_selectorELNS0_4arch9wavefront6targetE0EEEvT1_.has_recursion, 0
	.set _ZN7rocprim17ROCPRIM_400000_NS6detail17trampoline_kernelINS0_14default_configENS1_25partition_config_selectorILNS1_17partition_subalgoE6EiNS0_10empty_typeEbEEZZNS1_14partition_implILS5_6ELb0ES3_mN6thrust23THRUST_200600_302600_NS6detail15normal_iteratorINSA_10device_ptrIiEEEEPS6_SG_NS0_5tupleIJSF_S6_EEENSH_IJSG_SG_EEES6_PlJNSB_9not_fun_tI6is_oddIiEEEEEE10hipError_tPvRmT3_T4_T5_T6_T7_T9_mT8_P12ihipStream_tbDpT10_ENKUlT_T0_E_clISt17integral_constantIbLb0EES17_IbLb1EEEEDaS13_S14_EUlS13_E_NS1_11comp_targetILNS1_3genE9ELNS1_11target_archE1100ELNS1_3gpuE3ELNS1_3repE0EEENS1_30default_config_static_selectorELNS0_4arch9wavefront6targetE0EEEvT1_.has_indirect_call, 0
	.section	.AMDGPU.csdata,"",@progbits
; Kernel info:
; codeLenInByte = 0
; TotalNumSgprs: 0
; NumVgprs: 0
; ScratchSize: 0
; MemoryBound: 0
; FloatMode: 240
; IeeeMode: 1
; LDSByteSize: 0 bytes/workgroup (compile time only)
; SGPRBlocks: 0
; VGPRBlocks: 0
; NumSGPRsForWavesPerEU: 1
; NumVGPRsForWavesPerEU: 1
; Occupancy: 16
; WaveLimiterHint : 0
; COMPUTE_PGM_RSRC2:SCRATCH_EN: 0
; COMPUTE_PGM_RSRC2:USER_SGPR: 2
; COMPUTE_PGM_RSRC2:TRAP_HANDLER: 0
; COMPUTE_PGM_RSRC2:TGID_X_EN: 1
; COMPUTE_PGM_RSRC2:TGID_Y_EN: 0
; COMPUTE_PGM_RSRC2:TGID_Z_EN: 0
; COMPUTE_PGM_RSRC2:TIDIG_COMP_CNT: 0
	.section	.text._ZN7rocprim17ROCPRIM_400000_NS6detail17trampoline_kernelINS0_14default_configENS1_25partition_config_selectorILNS1_17partition_subalgoE6EiNS0_10empty_typeEbEEZZNS1_14partition_implILS5_6ELb0ES3_mN6thrust23THRUST_200600_302600_NS6detail15normal_iteratorINSA_10device_ptrIiEEEEPS6_SG_NS0_5tupleIJSF_S6_EEENSH_IJSG_SG_EEES6_PlJNSB_9not_fun_tI6is_oddIiEEEEEE10hipError_tPvRmT3_T4_T5_T6_T7_T9_mT8_P12ihipStream_tbDpT10_ENKUlT_T0_E_clISt17integral_constantIbLb0EES17_IbLb1EEEEDaS13_S14_EUlS13_E_NS1_11comp_targetILNS1_3genE8ELNS1_11target_archE1030ELNS1_3gpuE2ELNS1_3repE0EEENS1_30default_config_static_selectorELNS0_4arch9wavefront6targetE0EEEvT1_,"axG",@progbits,_ZN7rocprim17ROCPRIM_400000_NS6detail17trampoline_kernelINS0_14default_configENS1_25partition_config_selectorILNS1_17partition_subalgoE6EiNS0_10empty_typeEbEEZZNS1_14partition_implILS5_6ELb0ES3_mN6thrust23THRUST_200600_302600_NS6detail15normal_iteratorINSA_10device_ptrIiEEEEPS6_SG_NS0_5tupleIJSF_S6_EEENSH_IJSG_SG_EEES6_PlJNSB_9not_fun_tI6is_oddIiEEEEEE10hipError_tPvRmT3_T4_T5_T6_T7_T9_mT8_P12ihipStream_tbDpT10_ENKUlT_T0_E_clISt17integral_constantIbLb0EES17_IbLb1EEEEDaS13_S14_EUlS13_E_NS1_11comp_targetILNS1_3genE8ELNS1_11target_archE1030ELNS1_3gpuE2ELNS1_3repE0EEENS1_30default_config_static_selectorELNS0_4arch9wavefront6targetE0EEEvT1_,comdat
	.protected	_ZN7rocprim17ROCPRIM_400000_NS6detail17trampoline_kernelINS0_14default_configENS1_25partition_config_selectorILNS1_17partition_subalgoE6EiNS0_10empty_typeEbEEZZNS1_14partition_implILS5_6ELb0ES3_mN6thrust23THRUST_200600_302600_NS6detail15normal_iteratorINSA_10device_ptrIiEEEEPS6_SG_NS0_5tupleIJSF_S6_EEENSH_IJSG_SG_EEES6_PlJNSB_9not_fun_tI6is_oddIiEEEEEE10hipError_tPvRmT3_T4_T5_T6_T7_T9_mT8_P12ihipStream_tbDpT10_ENKUlT_T0_E_clISt17integral_constantIbLb0EES17_IbLb1EEEEDaS13_S14_EUlS13_E_NS1_11comp_targetILNS1_3genE8ELNS1_11target_archE1030ELNS1_3gpuE2ELNS1_3repE0EEENS1_30default_config_static_selectorELNS0_4arch9wavefront6targetE0EEEvT1_ ; -- Begin function _ZN7rocprim17ROCPRIM_400000_NS6detail17trampoline_kernelINS0_14default_configENS1_25partition_config_selectorILNS1_17partition_subalgoE6EiNS0_10empty_typeEbEEZZNS1_14partition_implILS5_6ELb0ES3_mN6thrust23THRUST_200600_302600_NS6detail15normal_iteratorINSA_10device_ptrIiEEEEPS6_SG_NS0_5tupleIJSF_S6_EEENSH_IJSG_SG_EEES6_PlJNSB_9not_fun_tI6is_oddIiEEEEEE10hipError_tPvRmT3_T4_T5_T6_T7_T9_mT8_P12ihipStream_tbDpT10_ENKUlT_T0_E_clISt17integral_constantIbLb0EES17_IbLb1EEEEDaS13_S14_EUlS13_E_NS1_11comp_targetILNS1_3genE8ELNS1_11target_archE1030ELNS1_3gpuE2ELNS1_3repE0EEENS1_30default_config_static_selectorELNS0_4arch9wavefront6targetE0EEEvT1_
	.globl	_ZN7rocprim17ROCPRIM_400000_NS6detail17trampoline_kernelINS0_14default_configENS1_25partition_config_selectorILNS1_17partition_subalgoE6EiNS0_10empty_typeEbEEZZNS1_14partition_implILS5_6ELb0ES3_mN6thrust23THRUST_200600_302600_NS6detail15normal_iteratorINSA_10device_ptrIiEEEEPS6_SG_NS0_5tupleIJSF_S6_EEENSH_IJSG_SG_EEES6_PlJNSB_9not_fun_tI6is_oddIiEEEEEE10hipError_tPvRmT3_T4_T5_T6_T7_T9_mT8_P12ihipStream_tbDpT10_ENKUlT_T0_E_clISt17integral_constantIbLb0EES17_IbLb1EEEEDaS13_S14_EUlS13_E_NS1_11comp_targetILNS1_3genE8ELNS1_11target_archE1030ELNS1_3gpuE2ELNS1_3repE0EEENS1_30default_config_static_selectorELNS0_4arch9wavefront6targetE0EEEvT1_
	.p2align	8
	.type	_ZN7rocprim17ROCPRIM_400000_NS6detail17trampoline_kernelINS0_14default_configENS1_25partition_config_selectorILNS1_17partition_subalgoE6EiNS0_10empty_typeEbEEZZNS1_14partition_implILS5_6ELb0ES3_mN6thrust23THRUST_200600_302600_NS6detail15normal_iteratorINSA_10device_ptrIiEEEEPS6_SG_NS0_5tupleIJSF_S6_EEENSH_IJSG_SG_EEES6_PlJNSB_9not_fun_tI6is_oddIiEEEEEE10hipError_tPvRmT3_T4_T5_T6_T7_T9_mT8_P12ihipStream_tbDpT10_ENKUlT_T0_E_clISt17integral_constantIbLb0EES17_IbLb1EEEEDaS13_S14_EUlS13_E_NS1_11comp_targetILNS1_3genE8ELNS1_11target_archE1030ELNS1_3gpuE2ELNS1_3repE0EEENS1_30default_config_static_selectorELNS0_4arch9wavefront6targetE0EEEvT1_,@function
_ZN7rocprim17ROCPRIM_400000_NS6detail17trampoline_kernelINS0_14default_configENS1_25partition_config_selectorILNS1_17partition_subalgoE6EiNS0_10empty_typeEbEEZZNS1_14partition_implILS5_6ELb0ES3_mN6thrust23THRUST_200600_302600_NS6detail15normal_iteratorINSA_10device_ptrIiEEEEPS6_SG_NS0_5tupleIJSF_S6_EEENSH_IJSG_SG_EEES6_PlJNSB_9not_fun_tI6is_oddIiEEEEEE10hipError_tPvRmT3_T4_T5_T6_T7_T9_mT8_P12ihipStream_tbDpT10_ENKUlT_T0_E_clISt17integral_constantIbLb0EES17_IbLb1EEEEDaS13_S14_EUlS13_E_NS1_11comp_targetILNS1_3genE8ELNS1_11target_archE1030ELNS1_3gpuE2ELNS1_3repE0EEENS1_30default_config_static_selectorELNS0_4arch9wavefront6targetE0EEEvT1_: ; @_ZN7rocprim17ROCPRIM_400000_NS6detail17trampoline_kernelINS0_14default_configENS1_25partition_config_selectorILNS1_17partition_subalgoE6EiNS0_10empty_typeEbEEZZNS1_14partition_implILS5_6ELb0ES3_mN6thrust23THRUST_200600_302600_NS6detail15normal_iteratorINSA_10device_ptrIiEEEEPS6_SG_NS0_5tupleIJSF_S6_EEENSH_IJSG_SG_EEES6_PlJNSB_9not_fun_tI6is_oddIiEEEEEE10hipError_tPvRmT3_T4_T5_T6_T7_T9_mT8_P12ihipStream_tbDpT10_ENKUlT_T0_E_clISt17integral_constantIbLb0EES17_IbLb1EEEEDaS13_S14_EUlS13_E_NS1_11comp_targetILNS1_3genE8ELNS1_11target_archE1030ELNS1_3gpuE2ELNS1_3repE0EEENS1_30default_config_static_selectorELNS0_4arch9wavefront6targetE0EEEvT1_
; %bb.0:
	.section	.rodata,"a",@progbits
	.p2align	6, 0x0
	.amdhsa_kernel _ZN7rocprim17ROCPRIM_400000_NS6detail17trampoline_kernelINS0_14default_configENS1_25partition_config_selectorILNS1_17partition_subalgoE6EiNS0_10empty_typeEbEEZZNS1_14partition_implILS5_6ELb0ES3_mN6thrust23THRUST_200600_302600_NS6detail15normal_iteratorINSA_10device_ptrIiEEEEPS6_SG_NS0_5tupleIJSF_S6_EEENSH_IJSG_SG_EEES6_PlJNSB_9not_fun_tI6is_oddIiEEEEEE10hipError_tPvRmT3_T4_T5_T6_T7_T9_mT8_P12ihipStream_tbDpT10_ENKUlT_T0_E_clISt17integral_constantIbLb0EES17_IbLb1EEEEDaS13_S14_EUlS13_E_NS1_11comp_targetILNS1_3genE8ELNS1_11target_archE1030ELNS1_3gpuE2ELNS1_3repE0EEENS1_30default_config_static_selectorELNS0_4arch9wavefront6targetE0EEEvT1_
		.amdhsa_group_segment_fixed_size 0
		.amdhsa_private_segment_fixed_size 0
		.amdhsa_kernarg_size 128
		.amdhsa_user_sgpr_count 2
		.amdhsa_user_sgpr_dispatch_ptr 0
		.amdhsa_user_sgpr_queue_ptr 0
		.amdhsa_user_sgpr_kernarg_segment_ptr 1
		.amdhsa_user_sgpr_dispatch_id 0
		.amdhsa_user_sgpr_private_segment_size 0
		.amdhsa_wavefront_size32 1
		.amdhsa_uses_dynamic_stack 0
		.amdhsa_enable_private_segment 0
		.amdhsa_system_sgpr_workgroup_id_x 1
		.amdhsa_system_sgpr_workgroup_id_y 0
		.amdhsa_system_sgpr_workgroup_id_z 0
		.amdhsa_system_sgpr_workgroup_info 0
		.amdhsa_system_vgpr_workitem_id 0
		.amdhsa_next_free_vgpr 1
		.amdhsa_next_free_sgpr 1
		.amdhsa_reserve_vcc 0
		.amdhsa_float_round_mode_32 0
		.amdhsa_float_round_mode_16_64 0
		.amdhsa_float_denorm_mode_32 3
		.amdhsa_float_denorm_mode_16_64 3
		.amdhsa_fp16_overflow 0
		.amdhsa_workgroup_processor_mode 1
		.amdhsa_memory_ordered 1
		.amdhsa_forward_progress 1
		.amdhsa_inst_pref_size 0
		.amdhsa_round_robin_scheduling 0
		.amdhsa_exception_fp_ieee_invalid_op 0
		.amdhsa_exception_fp_denorm_src 0
		.amdhsa_exception_fp_ieee_div_zero 0
		.amdhsa_exception_fp_ieee_overflow 0
		.amdhsa_exception_fp_ieee_underflow 0
		.amdhsa_exception_fp_ieee_inexact 0
		.amdhsa_exception_int_div_zero 0
	.end_amdhsa_kernel
	.section	.text._ZN7rocprim17ROCPRIM_400000_NS6detail17trampoline_kernelINS0_14default_configENS1_25partition_config_selectorILNS1_17partition_subalgoE6EiNS0_10empty_typeEbEEZZNS1_14partition_implILS5_6ELb0ES3_mN6thrust23THRUST_200600_302600_NS6detail15normal_iteratorINSA_10device_ptrIiEEEEPS6_SG_NS0_5tupleIJSF_S6_EEENSH_IJSG_SG_EEES6_PlJNSB_9not_fun_tI6is_oddIiEEEEEE10hipError_tPvRmT3_T4_T5_T6_T7_T9_mT8_P12ihipStream_tbDpT10_ENKUlT_T0_E_clISt17integral_constantIbLb0EES17_IbLb1EEEEDaS13_S14_EUlS13_E_NS1_11comp_targetILNS1_3genE8ELNS1_11target_archE1030ELNS1_3gpuE2ELNS1_3repE0EEENS1_30default_config_static_selectorELNS0_4arch9wavefront6targetE0EEEvT1_,"axG",@progbits,_ZN7rocprim17ROCPRIM_400000_NS6detail17trampoline_kernelINS0_14default_configENS1_25partition_config_selectorILNS1_17partition_subalgoE6EiNS0_10empty_typeEbEEZZNS1_14partition_implILS5_6ELb0ES3_mN6thrust23THRUST_200600_302600_NS6detail15normal_iteratorINSA_10device_ptrIiEEEEPS6_SG_NS0_5tupleIJSF_S6_EEENSH_IJSG_SG_EEES6_PlJNSB_9not_fun_tI6is_oddIiEEEEEE10hipError_tPvRmT3_T4_T5_T6_T7_T9_mT8_P12ihipStream_tbDpT10_ENKUlT_T0_E_clISt17integral_constantIbLb0EES17_IbLb1EEEEDaS13_S14_EUlS13_E_NS1_11comp_targetILNS1_3genE8ELNS1_11target_archE1030ELNS1_3gpuE2ELNS1_3repE0EEENS1_30default_config_static_selectorELNS0_4arch9wavefront6targetE0EEEvT1_,comdat
.Lfunc_end114:
	.size	_ZN7rocprim17ROCPRIM_400000_NS6detail17trampoline_kernelINS0_14default_configENS1_25partition_config_selectorILNS1_17partition_subalgoE6EiNS0_10empty_typeEbEEZZNS1_14partition_implILS5_6ELb0ES3_mN6thrust23THRUST_200600_302600_NS6detail15normal_iteratorINSA_10device_ptrIiEEEEPS6_SG_NS0_5tupleIJSF_S6_EEENSH_IJSG_SG_EEES6_PlJNSB_9not_fun_tI6is_oddIiEEEEEE10hipError_tPvRmT3_T4_T5_T6_T7_T9_mT8_P12ihipStream_tbDpT10_ENKUlT_T0_E_clISt17integral_constantIbLb0EES17_IbLb1EEEEDaS13_S14_EUlS13_E_NS1_11comp_targetILNS1_3genE8ELNS1_11target_archE1030ELNS1_3gpuE2ELNS1_3repE0EEENS1_30default_config_static_selectorELNS0_4arch9wavefront6targetE0EEEvT1_, .Lfunc_end114-_ZN7rocprim17ROCPRIM_400000_NS6detail17trampoline_kernelINS0_14default_configENS1_25partition_config_selectorILNS1_17partition_subalgoE6EiNS0_10empty_typeEbEEZZNS1_14partition_implILS5_6ELb0ES3_mN6thrust23THRUST_200600_302600_NS6detail15normal_iteratorINSA_10device_ptrIiEEEEPS6_SG_NS0_5tupleIJSF_S6_EEENSH_IJSG_SG_EEES6_PlJNSB_9not_fun_tI6is_oddIiEEEEEE10hipError_tPvRmT3_T4_T5_T6_T7_T9_mT8_P12ihipStream_tbDpT10_ENKUlT_T0_E_clISt17integral_constantIbLb0EES17_IbLb1EEEEDaS13_S14_EUlS13_E_NS1_11comp_targetILNS1_3genE8ELNS1_11target_archE1030ELNS1_3gpuE2ELNS1_3repE0EEENS1_30default_config_static_selectorELNS0_4arch9wavefront6targetE0EEEvT1_
                                        ; -- End function
	.set _ZN7rocprim17ROCPRIM_400000_NS6detail17trampoline_kernelINS0_14default_configENS1_25partition_config_selectorILNS1_17partition_subalgoE6EiNS0_10empty_typeEbEEZZNS1_14partition_implILS5_6ELb0ES3_mN6thrust23THRUST_200600_302600_NS6detail15normal_iteratorINSA_10device_ptrIiEEEEPS6_SG_NS0_5tupleIJSF_S6_EEENSH_IJSG_SG_EEES6_PlJNSB_9not_fun_tI6is_oddIiEEEEEE10hipError_tPvRmT3_T4_T5_T6_T7_T9_mT8_P12ihipStream_tbDpT10_ENKUlT_T0_E_clISt17integral_constantIbLb0EES17_IbLb1EEEEDaS13_S14_EUlS13_E_NS1_11comp_targetILNS1_3genE8ELNS1_11target_archE1030ELNS1_3gpuE2ELNS1_3repE0EEENS1_30default_config_static_selectorELNS0_4arch9wavefront6targetE0EEEvT1_.num_vgpr, 0
	.set _ZN7rocprim17ROCPRIM_400000_NS6detail17trampoline_kernelINS0_14default_configENS1_25partition_config_selectorILNS1_17partition_subalgoE6EiNS0_10empty_typeEbEEZZNS1_14partition_implILS5_6ELb0ES3_mN6thrust23THRUST_200600_302600_NS6detail15normal_iteratorINSA_10device_ptrIiEEEEPS6_SG_NS0_5tupleIJSF_S6_EEENSH_IJSG_SG_EEES6_PlJNSB_9not_fun_tI6is_oddIiEEEEEE10hipError_tPvRmT3_T4_T5_T6_T7_T9_mT8_P12ihipStream_tbDpT10_ENKUlT_T0_E_clISt17integral_constantIbLb0EES17_IbLb1EEEEDaS13_S14_EUlS13_E_NS1_11comp_targetILNS1_3genE8ELNS1_11target_archE1030ELNS1_3gpuE2ELNS1_3repE0EEENS1_30default_config_static_selectorELNS0_4arch9wavefront6targetE0EEEvT1_.num_agpr, 0
	.set _ZN7rocprim17ROCPRIM_400000_NS6detail17trampoline_kernelINS0_14default_configENS1_25partition_config_selectorILNS1_17partition_subalgoE6EiNS0_10empty_typeEbEEZZNS1_14partition_implILS5_6ELb0ES3_mN6thrust23THRUST_200600_302600_NS6detail15normal_iteratorINSA_10device_ptrIiEEEEPS6_SG_NS0_5tupleIJSF_S6_EEENSH_IJSG_SG_EEES6_PlJNSB_9not_fun_tI6is_oddIiEEEEEE10hipError_tPvRmT3_T4_T5_T6_T7_T9_mT8_P12ihipStream_tbDpT10_ENKUlT_T0_E_clISt17integral_constantIbLb0EES17_IbLb1EEEEDaS13_S14_EUlS13_E_NS1_11comp_targetILNS1_3genE8ELNS1_11target_archE1030ELNS1_3gpuE2ELNS1_3repE0EEENS1_30default_config_static_selectorELNS0_4arch9wavefront6targetE0EEEvT1_.numbered_sgpr, 0
	.set _ZN7rocprim17ROCPRIM_400000_NS6detail17trampoline_kernelINS0_14default_configENS1_25partition_config_selectorILNS1_17partition_subalgoE6EiNS0_10empty_typeEbEEZZNS1_14partition_implILS5_6ELb0ES3_mN6thrust23THRUST_200600_302600_NS6detail15normal_iteratorINSA_10device_ptrIiEEEEPS6_SG_NS0_5tupleIJSF_S6_EEENSH_IJSG_SG_EEES6_PlJNSB_9not_fun_tI6is_oddIiEEEEEE10hipError_tPvRmT3_T4_T5_T6_T7_T9_mT8_P12ihipStream_tbDpT10_ENKUlT_T0_E_clISt17integral_constantIbLb0EES17_IbLb1EEEEDaS13_S14_EUlS13_E_NS1_11comp_targetILNS1_3genE8ELNS1_11target_archE1030ELNS1_3gpuE2ELNS1_3repE0EEENS1_30default_config_static_selectorELNS0_4arch9wavefront6targetE0EEEvT1_.num_named_barrier, 0
	.set _ZN7rocprim17ROCPRIM_400000_NS6detail17trampoline_kernelINS0_14default_configENS1_25partition_config_selectorILNS1_17partition_subalgoE6EiNS0_10empty_typeEbEEZZNS1_14partition_implILS5_6ELb0ES3_mN6thrust23THRUST_200600_302600_NS6detail15normal_iteratorINSA_10device_ptrIiEEEEPS6_SG_NS0_5tupleIJSF_S6_EEENSH_IJSG_SG_EEES6_PlJNSB_9not_fun_tI6is_oddIiEEEEEE10hipError_tPvRmT3_T4_T5_T6_T7_T9_mT8_P12ihipStream_tbDpT10_ENKUlT_T0_E_clISt17integral_constantIbLb0EES17_IbLb1EEEEDaS13_S14_EUlS13_E_NS1_11comp_targetILNS1_3genE8ELNS1_11target_archE1030ELNS1_3gpuE2ELNS1_3repE0EEENS1_30default_config_static_selectorELNS0_4arch9wavefront6targetE0EEEvT1_.private_seg_size, 0
	.set _ZN7rocprim17ROCPRIM_400000_NS6detail17trampoline_kernelINS0_14default_configENS1_25partition_config_selectorILNS1_17partition_subalgoE6EiNS0_10empty_typeEbEEZZNS1_14partition_implILS5_6ELb0ES3_mN6thrust23THRUST_200600_302600_NS6detail15normal_iteratorINSA_10device_ptrIiEEEEPS6_SG_NS0_5tupleIJSF_S6_EEENSH_IJSG_SG_EEES6_PlJNSB_9not_fun_tI6is_oddIiEEEEEE10hipError_tPvRmT3_T4_T5_T6_T7_T9_mT8_P12ihipStream_tbDpT10_ENKUlT_T0_E_clISt17integral_constantIbLb0EES17_IbLb1EEEEDaS13_S14_EUlS13_E_NS1_11comp_targetILNS1_3genE8ELNS1_11target_archE1030ELNS1_3gpuE2ELNS1_3repE0EEENS1_30default_config_static_selectorELNS0_4arch9wavefront6targetE0EEEvT1_.uses_vcc, 0
	.set _ZN7rocprim17ROCPRIM_400000_NS6detail17trampoline_kernelINS0_14default_configENS1_25partition_config_selectorILNS1_17partition_subalgoE6EiNS0_10empty_typeEbEEZZNS1_14partition_implILS5_6ELb0ES3_mN6thrust23THRUST_200600_302600_NS6detail15normal_iteratorINSA_10device_ptrIiEEEEPS6_SG_NS0_5tupleIJSF_S6_EEENSH_IJSG_SG_EEES6_PlJNSB_9not_fun_tI6is_oddIiEEEEEE10hipError_tPvRmT3_T4_T5_T6_T7_T9_mT8_P12ihipStream_tbDpT10_ENKUlT_T0_E_clISt17integral_constantIbLb0EES17_IbLb1EEEEDaS13_S14_EUlS13_E_NS1_11comp_targetILNS1_3genE8ELNS1_11target_archE1030ELNS1_3gpuE2ELNS1_3repE0EEENS1_30default_config_static_selectorELNS0_4arch9wavefront6targetE0EEEvT1_.uses_flat_scratch, 0
	.set _ZN7rocprim17ROCPRIM_400000_NS6detail17trampoline_kernelINS0_14default_configENS1_25partition_config_selectorILNS1_17partition_subalgoE6EiNS0_10empty_typeEbEEZZNS1_14partition_implILS5_6ELb0ES3_mN6thrust23THRUST_200600_302600_NS6detail15normal_iteratorINSA_10device_ptrIiEEEEPS6_SG_NS0_5tupleIJSF_S6_EEENSH_IJSG_SG_EEES6_PlJNSB_9not_fun_tI6is_oddIiEEEEEE10hipError_tPvRmT3_T4_T5_T6_T7_T9_mT8_P12ihipStream_tbDpT10_ENKUlT_T0_E_clISt17integral_constantIbLb0EES17_IbLb1EEEEDaS13_S14_EUlS13_E_NS1_11comp_targetILNS1_3genE8ELNS1_11target_archE1030ELNS1_3gpuE2ELNS1_3repE0EEENS1_30default_config_static_selectorELNS0_4arch9wavefront6targetE0EEEvT1_.has_dyn_sized_stack, 0
	.set _ZN7rocprim17ROCPRIM_400000_NS6detail17trampoline_kernelINS0_14default_configENS1_25partition_config_selectorILNS1_17partition_subalgoE6EiNS0_10empty_typeEbEEZZNS1_14partition_implILS5_6ELb0ES3_mN6thrust23THRUST_200600_302600_NS6detail15normal_iteratorINSA_10device_ptrIiEEEEPS6_SG_NS0_5tupleIJSF_S6_EEENSH_IJSG_SG_EEES6_PlJNSB_9not_fun_tI6is_oddIiEEEEEE10hipError_tPvRmT3_T4_T5_T6_T7_T9_mT8_P12ihipStream_tbDpT10_ENKUlT_T0_E_clISt17integral_constantIbLb0EES17_IbLb1EEEEDaS13_S14_EUlS13_E_NS1_11comp_targetILNS1_3genE8ELNS1_11target_archE1030ELNS1_3gpuE2ELNS1_3repE0EEENS1_30default_config_static_selectorELNS0_4arch9wavefront6targetE0EEEvT1_.has_recursion, 0
	.set _ZN7rocprim17ROCPRIM_400000_NS6detail17trampoline_kernelINS0_14default_configENS1_25partition_config_selectorILNS1_17partition_subalgoE6EiNS0_10empty_typeEbEEZZNS1_14partition_implILS5_6ELb0ES3_mN6thrust23THRUST_200600_302600_NS6detail15normal_iteratorINSA_10device_ptrIiEEEEPS6_SG_NS0_5tupleIJSF_S6_EEENSH_IJSG_SG_EEES6_PlJNSB_9not_fun_tI6is_oddIiEEEEEE10hipError_tPvRmT3_T4_T5_T6_T7_T9_mT8_P12ihipStream_tbDpT10_ENKUlT_T0_E_clISt17integral_constantIbLb0EES17_IbLb1EEEEDaS13_S14_EUlS13_E_NS1_11comp_targetILNS1_3genE8ELNS1_11target_archE1030ELNS1_3gpuE2ELNS1_3repE0EEENS1_30default_config_static_selectorELNS0_4arch9wavefront6targetE0EEEvT1_.has_indirect_call, 0
	.section	.AMDGPU.csdata,"",@progbits
; Kernel info:
; codeLenInByte = 0
; TotalNumSgprs: 0
; NumVgprs: 0
; ScratchSize: 0
; MemoryBound: 0
; FloatMode: 240
; IeeeMode: 1
; LDSByteSize: 0 bytes/workgroup (compile time only)
; SGPRBlocks: 0
; VGPRBlocks: 0
; NumSGPRsForWavesPerEU: 1
; NumVGPRsForWavesPerEU: 1
; Occupancy: 16
; WaveLimiterHint : 0
; COMPUTE_PGM_RSRC2:SCRATCH_EN: 0
; COMPUTE_PGM_RSRC2:USER_SGPR: 2
; COMPUTE_PGM_RSRC2:TRAP_HANDLER: 0
; COMPUTE_PGM_RSRC2:TGID_X_EN: 1
; COMPUTE_PGM_RSRC2:TGID_Y_EN: 0
; COMPUTE_PGM_RSRC2:TGID_Z_EN: 0
; COMPUTE_PGM_RSRC2:TIDIG_COMP_CNT: 0
	.section	.AMDGPU.gpr_maximums,"",@progbits
	.set amdgpu.max_num_vgpr, 0
	.set amdgpu.max_num_agpr, 0
	.set amdgpu.max_num_sgpr, 0
	.section	.AMDGPU.csdata,"",@progbits
	.type	__hip_cuid_8cdccf43238b432,@object ; @__hip_cuid_8cdccf43238b432
	.section	.bss,"aw",@nobits
	.globl	__hip_cuid_8cdccf43238b432
__hip_cuid_8cdccf43238b432:
	.byte	0                               ; 0x0
	.size	__hip_cuid_8cdccf43238b432, 1

	.ident	"AMD clang version 22.0.0git (https://github.com/RadeonOpenCompute/llvm-project roc-7.2.4 26084 f58b06dce1f9c15707c5f808fd002e18c2accf7e)"
	.section	".note.GNU-stack","",@progbits
	.addrsig
	.addrsig_sym __hip_cuid_8cdccf43238b432
	.amdgpu_metadata
---
amdhsa.kernels:
  - .args:
      - .offset:         0
        .size:           16
        .value_kind:     by_value
      - .offset:         16
        .size:           8
        .value_kind:     by_value
      - .offset:         24
        .size:           8
        .value_kind:     by_value
    .group_segment_fixed_size: 0
    .kernarg_segment_align: 8
    .kernarg_segment_size: 32
    .language:       OpenCL C
    .language_version:
      - 2
      - 0
    .max_flat_workgroup_size: 256
    .name:           _ZN6thrust23THRUST_200600_302600_NS11hip_rocprim14__parallel_for6kernelILj256ENS1_20__uninitialized_fill7functorINS0_10device_ptrIiEEiEEmLj1EEEvT0_T1_SA_
    .private_segment_fixed_size: 0
    .sgpr_count:     14
    .sgpr_spill_count: 0
    .symbol:         _ZN6thrust23THRUST_200600_302600_NS11hip_rocprim14__parallel_for6kernelILj256ENS1_20__uninitialized_fill7functorINS0_10device_ptrIiEEiEEmLj1EEEvT0_T1_SA_.kd
    .uniform_work_group_size: 1
    .uses_dynamic_stack: false
    .vgpr_count:     4
    .vgpr_spill_count: 0
    .wavefront_size: 32
    .workgroup_processor_mode: 1
  - .args:
      - .offset:         0
        .size:           16
        .value_kind:     by_value
      - .offset:         16
        .size:           8
        .value_kind:     by_value
      - .offset:         24
        .size:           8
        .value_kind:     by_value
    .group_segment_fixed_size: 0
    .kernarg_segment_align: 8
    .kernarg_segment_size: 32
    .language:       OpenCL C
    .language_version:
      - 2
      - 0
    .max_flat_workgroup_size: 256
    .name:           _ZN6thrust23THRUST_200600_302600_NS11hip_rocprim14__parallel_for6kernelILj256ENS1_10__tabulate7functorINS0_6detail15normal_iteratorINS0_10device_ptrIiEEEENS0_6system6detail7generic6detail22compute_sequence_valueIivEElEElLj1EEEvT0_T1_SJ_
    .private_segment_fixed_size: 0
    .sgpr_count:     12
    .sgpr_spill_count: 0
    .symbol:         _ZN6thrust23THRUST_200600_302600_NS11hip_rocprim14__parallel_for6kernelILj256ENS1_10__tabulate7functorINS0_6detail15normal_iteratorINS0_10device_ptrIiEEEENS0_6system6detail7generic6detail22compute_sequence_valueIivEElEElLj1EEEvT0_T1_SJ_.kd
    .uniform_work_group_size: 1
    .uses_dynamic_stack: false
    .vgpr_count:     6
    .vgpr_spill_count: 0
    .wavefront_size: 32
    .workgroup_processor_mode: 1
  - .args:
      - .offset:         0
        .size:           16
        .value_kind:     by_value
      - .offset:         16
        .size:           8
        .value_kind:     by_value
      - .offset:         24
        .size:           8
        .value_kind:     by_value
    .group_segment_fixed_size: 0
    .kernarg_segment_align: 8
    .kernarg_segment_size: 32
    .language:       OpenCL C
    .language_version:
      - 2
      - 0
    .max_flat_workgroup_size: 256
    .name:           _ZN6thrust23THRUST_200600_302600_NS11hip_rocprim14__parallel_for6kernelILj256ENS1_20__uninitialized_copy7functorINS0_6detail15normal_iteratorINS0_10device_ptrIiEEEENS0_7pointerIiNS1_3tagENS0_11use_defaultESD_EEEEmLj1EEEvT0_T1_SH_
    .private_segment_fixed_size: 0
    .sgpr_count:     12
    .sgpr_spill_count: 0
    .symbol:         _ZN6thrust23THRUST_200600_302600_NS11hip_rocprim14__parallel_for6kernelILj256ENS1_20__uninitialized_copy7functorINS0_6detail15normal_iteratorINS0_10device_ptrIiEEEENS0_7pointerIiNS1_3tagENS0_11use_defaultESD_EEEEmLj1EEEvT0_T1_SH_.kd
    .uniform_work_group_size: 1
    .uses_dynamic_stack: false
    .vgpr_count:     5
    .vgpr_spill_count: 0
    .wavefront_size: 32
    .workgroup_processor_mode: 1
  - .args:
      - .address_space:  global
        .offset:         0
        .size:           8
        .value_kind:     global_buffer
      - .offset:         8
        .size:           4
        .value_kind:     by_value
      - .offset:         12
        .size:           1
        .value_kind:     by_value
      - .offset:         16
        .size:           4
        .value_kind:     by_value
      - .address_space:  global
        .offset:         24
        .size:           8
        .value_kind:     global_buffer
      - .offset:         32
        .size:           4
        .value_kind:     hidden_block_count_x
      - .offset:         36
        .size:           4
        .value_kind:     hidden_block_count_y
      - .offset:         40
        .size:           4
        .value_kind:     hidden_block_count_z
      - .offset:         44
        .size:           2
        .value_kind:     hidden_group_size_x
      - .offset:         46
        .size:           2
        .value_kind:     hidden_group_size_y
      - .offset:         48
        .size:           2
        .value_kind:     hidden_group_size_z
      - .offset:         50
        .size:           2
        .value_kind:     hidden_remainder_x
      - .offset:         52
        .size:           2
        .value_kind:     hidden_remainder_y
      - .offset:         54
        .size:           2
        .value_kind:     hidden_remainder_z
      - .offset:         72
        .size:           8
        .value_kind:     hidden_global_offset_x
      - .offset:         80
        .size:           8
        .value_kind:     hidden_global_offset_y
      - .offset:         88
        .size:           8
        .value_kind:     hidden_global_offset_z
      - .offset:         96
        .size:           2
        .value_kind:     hidden_grid_dims
    .group_segment_fixed_size: 0
    .kernarg_segment_align: 8
    .kernarg_segment_size: 288
    .language:       OpenCL C
    .language_version:
      - 2
      - 0
    .max_flat_workgroup_size: 256
    .name:           _ZN7rocprim17ROCPRIM_400000_NS6detail31init_lookback_scan_state_kernelINS1_19lookback_scan_stateImLb0ELb1EEENS1_16block_id_wrapperIjLb0EEEEEvT_jT0_jPNS7_10value_typeE
    .private_segment_fixed_size: 0
    .sgpr_count:     11
    .sgpr_spill_count: 0
    .symbol:         _ZN7rocprim17ROCPRIM_400000_NS6detail31init_lookback_scan_state_kernelINS1_19lookback_scan_stateImLb0ELb1EEENS1_16block_id_wrapperIjLb0EEEEEvT_jT0_jPNS7_10value_typeE.kd
    .uniform_work_group_size: 1
    .uses_dynamic_stack: false
    .vgpr_count:     8
    .vgpr_spill_count: 0
    .wavefront_size: 32
    .workgroup_processor_mode: 1
  - .args:
      - .offset:         0
        .size:           112
        .value_kind:     by_value
    .group_segment_fixed_size: 0
    .kernarg_segment_align: 8
    .kernarg_segment_size: 112
    .language:       OpenCL C
    .language_version:
      - 2
      - 0
    .max_flat_workgroup_size: 256
    .name:           _ZN7rocprim17ROCPRIM_400000_NS6detail17trampoline_kernelINS0_14default_configENS1_25partition_config_selectorILNS1_17partition_subalgoE6EiNS0_10empty_typeEbEEZZNS1_14partition_implILS5_6ELb0ES3_mN6thrust23THRUST_200600_302600_NS6detail15normal_iteratorINSA_10device_ptrIiEEEEPS6_SG_NS0_5tupleIJSF_S6_EEENSH_IJSG_SG_EEES6_PlJ6is_oddIiEEEE10hipError_tPvRmT3_T4_T5_T6_T7_T9_mT8_P12ihipStream_tbDpT10_ENKUlT_T0_E_clISt17integral_constantIbLb0EES16_EEDaS11_S12_EUlS11_E_NS1_11comp_targetILNS1_3genE0ELNS1_11target_archE4294967295ELNS1_3gpuE0ELNS1_3repE0EEENS1_30default_config_static_selectorELNS0_4arch9wavefront6targetE0EEEvT1_
    .private_segment_fixed_size: 0
    .sgpr_count:     0
    .sgpr_spill_count: 0
    .symbol:         _ZN7rocprim17ROCPRIM_400000_NS6detail17trampoline_kernelINS0_14default_configENS1_25partition_config_selectorILNS1_17partition_subalgoE6EiNS0_10empty_typeEbEEZZNS1_14partition_implILS5_6ELb0ES3_mN6thrust23THRUST_200600_302600_NS6detail15normal_iteratorINSA_10device_ptrIiEEEEPS6_SG_NS0_5tupleIJSF_S6_EEENSH_IJSG_SG_EEES6_PlJ6is_oddIiEEEE10hipError_tPvRmT3_T4_T5_T6_T7_T9_mT8_P12ihipStream_tbDpT10_ENKUlT_T0_E_clISt17integral_constantIbLb0EES16_EEDaS11_S12_EUlS11_E_NS1_11comp_targetILNS1_3genE0ELNS1_11target_archE4294967295ELNS1_3gpuE0ELNS1_3repE0EEENS1_30default_config_static_selectorELNS0_4arch9wavefront6targetE0EEEvT1_.kd
    .uniform_work_group_size: 1
    .uses_dynamic_stack: false
    .vgpr_count:     0
    .vgpr_spill_count: 0
    .wavefront_size: 32
    .workgroup_processor_mode: 1
  - .args:
      - .offset:         0
        .size:           112
        .value_kind:     by_value
    .group_segment_fixed_size: 0
    .kernarg_segment_align: 8
    .kernarg_segment_size: 112
    .language:       OpenCL C
    .language_version:
      - 2
      - 0
    .max_flat_workgroup_size: 512
    .name:           _ZN7rocprim17ROCPRIM_400000_NS6detail17trampoline_kernelINS0_14default_configENS1_25partition_config_selectorILNS1_17partition_subalgoE6EiNS0_10empty_typeEbEEZZNS1_14partition_implILS5_6ELb0ES3_mN6thrust23THRUST_200600_302600_NS6detail15normal_iteratorINSA_10device_ptrIiEEEEPS6_SG_NS0_5tupleIJSF_S6_EEENSH_IJSG_SG_EEES6_PlJ6is_oddIiEEEE10hipError_tPvRmT3_T4_T5_T6_T7_T9_mT8_P12ihipStream_tbDpT10_ENKUlT_T0_E_clISt17integral_constantIbLb0EES16_EEDaS11_S12_EUlS11_E_NS1_11comp_targetILNS1_3genE5ELNS1_11target_archE942ELNS1_3gpuE9ELNS1_3repE0EEENS1_30default_config_static_selectorELNS0_4arch9wavefront6targetE0EEEvT1_
    .private_segment_fixed_size: 0
    .sgpr_count:     0
    .sgpr_spill_count: 0
    .symbol:         _ZN7rocprim17ROCPRIM_400000_NS6detail17trampoline_kernelINS0_14default_configENS1_25partition_config_selectorILNS1_17partition_subalgoE6EiNS0_10empty_typeEbEEZZNS1_14partition_implILS5_6ELb0ES3_mN6thrust23THRUST_200600_302600_NS6detail15normal_iteratorINSA_10device_ptrIiEEEEPS6_SG_NS0_5tupleIJSF_S6_EEENSH_IJSG_SG_EEES6_PlJ6is_oddIiEEEE10hipError_tPvRmT3_T4_T5_T6_T7_T9_mT8_P12ihipStream_tbDpT10_ENKUlT_T0_E_clISt17integral_constantIbLb0EES16_EEDaS11_S12_EUlS11_E_NS1_11comp_targetILNS1_3genE5ELNS1_11target_archE942ELNS1_3gpuE9ELNS1_3repE0EEENS1_30default_config_static_selectorELNS0_4arch9wavefront6targetE0EEEvT1_.kd
    .uniform_work_group_size: 1
    .uses_dynamic_stack: false
    .vgpr_count:     0
    .vgpr_spill_count: 0
    .wavefront_size: 32
    .workgroup_processor_mode: 1
  - .args:
      - .offset:         0
        .size:           112
        .value_kind:     by_value
    .group_segment_fixed_size: 0
    .kernarg_segment_align: 8
    .kernarg_segment_size: 112
    .language:       OpenCL C
    .language_version:
      - 2
      - 0
    .max_flat_workgroup_size: 512
    .name:           _ZN7rocprim17ROCPRIM_400000_NS6detail17trampoline_kernelINS0_14default_configENS1_25partition_config_selectorILNS1_17partition_subalgoE6EiNS0_10empty_typeEbEEZZNS1_14partition_implILS5_6ELb0ES3_mN6thrust23THRUST_200600_302600_NS6detail15normal_iteratorINSA_10device_ptrIiEEEEPS6_SG_NS0_5tupleIJSF_S6_EEENSH_IJSG_SG_EEES6_PlJ6is_oddIiEEEE10hipError_tPvRmT3_T4_T5_T6_T7_T9_mT8_P12ihipStream_tbDpT10_ENKUlT_T0_E_clISt17integral_constantIbLb0EES16_EEDaS11_S12_EUlS11_E_NS1_11comp_targetILNS1_3genE4ELNS1_11target_archE910ELNS1_3gpuE8ELNS1_3repE0EEENS1_30default_config_static_selectorELNS0_4arch9wavefront6targetE0EEEvT1_
    .private_segment_fixed_size: 0
    .sgpr_count:     0
    .sgpr_spill_count: 0
    .symbol:         _ZN7rocprim17ROCPRIM_400000_NS6detail17trampoline_kernelINS0_14default_configENS1_25partition_config_selectorILNS1_17partition_subalgoE6EiNS0_10empty_typeEbEEZZNS1_14partition_implILS5_6ELb0ES3_mN6thrust23THRUST_200600_302600_NS6detail15normal_iteratorINSA_10device_ptrIiEEEEPS6_SG_NS0_5tupleIJSF_S6_EEENSH_IJSG_SG_EEES6_PlJ6is_oddIiEEEE10hipError_tPvRmT3_T4_T5_T6_T7_T9_mT8_P12ihipStream_tbDpT10_ENKUlT_T0_E_clISt17integral_constantIbLb0EES16_EEDaS11_S12_EUlS11_E_NS1_11comp_targetILNS1_3genE4ELNS1_11target_archE910ELNS1_3gpuE8ELNS1_3repE0EEENS1_30default_config_static_selectorELNS0_4arch9wavefront6targetE0EEEvT1_.kd
    .uniform_work_group_size: 1
    .uses_dynamic_stack: false
    .vgpr_count:     0
    .vgpr_spill_count: 0
    .wavefront_size: 32
    .workgroup_processor_mode: 1
  - .args:
      - .offset:         0
        .size:           112
        .value_kind:     by_value
    .group_segment_fixed_size: 0
    .kernarg_segment_align: 8
    .kernarg_segment_size: 112
    .language:       OpenCL C
    .language_version:
      - 2
      - 0
    .max_flat_workgroup_size: 256
    .name:           _ZN7rocprim17ROCPRIM_400000_NS6detail17trampoline_kernelINS0_14default_configENS1_25partition_config_selectorILNS1_17partition_subalgoE6EiNS0_10empty_typeEbEEZZNS1_14partition_implILS5_6ELb0ES3_mN6thrust23THRUST_200600_302600_NS6detail15normal_iteratorINSA_10device_ptrIiEEEEPS6_SG_NS0_5tupleIJSF_S6_EEENSH_IJSG_SG_EEES6_PlJ6is_oddIiEEEE10hipError_tPvRmT3_T4_T5_T6_T7_T9_mT8_P12ihipStream_tbDpT10_ENKUlT_T0_E_clISt17integral_constantIbLb0EES16_EEDaS11_S12_EUlS11_E_NS1_11comp_targetILNS1_3genE3ELNS1_11target_archE908ELNS1_3gpuE7ELNS1_3repE0EEENS1_30default_config_static_selectorELNS0_4arch9wavefront6targetE0EEEvT1_
    .private_segment_fixed_size: 0
    .sgpr_count:     0
    .sgpr_spill_count: 0
    .symbol:         _ZN7rocprim17ROCPRIM_400000_NS6detail17trampoline_kernelINS0_14default_configENS1_25partition_config_selectorILNS1_17partition_subalgoE6EiNS0_10empty_typeEbEEZZNS1_14partition_implILS5_6ELb0ES3_mN6thrust23THRUST_200600_302600_NS6detail15normal_iteratorINSA_10device_ptrIiEEEEPS6_SG_NS0_5tupleIJSF_S6_EEENSH_IJSG_SG_EEES6_PlJ6is_oddIiEEEE10hipError_tPvRmT3_T4_T5_T6_T7_T9_mT8_P12ihipStream_tbDpT10_ENKUlT_T0_E_clISt17integral_constantIbLb0EES16_EEDaS11_S12_EUlS11_E_NS1_11comp_targetILNS1_3genE3ELNS1_11target_archE908ELNS1_3gpuE7ELNS1_3repE0EEENS1_30default_config_static_selectorELNS0_4arch9wavefront6targetE0EEEvT1_.kd
    .uniform_work_group_size: 1
    .uses_dynamic_stack: false
    .vgpr_count:     0
    .vgpr_spill_count: 0
    .wavefront_size: 32
    .workgroup_processor_mode: 1
  - .args:
      - .offset:         0
        .size:           112
        .value_kind:     by_value
    .group_segment_fixed_size: 0
    .kernarg_segment_align: 8
    .kernarg_segment_size: 112
    .language:       OpenCL C
    .language_version:
      - 2
      - 0
    .max_flat_workgroup_size: 192
    .name:           _ZN7rocprim17ROCPRIM_400000_NS6detail17trampoline_kernelINS0_14default_configENS1_25partition_config_selectorILNS1_17partition_subalgoE6EiNS0_10empty_typeEbEEZZNS1_14partition_implILS5_6ELb0ES3_mN6thrust23THRUST_200600_302600_NS6detail15normal_iteratorINSA_10device_ptrIiEEEEPS6_SG_NS0_5tupleIJSF_S6_EEENSH_IJSG_SG_EEES6_PlJ6is_oddIiEEEE10hipError_tPvRmT3_T4_T5_T6_T7_T9_mT8_P12ihipStream_tbDpT10_ENKUlT_T0_E_clISt17integral_constantIbLb0EES16_EEDaS11_S12_EUlS11_E_NS1_11comp_targetILNS1_3genE2ELNS1_11target_archE906ELNS1_3gpuE6ELNS1_3repE0EEENS1_30default_config_static_selectorELNS0_4arch9wavefront6targetE0EEEvT1_
    .private_segment_fixed_size: 0
    .sgpr_count:     0
    .sgpr_spill_count: 0
    .symbol:         _ZN7rocprim17ROCPRIM_400000_NS6detail17trampoline_kernelINS0_14default_configENS1_25partition_config_selectorILNS1_17partition_subalgoE6EiNS0_10empty_typeEbEEZZNS1_14partition_implILS5_6ELb0ES3_mN6thrust23THRUST_200600_302600_NS6detail15normal_iteratorINSA_10device_ptrIiEEEEPS6_SG_NS0_5tupleIJSF_S6_EEENSH_IJSG_SG_EEES6_PlJ6is_oddIiEEEE10hipError_tPvRmT3_T4_T5_T6_T7_T9_mT8_P12ihipStream_tbDpT10_ENKUlT_T0_E_clISt17integral_constantIbLb0EES16_EEDaS11_S12_EUlS11_E_NS1_11comp_targetILNS1_3genE2ELNS1_11target_archE906ELNS1_3gpuE6ELNS1_3repE0EEENS1_30default_config_static_selectorELNS0_4arch9wavefront6targetE0EEEvT1_.kd
    .uniform_work_group_size: 1
    .uses_dynamic_stack: false
    .vgpr_count:     0
    .vgpr_spill_count: 0
    .wavefront_size: 32
    .workgroup_processor_mode: 1
  - .args:
      - .offset:         0
        .size:           112
        .value_kind:     by_value
    .group_segment_fixed_size: 10768
    .kernarg_segment_align: 8
    .kernarg_segment_size: 112
    .language:       OpenCL C
    .language_version:
      - 2
      - 0
    .max_flat_workgroup_size: 384
    .name:           _ZN7rocprim17ROCPRIM_400000_NS6detail17trampoline_kernelINS0_14default_configENS1_25partition_config_selectorILNS1_17partition_subalgoE6EiNS0_10empty_typeEbEEZZNS1_14partition_implILS5_6ELb0ES3_mN6thrust23THRUST_200600_302600_NS6detail15normal_iteratorINSA_10device_ptrIiEEEEPS6_SG_NS0_5tupleIJSF_S6_EEENSH_IJSG_SG_EEES6_PlJ6is_oddIiEEEE10hipError_tPvRmT3_T4_T5_T6_T7_T9_mT8_P12ihipStream_tbDpT10_ENKUlT_T0_E_clISt17integral_constantIbLb0EES16_EEDaS11_S12_EUlS11_E_NS1_11comp_targetILNS1_3genE10ELNS1_11target_archE1200ELNS1_3gpuE4ELNS1_3repE0EEENS1_30default_config_static_selectorELNS0_4arch9wavefront6targetE0EEEvT1_
    .private_segment_fixed_size: 0
    .sgpr_count:     21
    .sgpr_spill_count: 0
    .symbol:         _ZN7rocprim17ROCPRIM_400000_NS6detail17trampoline_kernelINS0_14default_configENS1_25partition_config_selectorILNS1_17partition_subalgoE6EiNS0_10empty_typeEbEEZZNS1_14partition_implILS5_6ELb0ES3_mN6thrust23THRUST_200600_302600_NS6detail15normal_iteratorINSA_10device_ptrIiEEEEPS6_SG_NS0_5tupleIJSF_S6_EEENSH_IJSG_SG_EEES6_PlJ6is_oddIiEEEE10hipError_tPvRmT3_T4_T5_T6_T7_T9_mT8_P12ihipStream_tbDpT10_ENKUlT_T0_E_clISt17integral_constantIbLb0EES16_EEDaS11_S12_EUlS11_E_NS1_11comp_targetILNS1_3genE10ELNS1_11target_archE1200ELNS1_3gpuE4ELNS1_3repE0EEENS1_30default_config_static_selectorELNS0_4arch9wavefront6targetE0EEEvT1_.kd
    .uniform_work_group_size: 1
    .uses_dynamic_stack: false
    .vgpr_count:     50
    .vgpr_spill_count: 0
    .wavefront_size: 32
    .workgroup_processor_mode: 1
  - .args:
      - .offset:         0
        .size:           112
        .value_kind:     by_value
    .group_segment_fixed_size: 0
    .kernarg_segment_align: 8
    .kernarg_segment_size: 112
    .language:       OpenCL C
    .language_version:
      - 2
      - 0
    .max_flat_workgroup_size: 128
    .name:           _ZN7rocprim17ROCPRIM_400000_NS6detail17trampoline_kernelINS0_14default_configENS1_25partition_config_selectorILNS1_17partition_subalgoE6EiNS0_10empty_typeEbEEZZNS1_14partition_implILS5_6ELb0ES3_mN6thrust23THRUST_200600_302600_NS6detail15normal_iteratorINSA_10device_ptrIiEEEEPS6_SG_NS0_5tupleIJSF_S6_EEENSH_IJSG_SG_EEES6_PlJ6is_oddIiEEEE10hipError_tPvRmT3_T4_T5_T6_T7_T9_mT8_P12ihipStream_tbDpT10_ENKUlT_T0_E_clISt17integral_constantIbLb0EES16_EEDaS11_S12_EUlS11_E_NS1_11comp_targetILNS1_3genE9ELNS1_11target_archE1100ELNS1_3gpuE3ELNS1_3repE0EEENS1_30default_config_static_selectorELNS0_4arch9wavefront6targetE0EEEvT1_
    .private_segment_fixed_size: 0
    .sgpr_count:     0
    .sgpr_spill_count: 0
    .symbol:         _ZN7rocprim17ROCPRIM_400000_NS6detail17trampoline_kernelINS0_14default_configENS1_25partition_config_selectorILNS1_17partition_subalgoE6EiNS0_10empty_typeEbEEZZNS1_14partition_implILS5_6ELb0ES3_mN6thrust23THRUST_200600_302600_NS6detail15normal_iteratorINSA_10device_ptrIiEEEEPS6_SG_NS0_5tupleIJSF_S6_EEENSH_IJSG_SG_EEES6_PlJ6is_oddIiEEEE10hipError_tPvRmT3_T4_T5_T6_T7_T9_mT8_P12ihipStream_tbDpT10_ENKUlT_T0_E_clISt17integral_constantIbLb0EES16_EEDaS11_S12_EUlS11_E_NS1_11comp_targetILNS1_3genE9ELNS1_11target_archE1100ELNS1_3gpuE3ELNS1_3repE0EEENS1_30default_config_static_selectorELNS0_4arch9wavefront6targetE0EEEvT1_.kd
    .uniform_work_group_size: 1
    .uses_dynamic_stack: false
    .vgpr_count:     0
    .vgpr_spill_count: 0
    .wavefront_size: 32
    .workgroup_processor_mode: 1
  - .args:
      - .offset:         0
        .size:           112
        .value_kind:     by_value
    .group_segment_fixed_size: 0
    .kernarg_segment_align: 8
    .kernarg_segment_size: 112
    .language:       OpenCL C
    .language_version:
      - 2
      - 0
    .max_flat_workgroup_size: 512
    .name:           _ZN7rocprim17ROCPRIM_400000_NS6detail17trampoline_kernelINS0_14default_configENS1_25partition_config_selectorILNS1_17partition_subalgoE6EiNS0_10empty_typeEbEEZZNS1_14partition_implILS5_6ELb0ES3_mN6thrust23THRUST_200600_302600_NS6detail15normal_iteratorINSA_10device_ptrIiEEEEPS6_SG_NS0_5tupleIJSF_S6_EEENSH_IJSG_SG_EEES6_PlJ6is_oddIiEEEE10hipError_tPvRmT3_T4_T5_T6_T7_T9_mT8_P12ihipStream_tbDpT10_ENKUlT_T0_E_clISt17integral_constantIbLb0EES16_EEDaS11_S12_EUlS11_E_NS1_11comp_targetILNS1_3genE8ELNS1_11target_archE1030ELNS1_3gpuE2ELNS1_3repE0EEENS1_30default_config_static_selectorELNS0_4arch9wavefront6targetE0EEEvT1_
    .private_segment_fixed_size: 0
    .sgpr_count:     0
    .sgpr_spill_count: 0
    .symbol:         _ZN7rocprim17ROCPRIM_400000_NS6detail17trampoline_kernelINS0_14default_configENS1_25partition_config_selectorILNS1_17partition_subalgoE6EiNS0_10empty_typeEbEEZZNS1_14partition_implILS5_6ELb0ES3_mN6thrust23THRUST_200600_302600_NS6detail15normal_iteratorINSA_10device_ptrIiEEEEPS6_SG_NS0_5tupleIJSF_S6_EEENSH_IJSG_SG_EEES6_PlJ6is_oddIiEEEE10hipError_tPvRmT3_T4_T5_T6_T7_T9_mT8_P12ihipStream_tbDpT10_ENKUlT_T0_E_clISt17integral_constantIbLb0EES16_EEDaS11_S12_EUlS11_E_NS1_11comp_targetILNS1_3genE8ELNS1_11target_archE1030ELNS1_3gpuE2ELNS1_3repE0EEENS1_30default_config_static_selectorELNS0_4arch9wavefront6targetE0EEEvT1_.kd
    .uniform_work_group_size: 1
    .uses_dynamic_stack: false
    .vgpr_count:     0
    .vgpr_spill_count: 0
    .wavefront_size: 32
    .workgroup_processor_mode: 1
  - .args:
      - .offset:         0
        .size:           40
        .value_kind:     by_value
    .group_segment_fixed_size: 0
    .kernarg_segment_align: 8
    .kernarg_segment_size: 40
    .language:       OpenCL C
    .language_version:
      - 2
      - 0
    .max_flat_workgroup_size: 128
    .name:           _ZN7rocprim17ROCPRIM_400000_NS6detail17trampoline_kernelINS0_14default_configENS1_25transform_config_selectorImLb1EEEZNS1_14transform_implILb1ES3_S5_PmPlNS0_8identityIvEEEE10hipError_tT2_T3_mT4_P12ihipStream_tbEUlT_E_NS1_11comp_targetILNS1_3genE0ELNS1_11target_archE4294967295ELNS1_3gpuE0ELNS1_3repE0EEENS1_30default_config_static_selectorELNS0_4arch9wavefront6targetE0EEEvT1_
    .private_segment_fixed_size: 0
    .sgpr_count:     0
    .sgpr_spill_count: 0
    .symbol:         _ZN7rocprim17ROCPRIM_400000_NS6detail17trampoline_kernelINS0_14default_configENS1_25transform_config_selectorImLb1EEEZNS1_14transform_implILb1ES3_S5_PmPlNS0_8identityIvEEEE10hipError_tT2_T3_mT4_P12ihipStream_tbEUlT_E_NS1_11comp_targetILNS1_3genE0ELNS1_11target_archE4294967295ELNS1_3gpuE0ELNS1_3repE0EEENS1_30default_config_static_selectorELNS0_4arch9wavefront6targetE0EEEvT1_.kd
    .uniform_work_group_size: 1
    .uses_dynamic_stack: false
    .vgpr_count:     0
    .vgpr_spill_count: 0
    .wavefront_size: 32
    .workgroup_processor_mode: 1
  - .args:
      - .offset:         0
        .size:           40
        .value_kind:     by_value
      - .offset:         40
        .size:           4
        .value_kind:     hidden_block_count_x
      - .offset:         44
        .size:           4
        .value_kind:     hidden_block_count_y
      - .offset:         48
        .size:           4
        .value_kind:     hidden_block_count_z
      - .offset:         52
        .size:           2
        .value_kind:     hidden_group_size_x
      - .offset:         54
        .size:           2
        .value_kind:     hidden_group_size_y
      - .offset:         56
        .size:           2
        .value_kind:     hidden_group_size_z
      - .offset:         58
        .size:           2
        .value_kind:     hidden_remainder_x
      - .offset:         60
        .size:           2
        .value_kind:     hidden_remainder_y
      - .offset:         62
        .size:           2
        .value_kind:     hidden_remainder_z
      - .offset:         80
        .size:           8
        .value_kind:     hidden_global_offset_x
      - .offset:         88
        .size:           8
        .value_kind:     hidden_global_offset_y
      - .offset:         96
        .size:           8
        .value_kind:     hidden_global_offset_z
      - .offset:         104
        .size:           2
        .value_kind:     hidden_grid_dims
    .group_segment_fixed_size: 0
    .kernarg_segment_align: 8
    .kernarg_segment_size: 296
    .language:       OpenCL C
    .language_version:
      - 2
      - 0
    .max_flat_workgroup_size: 1024
    .name:           _ZN7rocprim17ROCPRIM_400000_NS6detail17trampoline_kernelINS0_14default_configENS1_25transform_config_selectorImLb1EEEZNS1_14transform_implILb1ES3_S5_PmPlNS0_8identityIvEEEE10hipError_tT2_T3_mT4_P12ihipStream_tbEUlT_E_NS1_11comp_targetILNS1_3genE10ELNS1_11target_archE1201ELNS1_3gpuE5ELNS1_3repE0EEENS1_30default_config_static_selectorELNS0_4arch9wavefront6targetE0EEEvT1_
    .private_segment_fixed_size: 0
    .sgpr_count:     15
    .sgpr_spill_count: 0
    .symbol:         _ZN7rocprim17ROCPRIM_400000_NS6detail17trampoline_kernelINS0_14default_configENS1_25transform_config_selectorImLb1EEEZNS1_14transform_implILb1ES3_S5_PmPlNS0_8identityIvEEEE10hipError_tT2_T3_mT4_P12ihipStream_tbEUlT_E_NS1_11comp_targetILNS1_3genE10ELNS1_11target_archE1201ELNS1_3gpuE5ELNS1_3repE0EEENS1_30default_config_static_selectorELNS0_4arch9wavefront6targetE0EEEvT1_.kd
    .uniform_work_group_size: 1
    .uses_dynamic_stack: false
    .vgpr_count:     7
    .vgpr_spill_count: 0
    .wavefront_size: 32
    .workgroup_processor_mode: 1
  - .args:
      - .offset:         0
        .size:           40
        .value_kind:     by_value
    .group_segment_fixed_size: 0
    .kernarg_segment_align: 8
    .kernarg_segment_size: 40
    .language:       OpenCL C
    .language_version:
      - 2
      - 0
    .max_flat_workgroup_size: 512
    .name:           _ZN7rocprim17ROCPRIM_400000_NS6detail17trampoline_kernelINS0_14default_configENS1_25transform_config_selectorImLb1EEEZNS1_14transform_implILb1ES3_S5_PmPlNS0_8identityIvEEEE10hipError_tT2_T3_mT4_P12ihipStream_tbEUlT_E_NS1_11comp_targetILNS1_3genE5ELNS1_11target_archE942ELNS1_3gpuE9ELNS1_3repE0EEENS1_30default_config_static_selectorELNS0_4arch9wavefront6targetE0EEEvT1_
    .private_segment_fixed_size: 0
    .sgpr_count:     0
    .sgpr_spill_count: 0
    .symbol:         _ZN7rocprim17ROCPRIM_400000_NS6detail17trampoline_kernelINS0_14default_configENS1_25transform_config_selectorImLb1EEEZNS1_14transform_implILb1ES3_S5_PmPlNS0_8identityIvEEEE10hipError_tT2_T3_mT4_P12ihipStream_tbEUlT_E_NS1_11comp_targetILNS1_3genE5ELNS1_11target_archE942ELNS1_3gpuE9ELNS1_3repE0EEENS1_30default_config_static_selectorELNS0_4arch9wavefront6targetE0EEEvT1_.kd
    .uniform_work_group_size: 1
    .uses_dynamic_stack: false
    .vgpr_count:     0
    .vgpr_spill_count: 0
    .wavefront_size: 32
    .workgroup_processor_mode: 1
  - .args:
      - .offset:         0
        .size:           40
        .value_kind:     by_value
    .group_segment_fixed_size: 0
    .kernarg_segment_align: 8
    .kernarg_segment_size: 40
    .language:       OpenCL C
    .language_version:
      - 2
      - 0
    .max_flat_workgroup_size: 1024
    .name:           _ZN7rocprim17ROCPRIM_400000_NS6detail17trampoline_kernelINS0_14default_configENS1_25transform_config_selectorImLb1EEEZNS1_14transform_implILb1ES3_S5_PmPlNS0_8identityIvEEEE10hipError_tT2_T3_mT4_P12ihipStream_tbEUlT_E_NS1_11comp_targetILNS1_3genE4ELNS1_11target_archE910ELNS1_3gpuE8ELNS1_3repE0EEENS1_30default_config_static_selectorELNS0_4arch9wavefront6targetE0EEEvT1_
    .private_segment_fixed_size: 0
    .sgpr_count:     0
    .sgpr_spill_count: 0
    .symbol:         _ZN7rocprim17ROCPRIM_400000_NS6detail17trampoline_kernelINS0_14default_configENS1_25transform_config_selectorImLb1EEEZNS1_14transform_implILb1ES3_S5_PmPlNS0_8identityIvEEEE10hipError_tT2_T3_mT4_P12ihipStream_tbEUlT_E_NS1_11comp_targetILNS1_3genE4ELNS1_11target_archE910ELNS1_3gpuE8ELNS1_3repE0EEENS1_30default_config_static_selectorELNS0_4arch9wavefront6targetE0EEEvT1_.kd
    .uniform_work_group_size: 1
    .uses_dynamic_stack: false
    .vgpr_count:     0
    .vgpr_spill_count: 0
    .wavefront_size: 32
    .workgroup_processor_mode: 1
  - .args:
      - .offset:         0
        .size:           40
        .value_kind:     by_value
    .group_segment_fixed_size: 0
    .kernarg_segment_align: 8
    .kernarg_segment_size: 40
    .language:       OpenCL C
    .language_version:
      - 2
      - 0
    .max_flat_workgroup_size: 128
    .name:           _ZN7rocprim17ROCPRIM_400000_NS6detail17trampoline_kernelINS0_14default_configENS1_25transform_config_selectorImLb1EEEZNS1_14transform_implILb1ES3_S5_PmPlNS0_8identityIvEEEE10hipError_tT2_T3_mT4_P12ihipStream_tbEUlT_E_NS1_11comp_targetILNS1_3genE3ELNS1_11target_archE908ELNS1_3gpuE7ELNS1_3repE0EEENS1_30default_config_static_selectorELNS0_4arch9wavefront6targetE0EEEvT1_
    .private_segment_fixed_size: 0
    .sgpr_count:     0
    .sgpr_spill_count: 0
    .symbol:         _ZN7rocprim17ROCPRIM_400000_NS6detail17trampoline_kernelINS0_14default_configENS1_25transform_config_selectorImLb1EEEZNS1_14transform_implILb1ES3_S5_PmPlNS0_8identityIvEEEE10hipError_tT2_T3_mT4_P12ihipStream_tbEUlT_E_NS1_11comp_targetILNS1_3genE3ELNS1_11target_archE908ELNS1_3gpuE7ELNS1_3repE0EEENS1_30default_config_static_selectorELNS0_4arch9wavefront6targetE0EEEvT1_.kd
    .uniform_work_group_size: 1
    .uses_dynamic_stack: false
    .vgpr_count:     0
    .vgpr_spill_count: 0
    .wavefront_size: 32
    .workgroup_processor_mode: 1
  - .args:
      - .offset:         0
        .size:           40
        .value_kind:     by_value
    .group_segment_fixed_size: 0
    .kernarg_segment_align: 8
    .kernarg_segment_size: 40
    .language:       OpenCL C
    .language_version:
      - 2
      - 0
    .max_flat_workgroup_size: 512
    .name:           _ZN7rocprim17ROCPRIM_400000_NS6detail17trampoline_kernelINS0_14default_configENS1_25transform_config_selectorImLb1EEEZNS1_14transform_implILb1ES3_S5_PmPlNS0_8identityIvEEEE10hipError_tT2_T3_mT4_P12ihipStream_tbEUlT_E_NS1_11comp_targetILNS1_3genE2ELNS1_11target_archE906ELNS1_3gpuE6ELNS1_3repE0EEENS1_30default_config_static_selectorELNS0_4arch9wavefront6targetE0EEEvT1_
    .private_segment_fixed_size: 0
    .sgpr_count:     0
    .sgpr_spill_count: 0
    .symbol:         _ZN7rocprim17ROCPRIM_400000_NS6detail17trampoline_kernelINS0_14default_configENS1_25transform_config_selectorImLb1EEEZNS1_14transform_implILb1ES3_S5_PmPlNS0_8identityIvEEEE10hipError_tT2_T3_mT4_P12ihipStream_tbEUlT_E_NS1_11comp_targetILNS1_3genE2ELNS1_11target_archE906ELNS1_3gpuE6ELNS1_3repE0EEENS1_30default_config_static_selectorELNS0_4arch9wavefront6targetE0EEEvT1_.kd
    .uniform_work_group_size: 1
    .uses_dynamic_stack: false
    .vgpr_count:     0
    .vgpr_spill_count: 0
    .wavefront_size: 32
    .workgroup_processor_mode: 1
  - .args:
      - .offset:         0
        .size:           40
        .value_kind:     by_value
    .group_segment_fixed_size: 0
    .kernarg_segment_align: 8
    .kernarg_segment_size: 40
    .language:       OpenCL C
    .language_version:
      - 2
      - 0
    .max_flat_workgroup_size: 1024
    .name:           _ZN7rocprim17ROCPRIM_400000_NS6detail17trampoline_kernelINS0_14default_configENS1_25transform_config_selectorImLb1EEEZNS1_14transform_implILb1ES3_S5_PmPlNS0_8identityIvEEEE10hipError_tT2_T3_mT4_P12ihipStream_tbEUlT_E_NS1_11comp_targetILNS1_3genE9ELNS1_11target_archE1100ELNS1_3gpuE3ELNS1_3repE0EEENS1_30default_config_static_selectorELNS0_4arch9wavefront6targetE0EEEvT1_
    .private_segment_fixed_size: 0
    .sgpr_count:     0
    .sgpr_spill_count: 0
    .symbol:         _ZN7rocprim17ROCPRIM_400000_NS6detail17trampoline_kernelINS0_14default_configENS1_25transform_config_selectorImLb1EEEZNS1_14transform_implILb1ES3_S5_PmPlNS0_8identityIvEEEE10hipError_tT2_T3_mT4_P12ihipStream_tbEUlT_E_NS1_11comp_targetILNS1_3genE9ELNS1_11target_archE1100ELNS1_3gpuE3ELNS1_3repE0EEENS1_30default_config_static_selectorELNS0_4arch9wavefront6targetE0EEEvT1_.kd
    .uniform_work_group_size: 1
    .uses_dynamic_stack: false
    .vgpr_count:     0
    .vgpr_spill_count: 0
    .wavefront_size: 32
    .workgroup_processor_mode: 1
  - .args:
      - .offset:         0
        .size:           40
        .value_kind:     by_value
    .group_segment_fixed_size: 0
    .kernarg_segment_align: 8
    .kernarg_segment_size: 40
    .language:       OpenCL C
    .language_version:
      - 2
      - 0
    .max_flat_workgroup_size: 1024
    .name:           _ZN7rocprim17ROCPRIM_400000_NS6detail17trampoline_kernelINS0_14default_configENS1_25transform_config_selectorImLb1EEEZNS1_14transform_implILb1ES3_S5_PmPlNS0_8identityIvEEEE10hipError_tT2_T3_mT4_P12ihipStream_tbEUlT_E_NS1_11comp_targetILNS1_3genE8ELNS1_11target_archE1030ELNS1_3gpuE2ELNS1_3repE0EEENS1_30default_config_static_selectorELNS0_4arch9wavefront6targetE0EEEvT1_
    .private_segment_fixed_size: 0
    .sgpr_count:     0
    .sgpr_spill_count: 0
    .symbol:         _ZN7rocprim17ROCPRIM_400000_NS6detail17trampoline_kernelINS0_14default_configENS1_25transform_config_selectorImLb1EEEZNS1_14transform_implILb1ES3_S5_PmPlNS0_8identityIvEEEE10hipError_tT2_T3_mT4_P12ihipStream_tbEUlT_E_NS1_11comp_targetILNS1_3genE8ELNS1_11target_archE1030ELNS1_3gpuE2ELNS1_3repE0EEENS1_30default_config_static_selectorELNS0_4arch9wavefront6targetE0EEEvT1_.kd
    .uniform_work_group_size: 1
    .uses_dynamic_stack: false
    .vgpr_count:     0
    .vgpr_spill_count: 0
    .wavefront_size: 32
    .workgroup_processor_mode: 1
  - .args:
      - .address_space:  global
        .offset:         0
        .size:           8
        .value_kind:     global_buffer
      - .offset:         8
        .size:           4
        .value_kind:     by_value
      - .address_space:  global
        .offset:         16
        .size:           8
        .value_kind:     global_buffer
      - .offset:         24
        .size:           4
        .value_kind:     by_value
      - .address_space:  global
        .offset:         32
        .size:           8
        .value_kind:     global_buffer
      - .offset:         40
        .size:           4
        .value_kind:     hidden_block_count_x
      - .offset:         44
        .size:           4
        .value_kind:     hidden_block_count_y
      - .offset:         48
        .size:           4
        .value_kind:     hidden_block_count_z
      - .offset:         52
        .size:           2
        .value_kind:     hidden_group_size_x
      - .offset:         54
        .size:           2
        .value_kind:     hidden_group_size_y
      - .offset:         56
        .size:           2
        .value_kind:     hidden_group_size_z
      - .offset:         58
        .size:           2
        .value_kind:     hidden_remainder_x
      - .offset:         60
        .size:           2
        .value_kind:     hidden_remainder_y
      - .offset:         62
        .size:           2
        .value_kind:     hidden_remainder_z
      - .offset:         80
        .size:           8
        .value_kind:     hidden_global_offset_x
      - .offset:         88
        .size:           8
        .value_kind:     hidden_global_offset_y
      - .offset:         96
        .size:           8
        .value_kind:     hidden_global_offset_z
      - .offset:         104
        .size:           2
        .value_kind:     hidden_grid_dims
    .group_segment_fixed_size: 0
    .kernarg_segment_align: 8
    .kernarg_segment_size: 296
    .language:       OpenCL C
    .language_version:
      - 2
      - 0
    .max_flat_workgroup_size: 256
    .name:           _ZN7rocprim17ROCPRIM_400000_NS6detail31init_lookback_scan_state_kernelINS1_19lookback_scan_stateImLb1ELb1EEENS1_16block_id_wrapperIjLb1EEEEEvT_jT0_jPNS7_10value_typeE
    .private_segment_fixed_size: 0
    .sgpr_count:     14
    .sgpr_spill_count: 0
    .symbol:         _ZN7rocprim17ROCPRIM_400000_NS6detail31init_lookback_scan_state_kernelINS1_19lookback_scan_stateImLb1ELb1EEENS1_16block_id_wrapperIjLb1EEEEEvT_jT0_jPNS7_10value_typeE.kd
    .uniform_work_group_size: 1
    .uses_dynamic_stack: false
    .vgpr_count:     8
    .vgpr_spill_count: 0
    .wavefront_size: 32
    .workgroup_processor_mode: 1
  - .args:
      - .offset:         0
        .size:           128
        .value_kind:     by_value
    .group_segment_fixed_size: 0
    .kernarg_segment_align: 8
    .kernarg_segment_size: 128
    .language:       OpenCL C
    .language_version:
      - 2
      - 0
    .max_flat_workgroup_size: 256
    .name:           _ZN7rocprim17ROCPRIM_400000_NS6detail17trampoline_kernelINS0_14default_configENS1_25partition_config_selectorILNS1_17partition_subalgoE6EiNS0_10empty_typeEbEEZZNS1_14partition_implILS5_6ELb0ES3_mN6thrust23THRUST_200600_302600_NS6detail15normal_iteratorINSA_10device_ptrIiEEEEPS6_SG_NS0_5tupleIJSF_S6_EEENSH_IJSG_SG_EEES6_PlJ6is_oddIiEEEE10hipError_tPvRmT3_T4_T5_T6_T7_T9_mT8_P12ihipStream_tbDpT10_ENKUlT_T0_E_clISt17integral_constantIbLb1EES16_EEDaS11_S12_EUlS11_E_NS1_11comp_targetILNS1_3genE0ELNS1_11target_archE4294967295ELNS1_3gpuE0ELNS1_3repE0EEENS1_30default_config_static_selectorELNS0_4arch9wavefront6targetE0EEEvT1_
    .private_segment_fixed_size: 0
    .sgpr_count:     0
    .sgpr_spill_count: 0
    .symbol:         _ZN7rocprim17ROCPRIM_400000_NS6detail17trampoline_kernelINS0_14default_configENS1_25partition_config_selectorILNS1_17partition_subalgoE6EiNS0_10empty_typeEbEEZZNS1_14partition_implILS5_6ELb0ES3_mN6thrust23THRUST_200600_302600_NS6detail15normal_iteratorINSA_10device_ptrIiEEEEPS6_SG_NS0_5tupleIJSF_S6_EEENSH_IJSG_SG_EEES6_PlJ6is_oddIiEEEE10hipError_tPvRmT3_T4_T5_T6_T7_T9_mT8_P12ihipStream_tbDpT10_ENKUlT_T0_E_clISt17integral_constantIbLb1EES16_EEDaS11_S12_EUlS11_E_NS1_11comp_targetILNS1_3genE0ELNS1_11target_archE4294967295ELNS1_3gpuE0ELNS1_3repE0EEENS1_30default_config_static_selectorELNS0_4arch9wavefront6targetE0EEEvT1_.kd
    .uniform_work_group_size: 1
    .uses_dynamic_stack: false
    .vgpr_count:     0
    .vgpr_spill_count: 0
    .wavefront_size: 32
    .workgroup_processor_mode: 1
  - .args:
      - .offset:         0
        .size:           128
        .value_kind:     by_value
    .group_segment_fixed_size: 0
    .kernarg_segment_align: 8
    .kernarg_segment_size: 128
    .language:       OpenCL C
    .language_version:
      - 2
      - 0
    .max_flat_workgroup_size: 512
    .name:           _ZN7rocprim17ROCPRIM_400000_NS6detail17trampoline_kernelINS0_14default_configENS1_25partition_config_selectorILNS1_17partition_subalgoE6EiNS0_10empty_typeEbEEZZNS1_14partition_implILS5_6ELb0ES3_mN6thrust23THRUST_200600_302600_NS6detail15normal_iteratorINSA_10device_ptrIiEEEEPS6_SG_NS0_5tupleIJSF_S6_EEENSH_IJSG_SG_EEES6_PlJ6is_oddIiEEEE10hipError_tPvRmT3_T4_T5_T6_T7_T9_mT8_P12ihipStream_tbDpT10_ENKUlT_T0_E_clISt17integral_constantIbLb1EES16_EEDaS11_S12_EUlS11_E_NS1_11comp_targetILNS1_3genE5ELNS1_11target_archE942ELNS1_3gpuE9ELNS1_3repE0EEENS1_30default_config_static_selectorELNS0_4arch9wavefront6targetE0EEEvT1_
    .private_segment_fixed_size: 0
    .sgpr_count:     0
    .sgpr_spill_count: 0
    .symbol:         _ZN7rocprim17ROCPRIM_400000_NS6detail17trampoline_kernelINS0_14default_configENS1_25partition_config_selectorILNS1_17partition_subalgoE6EiNS0_10empty_typeEbEEZZNS1_14partition_implILS5_6ELb0ES3_mN6thrust23THRUST_200600_302600_NS6detail15normal_iteratorINSA_10device_ptrIiEEEEPS6_SG_NS0_5tupleIJSF_S6_EEENSH_IJSG_SG_EEES6_PlJ6is_oddIiEEEE10hipError_tPvRmT3_T4_T5_T6_T7_T9_mT8_P12ihipStream_tbDpT10_ENKUlT_T0_E_clISt17integral_constantIbLb1EES16_EEDaS11_S12_EUlS11_E_NS1_11comp_targetILNS1_3genE5ELNS1_11target_archE942ELNS1_3gpuE9ELNS1_3repE0EEENS1_30default_config_static_selectorELNS0_4arch9wavefront6targetE0EEEvT1_.kd
    .uniform_work_group_size: 1
    .uses_dynamic_stack: false
    .vgpr_count:     0
    .vgpr_spill_count: 0
    .wavefront_size: 32
    .workgroup_processor_mode: 1
  - .args:
      - .offset:         0
        .size:           128
        .value_kind:     by_value
    .group_segment_fixed_size: 0
    .kernarg_segment_align: 8
    .kernarg_segment_size: 128
    .language:       OpenCL C
    .language_version:
      - 2
      - 0
    .max_flat_workgroup_size: 512
    .name:           _ZN7rocprim17ROCPRIM_400000_NS6detail17trampoline_kernelINS0_14default_configENS1_25partition_config_selectorILNS1_17partition_subalgoE6EiNS0_10empty_typeEbEEZZNS1_14partition_implILS5_6ELb0ES3_mN6thrust23THRUST_200600_302600_NS6detail15normal_iteratorINSA_10device_ptrIiEEEEPS6_SG_NS0_5tupleIJSF_S6_EEENSH_IJSG_SG_EEES6_PlJ6is_oddIiEEEE10hipError_tPvRmT3_T4_T5_T6_T7_T9_mT8_P12ihipStream_tbDpT10_ENKUlT_T0_E_clISt17integral_constantIbLb1EES16_EEDaS11_S12_EUlS11_E_NS1_11comp_targetILNS1_3genE4ELNS1_11target_archE910ELNS1_3gpuE8ELNS1_3repE0EEENS1_30default_config_static_selectorELNS0_4arch9wavefront6targetE0EEEvT1_
    .private_segment_fixed_size: 0
    .sgpr_count:     0
    .sgpr_spill_count: 0
    .symbol:         _ZN7rocprim17ROCPRIM_400000_NS6detail17trampoline_kernelINS0_14default_configENS1_25partition_config_selectorILNS1_17partition_subalgoE6EiNS0_10empty_typeEbEEZZNS1_14partition_implILS5_6ELb0ES3_mN6thrust23THRUST_200600_302600_NS6detail15normal_iteratorINSA_10device_ptrIiEEEEPS6_SG_NS0_5tupleIJSF_S6_EEENSH_IJSG_SG_EEES6_PlJ6is_oddIiEEEE10hipError_tPvRmT3_T4_T5_T6_T7_T9_mT8_P12ihipStream_tbDpT10_ENKUlT_T0_E_clISt17integral_constantIbLb1EES16_EEDaS11_S12_EUlS11_E_NS1_11comp_targetILNS1_3genE4ELNS1_11target_archE910ELNS1_3gpuE8ELNS1_3repE0EEENS1_30default_config_static_selectorELNS0_4arch9wavefront6targetE0EEEvT1_.kd
    .uniform_work_group_size: 1
    .uses_dynamic_stack: false
    .vgpr_count:     0
    .vgpr_spill_count: 0
    .wavefront_size: 32
    .workgroup_processor_mode: 1
  - .args:
      - .offset:         0
        .size:           128
        .value_kind:     by_value
    .group_segment_fixed_size: 0
    .kernarg_segment_align: 8
    .kernarg_segment_size: 128
    .language:       OpenCL C
    .language_version:
      - 2
      - 0
    .max_flat_workgroup_size: 256
    .name:           _ZN7rocprim17ROCPRIM_400000_NS6detail17trampoline_kernelINS0_14default_configENS1_25partition_config_selectorILNS1_17partition_subalgoE6EiNS0_10empty_typeEbEEZZNS1_14partition_implILS5_6ELb0ES3_mN6thrust23THRUST_200600_302600_NS6detail15normal_iteratorINSA_10device_ptrIiEEEEPS6_SG_NS0_5tupleIJSF_S6_EEENSH_IJSG_SG_EEES6_PlJ6is_oddIiEEEE10hipError_tPvRmT3_T4_T5_T6_T7_T9_mT8_P12ihipStream_tbDpT10_ENKUlT_T0_E_clISt17integral_constantIbLb1EES16_EEDaS11_S12_EUlS11_E_NS1_11comp_targetILNS1_3genE3ELNS1_11target_archE908ELNS1_3gpuE7ELNS1_3repE0EEENS1_30default_config_static_selectorELNS0_4arch9wavefront6targetE0EEEvT1_
    .private_segment_fixed_size: 0
    .sgpr_count:     0
    .sgpr_spill_count: 0
    .symbol:         _ZN7rocprim17ROCPRIM_400000_NS6detail17trampoline_kernelINS0_14default_configENS1_25partition_config_selectorILNS1_17partition_subalgoE6EiNS0_10empty_typeEbEEZZNS1_14partition_implILS5_6ELb0ES3_mN6thrust23THRUST_200600_302600_NS6detail15normal_iteratorINSA_10device_ptrIiEEEEPS6_SG_NS0_5tupleIJSF_S6_EEENSH_IJSG_SG_EEES6_PlJ6is_oddIiEEEE10hipError_tPvRmT3_T4_T5_T6_T7_T9_mT8_P12ihipStream_tbDpT10_ENKUlT_T0_E_clISt17integral_constantIbLb1EES16_EEDaS11_S12_EUlS11_E_NS1_11comp_targetILNS1_3genE3ELNS1_11target_archE908ELNS1_3gpuE7ELNS1_3repE0EEENS1_30default_config_static_selectorELNS0_4arch9wavefront6targetE0EEEvT1_.kd
    .uniform_work_group_size: 1
    .uses_dynamic_stack: false
    .vgpr_count:     0
    .vgpr_spill_count: 0
    .wavefront_size: 32
    .workgroup_processor_mode: 1
  - .args:
      - .offset:         0
        .size:           128
        .value_kind:     by_value
    .group_segment_fixed_size: 0
    .kernarg_segment_align: 8
    .kernarg_segment_size: 128
    .language:       OpenCL C
    .language_version:
      - 2
      - 0
    .max_flat_workgroup_size: 192
    .name:           _ZN7rocprim17ROCPRIM_400000_NS6detail17trampoline_kernelINS0_14default_configENS1_25partition_config_selectorILNS1_17partition_subalgoE6EiNS0_10empty_typeEbEEZZNS1_14partition_implILS5_6ELb0ES3_mN6thrust23THRUST_200600_302600_NS6detail15normal_iteratorINSA_10device_ptrIiEEEEPS6_SG_NS0_5tupleIJSF_S6_EEENSH_IJSG_SG_EEES6_PlJ6is_oddIiEEEE10hipError_tPvRmT3_T4_T5_T6_T7_T9_mT8_P12ihipStream_tbDpT10_ENKUlT_T0_E_clISt17integral_constantIbLb1EES16_EEDaS11_S12_EUlS11_E_NS1_11comp_targetILNS1_3genE2ELNS1_11target_archE906ELNS1_3gpuE6ELNS1_3repE0EEENS1_30default_config_static_selectorELNS0_4arch9wavefront6targetE0EEEvT1_
    .private_segment_fixed_size: 0
    .sgpr_count:     0
    .sgpr_spill_count: 0
    .symbol:         _ZN7rocprim17ROCPRIM_400000_NS6detail17trampoline_kernelINS0_14default_configENS1_25partition_config_selectorILNS1_17partition_subalgoE6EiNS0_10empty_typeEbEEZZNS1_14partition_implILS5_6ELb0ES3_mN6thrust23THRUST_200600_302600_NS6detail15normal_iteratorINSA_10device_ptrIiEEEEPS6_SG_NS0_5tupleIJSF_S6_EEENSH_IJSG_SG_EEES6_PlJ6is_oddIiEEEE10hipError_tPvRmT3_T4_T5_T6_T7_T9_mT8_P12ihipStream_tbDpT10_ENKUlT_T0_E_clISt17integral_constantIbLb1EES16_EEDaS11_S12_EUlS11_E_NS1_11comp_targetILNS1_3genE2ELNS1_11target_archE906ELNS1_3gpuE6ELNS1_3repE0EEENS1_30default_config_static_selectorELNS0_4arch9wavefront6targetE0EEEvT1_.kd
    .uniform_work_group_size: 1
    .uses_dynamic_stack: false
    .vgpr_count:     0
    .vgpr_spill_count: 0
    .wavefront_size: 32
    .workgroup_processor_mode: 1
  - .args:
      - .offset:         0
        .size:           128
        .value_kind:     by_value
    .group_segment_fixed_size: 0
    .kernarg_segment_align: 8
    .kernarg_segment_size: 128
    .language:       OpenCL C
    .language_version:
      - 2
      - 0
    .max_flat_workgroup_size: 384
    .name:           _ZN7rocprim17ROCPRIM_400000_NS6detail17trampoline_kernelINS0_14default_configENS1_25partition_config_selectorILNS1_17partition_subalgoE6EiNS0_10empty_typeEbEEZZNS1_14partition_implILS5_6ELb0ES3_mN6thrust23THRUST_200600_302600_NS6detail15normal_iteratorINSA_10device_ptrIiEEEEPS6_SG_NS0_5tupleIJSF_S6_EEENSH_IJSG_SG_EEES6_PlJ6is_oddIiEEEE10hipError_tPvRmT3_T4_T5_T6_T7_T9_mT8_P12ihipStream_tbDpT10_ENKUlT_T0_E_clISt17integral_constantIbLb1EES16_EEDaS11_S12_EUlS11_E_NS1_11comp_targetILNS1_3genE10ELNS1_11target_archE1200ELNS1_3gpuE4ELNS1_3repE0EEENS1_30default_config_static_selectorELNS0_4arch9wavefront6targetE0EEEvT1_
    .private_segment_fixed_size: 0
    .sgpr_count:     0
    .sgpr_spill_count: 0
    .symbol:         _ZN7rocprim17ROCPRIM_400000_NS6detail17trampoline_kernelINS0_14default_configENS1_25partition_config_selectorILNS1_17partition_subalgoE6EiNS0_10empty_typeEbEEZZNS1_14partition_implILS5_6ELb0ES3_mN6thrust23THRUST_200600_302600_NS6detail15normal_iteratorINSA_10device_ptrIiEEEEPS6_SG_NS0_5tupleIJSF_S6_EEENSH_IJSG_SG_EEES6_PlJ6is_oddIiEEEE10hipError_tPvRmT3_T4_T5_T6_T7_T9_mT8_P12ihipStream_tbDpT10_ENKUlT_T0_E_clISt17integral_constantIbLb1EES16_EEDaS11_S12_EUlS11_E_NS1_11comp_targetILNS1_3genE10ELNS1_11target_archE1200ELNS1_3gpuE4ELNS1_3repE0EEENS1_30default_config_static_selectorELNS0_4arch9wavefront6targetE0EEEvT1_.kd
    .uniform_work_group_size: 1
    .uses_dynamic_stack: false
    .vgpr_count:     0
    .vgpr_spill_count: 0
    .wavefront_size: 32
    .workgroup_processor_mode: 1
  - .args:
      - .offset:         0
        .size:           128
        .value_kind:     by_value
    .group_segment_fixed_size: 0
    .kernarg_segment_align: 8
    .kernarg_segment_size: 128
    .language:       OpenCL C
    .language_version:
      - 2
      - 0
    .max_flat_workgroup_size: 128
    .name:           _ZN7rocprim17ROCPRIM_400000_NS6detail17trampoline_kernelINS0_14default_configENS1_25partition_config_selectorILNS1_17partition_subalgoE6EiNS0_10empty_typeEbEEZZNS1_14partition_implILS5_6ELb0ES3_mN6thrust23THRUST_200600_302600_NS6detail15normal_iteratorINSA_10device_ptrIiEEEEPS6_SG_NS0_5tupleIJSF_S6_EEENSH_IJSG_SG_EEES6_PlJ6is_oddIiEEEE10hipError_tPvRmT3_T4_T5_T6_T7_T9_mT8_P12ihipStream_tbDpT10_ENKUlT_T0_E_clISt17integral_constantIbLb1EES16_EEDaS11_S12_EUlS11_E_NS1_11comp_targetILNS1_3genE9ELNS1_11target_archE1100ELNS1_3gpuE3ELNS1_3repE0EEENS1_30default_config_static_selectorELNS0_4arch9wavefront6targetE0EEEvT1_
    .private_segment_fixed_size: 0
    .sgpr_count:     0
    .sgpr_spill_count: 0
    .symbol:         _ZN7rocprim17ROCPRIM_400000_NS6detail17trampoline_kernelINS0_14default_configENS1_25partition_config_selectorILNS1_17partition_subalgoE6EiNS0_10empty_typeEbEEZZNS1_14partition_implILS5_6ELb0ES3_mN6thrust23THRUST_200600_302600_NS6detail15normal_iteratorINSA_10device_ptrIiEEEEPS6_SG_NS0_5tupleIJSF_S6_EEENSH_IJSG_SG_EEES6_PlJ6is_oddIiEEEE10hipError_tPvRmT3_T4_T5_T6_T7_T9_mT8_P12ihipStream_tbDpT10_ENKUlT_T0_E_clISt17integral_constantIbLb1EES16_EEDaS11_S12_EUlS11_E_NS1_11comp_targetILNS1_3genE9ELNS1_11target_archE1100ELNS1_3gpuE3ELNS1_3repE0EEENS1_30default_config_static_selectorELNS0_4arch9wavefront6targetE0EEEvT1_.kd
    .uniform_work_group_size: 1
    .uses_dynamic_stack: false
    .vgpr_count:     0
    .vgpr_spill_count: 0
    .wavefront_size: 32
    .workgroup_processor_mode: 1
  - .args:
      - .offset:         0
        .size:           128
        .value_kind:     by_value
    .group_segment_fixed_size: 0
    .kernarg_segment_align: 8
    .kernarg_segment_size: 128
    .language:       OpenCL C
    .language_version:
      - 2
      - 0
    .max_flat_workgroup_size: 512
    .name:           _ZN7rocprim17ROCPRIM_400000_NS6detail17trampoline_kernelINS0_14default_configENS1_25partition_config_selectorILNS1_17partition_subalgoE6EiNS0_10empty_typeEbEEZZNS1_14partition_implILS5_6ELb0ES3_mN6thrust23THRUST_200600_302600_NS6detail15normal_iteratorINSA_10device_ptrIiEEEEPS6_SG_NS0_5tupleIJSF_S6_EEENSH_IJSG_SG_EEES6_PlJ6is_oddIiEEEE10hipError_tPvRmT3_T4_T5_T6_T7_T9_mT8_P12ihipStream_tbDpT10_ENKUlT_T0_E_clISt17integral_constantIbLb1EES16_EEDaS11_S12_EUlS11_E_NS1_11comp_targetILNS1_3genE8ELNS1_11target_archE1030ELNS1_3gpuE2ELNS1_3repE0EEENS1_30default_config_static_selectorELNS0_4arch9wavefront6targetE0EEEvT1_
    .private_segment_fixed_size: 0
    .sgpr_count:     0
    .sgpr_spill_count: 0
    .symbol:         _ZN7rocprim17ROCPRIM_400000_NS6detail17trampoline_kernelINS0_14default_configENS1_25partition_config_selectorILNS1_17partition_subalgoE6EiNS0_10empty_typeEbEEZZNS1_14partition_implILS5_6ELb0ES3_mN6thrust23THRUST_200600_302600_NS6detail15normal_iteratorINSA_10device_ptrIiEEEEPS6_SG_NS0_5tupleIJSF_S6_EEENSH_IJSG_SG_EEES6_PlJ6is_oddIiEEEE10hipError_tPvRmT3_T4_T5_T6_T7_T9_mT8_P12ihipStream_tbDpT10_ENKUlT_T0_E_clISt17integral_constantIbLb1EES16_EEDaS11_S12_EUlS11_E_NS1_11comp_targetILNS1_3genE8ELNS1_11target_archE1030ELNS1_3gpuE2ELNS1_3repE0EEENS1_30default_config_static_selectorELNS0_4arch9wavefront6targetE0EEEvT1_.kd
    .uniform_work_group_size: 1
    .uses_dynamic_stack: false
    .vgpr_count:     0
    .vgpr_spill_count: 0
    .wavefront_size: 32
    .workgroup_processor_mode: 1
  - .args:
      - .address_space:  global
        .offset:         0
        .size:           8
        .value_kind:     global_buffer
      - .offset:         8
        .size:           4
        .value_kind:     by_value
      - .offset:         12
        .size:           1
        .value_kind:     by_value
      - .offset:         16
        .size:           4
        .value_kind:     by_value
      - .address_space:  global
        .offset:         24
        .size:           8
        .value_kind:     global_buffer
      - .offset:         32
        .size:           4
        .value_kind:     hidden_block_count_x
      - .offset:         36
        .size:           4
        .value_kind:     hidden_block_count_y
      - .offset:         40
        .size:           4
        .value_kind:     hidden_block_count_z
      - .offset:         44
        .size:           2
        .value_kind:     hidden_group_size_x
      - .offset:         46
        .size:           2
        .value_kind:     hidden_group_size_y
      - .offset:         48
        .size:           2
        .value_kind:     hidden_group_size_z
      - .offset:         50
        .size:           2
        .value_kind:     hidden_remainder_x
      - .offset:         52
        .size:           2
        .value_kind:     hidden_remainder_y
      - .offset:         54
        .size:           2
        .value_kind:     hidden_remainder_z
      - .offset:         72
        .size:           8
        .value_kind:     hidden_global_offset_x
      - .offset:         80
        .size:           8
        .value_kind:     hidden_global_offset_y
      - .offset:         88
        .size:           8
        .value_kind:     hidden_global_offset_z
      - .offset:         96
        .size:           2
        .value_kind:     hidden_grid_dims
    .group_segment_fixed_size: 0
    .kernarg_segment_align: 8
    .kernarg_segment_size: 288
    .language:       OpenCL C
    .language_version:
      - 2
      - 0
    .max_flat_workgroup_size: 256
    .name:           _ZN7rocprim17ROCPRIM_400000_NS6detail31init_lookback_scan_state_kernelINS1_19lookback_scan_stateImLb1ELb1EEENS1_16block_id_wrapperIjLb0EEEEEvT_jT0_jPNS7_10value_typeE
    .private_segment_fixed_size: 0
    .sgpr_count:     12
    .sgpr_spill_count: 0
    .symbol:         _ZN7rocprim17ROCPRIM_400000_NS6detail31init_lookback_scan_state_kernelINS1_19lookback_scan_stateImLb1ELb1EEENS1_16block_id_wrapperIjLb0EEEEEvT_jT0_jPNS7_10value_typeE.kd
    .uniform_work_group_size: 1
    .uses_dynamic_stack: false
    .vgpr_count:     8
    .vgpr_spill_count: 0
    .wavefront_size: 32
    .workgroup_processor_mode: 1
  - .args:
      - .offset:         0
        .size:           112
        .value_kind:     by_value
    .group_segment_fixed_size: 0
    .kernarg_segment_align: 8
    .kernarg_segment_size: 112
    .language:       OpenCL C
    .language_version:
      - 2
      - 0
    .max_flat_workgroup_size: 256
    .name:           _ZN7rocprim17ROCPRIM_400000_NS6detail17trampoline_kernelINS0_14default_configENS1_25partition_config_selectorILNS1_17partition_subalgoE6EiNS0_10empty_typeEbEEZZNS1_14partition_implILS5_6ELb0ES3_mN6thrust23THRUST_200600_302600_NS6detail15normal_iteratorINSA_10device_ptrIiEEEEPS6_SG_NS0_5tupleIJSF_S6_EEENSH_IJSG_SG_EEES6_PlJ6is_oddIiEEEE10hipError_tPvRmT3_T4_T5_T6_T7_T9_mT8_P12ihipStream_tbDpT10_ENKUlT_T0_E_clISt17integral_constantIbLb1EES15_IbLb0EEEEDaS11_S12_EUlS11_E_NS1_11comp_targetILNS1_3genE0ELNS1_11target_archE4294967295ELNS1_3gpuE0ELNS1_3repE0EEENS1_30default_config_static_selectorELNS0_4arch9wavefront6targetE0EEEvT1_
    .private_segment_fixed_size: 0
    .sgpr_count:     0
    .sgpr_spill_count: 0
    .symbol:         _ZN7rocprim17ROCPRIM_400000_NS6detail17trampoline_kernelINS0_14default_configENS1_25partition_config_selectorILNS1_17partition_subalgoE6EiNS0_10empty_typeEbEEZZNS1_14partition_implILS5_6ELb0ES3_mN6thrust23THRUST_200600_302600_NS6detail15normal_iteratorINSA_10device_ptrIiEEEEPS6_SG_NS0_5tupleIJSF_S6_EEENSH_IJSG_SG_EEES6_PlJ6is_oddIiEEEE10hipError_tPvRmT3_T4_T5_T6_T7_T9_mT8_P12ihipStream_tbDpT10_ENKUlT_T0_E_clISt17integral_constantIbLb1EES15_IbLb0EEEEDaS11_S12_EUlS11_E_NS1_11comp_targetILNS1_3genE0ELNS1_11target_archE4294967295ELNS1_3gpuE0ELNS1_3repE0EEENS1_30default_config_static_selectorELNS0_4arch9wavefront6targetE0EEEvT1_.kd
    .uniform_work_group_size: 1
    .uses_dynamic_stack: false
    .vgpr_count:     0
    .vgpr_spill_count: 0
    .wavefront_size: 32
    .workgroup_processor_mode: 1
  - .args:
      - .offset:         0
        .size:           112
        .value_kind:     by_value
    .group_segment_fixed_size: 0
    .kernarg_segment_align: 8
    .kernarg_segment_size: 112
    .language:       OpenCL C
    .language_version:
      - 2
      - 0
    .max_flat_workgroup_size: 512
    .name:           _ZN7rocprim17ROCPRIM_400000_NS6detail17trampoline_kernelINS0_14default_configENS1_25partition_config_selectorILNS1_17partition_subalgoE6EiNS0_10empty_typeEbEEZZNS1_14partition_implILS5_6ELb0ES3_mN6thrust23THRUST_200600_302600_NS6detail15normal_iteratorINSA_10device_ptrIiEEEEPS6_SG_NS0_5tupleIJSF_S6_EEENSH_IJSG_SG_EEES6_PlJ6is_oddIiEEEE10hipError_tPvRmT3_T4_T5_T6_T7_T9_mT8_P12ihipStream_tbDpT10_ENKUlT_T0_E_clISt17integral_constantIbLb1EES15_IbLb0EEEEDaS11_S12_EUlS11_E_NS1_11comp_targetILNS1_3genE5ELNS1_11target_archE942ELNS1_3gpuE9ELNS1_3repE0EEENS1_30default_config_static_selectorELNS0_4arch9wavefront6targetE0EEEvT1_
    .private_segment_fixed_size: 0
    .sgpr_count:     0
    .sgpr_spill_count: 0
    .symbol:         _ZN7rocprim17ROCPRIM_400000_NS6detail17trampoline_kernelINS0_14default_configENS1_25partition_config_selectorILNS1_17partition_subalgoE6EiNS0_10empty_typeEbEEZZNS1_14partition_implILS5_6ELb0ES3_mN6thrust23THRUST_200600_302600_NS6detail15normal_iteratorINSA_10device_ptrIiEEEEPS6_SG_NS0_5tupleIJSF_S6_EEENSH_IJSG_SG_EEES6_PlJ6is_oddIiEEEE10hipError_tPvRmT3_T4_T5_T6_T7_T9_mT8_P12ihipStream_tbDpT10_ENKUlT_T0_E_clISt17integral_constantIbLb1EES15_IbLb0EEEEDaS11_S12_EUlS11_E_NS1_11comp_targetILNS1_3genE5ELNS1_11target_archE942ELNS1_3gpuE9ELNS1_3repE0EEENS1_30default_config_static_selectorELNS0_4arch9wavefront6targetE0EEEvT1_.kd
    .uniform_work_group_size: 1
    .uses_dynamic_stack: false
    .vgpr_count:     0
    .vgpr_spill_count: 0
    .wavefront_size: 32
    .workgroup_processor_mode: 1
  - .args:
      - .offset:         0
        .size:           112
        .value_kind:     by_value
    .group_segment_fixed_size: 0
    .kernarg_segment_align: 8
    .kernarg_segment_size: 112
    .language:       OpenCL C
    .language_version:
      - 2
      - 0
    .max_flat_workgroup_size: 512
    .name:           _ZN7rocprim17ROCPRIM_400000_NS6detail17trampoline_kernelINS0_14default_configENS1_25partition_config_selectorILNS1_17partition_subalgoE6EiNS0_10empty_typeEbEEZZNS1_14partition_implILS5_6ELb0ES3_mN6thrust23THRUST_200600_302600_NS6detail15normal_iteratorINSA_10device_ptrIiEEEEPS6_SG_NS0_5tupleIJSF_S6_EEENSH_IJSG_SG_EEES6_PlJ6is_oddIiEEEE10hipError_tPvRmT3_T4_T5_T6_T7_T9_mT8_P12ihipStream_tbDpT10_ENKUlT_T0_E_clISt17integral_constantIbLb1EES15_IbLb0EEEEDaS11_S12_EUlS11_E_NS1_11comp_targetILNS1_3genE4ELNS1_11target_archE910ELNS1_3gpuE8ELNS1_3repE0EEENS1_30default_config_static_selectorELNS0_4arch9wavefront6targetE0EEEvT1_
    .private_segment_fixed_size: 0
    .sgpr_count:     0
    .sgpr_spill_count: 0
    .symbol:         _ZN7rocprim17ROCPRIM_400000_NS6detail17trampoline_kernelINS0_14default_configENS1_25partition_config_selectorILNS1_17partition_subalgoE6EiNS0_10empty_typeEbEEZZNS1_14partition_implILS5_6ELb0ES3_mN6thrust23THRUST_200600_302600_NS6detail15normal_iteratorINSA_10device_ptrIiEEEEPS6_SG_NS0_5tupleIJSF_S6_EEENSH_IJSG_SG_EEES6_PlJ6is_oddIiEEEE10hipError_tPvRmT3_T4_T5_T6_T7_T9_mT8_P12ihipStream_tbDpT10_ENKUlT_T0_E_clISt17integral_constantIbLb1EES15_IbLb0EEEEDaS11_S12_EUlS11_E_NS1_11comp_targetILNS1_3genE4ELNS1_11target_archE910ELNS1_3gpuE8ELNS1_3repE0EEENS1_30default_config_static_selectorELNS0_4arch9wavefront6targetE0EEEvT1_.kd
    .uniform_work_group_size: 1
    .uses_dynamic_stack: false
    .vgpr_count:     0
    .vgpr_spill_count: 0
    .wavefront_size: 32
    .workgroup_processor_mode: 1
  - .args:
      - .offset:         0
        .size:           112
        .value_kind:     by_value
    .group_segment_fixed_size: 0
    .kernarg_segment_align: 8
    .kernarg_segment_size: 112
    .language:       OpenCL C
    .language_version:
      - 2
      - 0
    .max_flat_workgroup_size: 256
    .name:           _ZN7rocprim17ROCPRIM_400000_NS6detail17trampoline_kernelINS0_14default_configENS1_25partition_config_selectorILNS1_17partition_subalgoE6EiNS0_10empty_typeEbEEZZNS1_14partition_implILS5_6ELb0ES3_mN6thrust23THRUST_200600_302600_NS6detail15normal_iteratorINSA_10device_ptrIiEEEEPS6_SG_NS0_5tupleIJSF_S6_EEENSH_IJSG_SG_EEES6_PlJ6is_oddIiEEEE10hipError_tPvRmT3_T4_T5_T6_T7_T9_mT8_P12ihipStream_tbDpT10_ENKUlT_T0_E_clISt17integral_constantIbLb1EES15_IbLb0EEEEDaS11_S12_EUlS11_E_NS1_11comp_targetILNS1_3genE3ELNS1_11target_archE908ELNS1_3gpuE7ELNS1_3repE0EEENS1_30default_config_static_selectorELNS0_4arch9wavefront6targetE0EEEvT1_
    .private_segment_fixed_size: 0
    .sgpr_count:     0
    .sgpr_spill_count: 0
    .symbol:         _ZN7rocprim17ROCPRIM_400000_NS6detail17trampoline_kernelINS0_14default_configENS1_25partition_config_selectorILNS1_17partition_subalgoE6EiNS0_10empty_typeEbEEZZNS1_14partition_implILS5_6ELb0ES3_mN6thrust23THRUST_200600_302600_NS6detail15normal_iteratorINSA_10device_ptrIiEEEEPS6_SG_NS0_5tupleIJSF_S6_EEENSH_IJSG_SG_EEES6_PlJ6is_oddIiEEEE10hipError_tPvRmT3_T4_T5_T6_T7_T9_mT8_P12ihipStream_tbDpT10_ENKUlT_T0_E_clISt17integral_constantIbLb1EES15_IbLb0EEEEDaS11_S12_EUlS11_E_NS1_11comp_targetILNS1_3genE3ELNS1_11target_archE908ELNS1_3gpuE7ELNS1_3repE0EEENS1_30default_config_static_selectorELNS0_4arch9wavefront6targetE0EEEvT1_.kd
    .uniform_work_group_size: 1
    .uses_dynamic_stack: false
    .vgpr_count:     0
    .vgpr_spill_count: 0
    .wavefront_size: 32
    .workgroup_processor_mode: 1
  - .args:
      - .offset:         0
        .size:           112
        .value_kind:     by_value
    .group_segment_fixed_size: 0
    .kernarg_segment_align: 8
    .kernarg_segment_size: 112
    .language:       OpenCL C
    .language_version:
      - 2
      - 0
    .max_flat_workgroup_size: 192
    .name:           _ZN7rocprim17ROCPRIM_400000_NS6detail17trampoline_kernelINS0_14default_configENS1_25partition_config_selectorILNS1_17partition_subalgoE6EiNS0_10empty_typeEbEEZZNS1_14partition_implILS5_6ELb0ES3_mN6thrust23THRUST_200600_302600_NS6detail15normal_iteratorINSA_10device_ptrIiEEEEPS6_SG_NS0_5tupleIJSF_S6_EEENSH_IJSG_SG_EEES6_PlJ6is_oddIiEEEE10hipError_tPvRmT3_T4_T5_T6_T7_T9_mT8_P12ihipStream_tbDpT10_ENKUlT_T0_E_clISt17integral_constantIbLb1EES15_IbLb0EEEEDaS11_S12_EUlS11_E_NS1_11comp_targetILNS1_3genE2ELNS1_11target_archE906ELNS1_3gpuE6ELNS1_3repE0EEENS1_30default_config_static_selectorELNS0_4arch9wavefront6targetE0EEEvT1_
    .private_segment_fixed_size: 0
    .sgpr_count:     0
    .sgpr_spill_count: 0
    .symbol:         _ZN7rocprim17ROCPRIM_400000_NS6detail17trampoline_kernelINS0_14default_configENS1_25partition_config_selectorILNS1_17partition_subalgoE6EiNS0_10empty_typeEbEEZZNS1_14partition_implILS5_6ELb0ES3_mN6thrust23THRUST_200600_302600_NS6detail15normal_iteratorINSA_10device_ptrIiEEEEPS6_SG_NS0_5tupleIJSF_S6_EEENSH_IJSG_SG_EEES6_PlJ6is_oddIiEEEE10hipError_tPvRmT3_T4_T5_T6_T7_T9_mT8_P12ihipStream_tbDpT10_ENKUlT_T0_E_clISt17integral_constantIbLb1EES15_IbLb0EEEEDaS11_S12_EUlS11_E_NS1_11comp_targetILNS1_3genE2ELNS1_11target_archE906ELNS1_3gpuE6ELNS1_3repE0EEENS1_30default_config_static_selectorELNS0_4arch9wavefront6targetE0EEEvT1_.kd
    .uniform_work_group_size: 1
    .uses_dynamic_stack: false
    .vgpr_count:     0
    .vgpr_spill_count: 0
    .wavefront_size: 32
    .workgroup_processor_mode: 1
  - .args:
      - .offset:         0
        .size:           112
        .value_kind:     by_value
    .group_segment_fixed_size: 0
    .kernarg_segment_align: 8
    .kernarg_segment_size: 112
    .language:       OpenCL C
    .language_version:
      - 2
      - 0
    .max_flat_workgroup_size: 384
    .name:           _ZN7rocprim17ROCPRIM_400000_NS6detail17trampoline_kernelINS0_14default_configENS1_25partition_config_selectorILNS1_17partition_subalgoE6EiNS0_10empty_typeEbEEZZNS1_14partition_implILS5_6ELb0ES3_mN6thrust23THRUST_200600_302600_NS6detail15normal_iteratorINSA_10device_ptrIiEEEEPS6_SG_NS0_5tupleIJSF_S6_EEENSH_IJSG_SG_EEES6_PlJ6is_oddIiEEEE10hipError_tPvRmT3_T4_T5_T6_T7_T9_mT8_P12ihipStream_tbDpT10_ENKUlT_T0_E_clISt17integral_constantIbLb1EES15_IbLb0EEEEDaS11_S12_EUlS11_E_NS1_11comp_targetILNS1_3genE10ELNS1_11target_archE1200ELNS1_3gpuE4ELNS1_3repE0EEENS1_30default_config_static_selectorELNS0_4arch9wavefront6targetE0EEEvT1_
    .private_segment_fixed_size: 0
    .sgpr_count:     0
    .sgpr_spill_count: 0
    .symbol:         _ZN7rocprim17ROCPRIM_400000_NS6detail17trampoline_kernelINS0_14default_configENS1_25partition_config_selectorILNS1_17partition_subalgoE6EiNS0_10empty_typeEbEEZZNS1_14partition_implILS5_6ELb0ES3_mN6thrust23THRUST_200600_302600_NS6detail15normal_iteratorINSA_10device_ptrIiEEEEPS6_SG_NS0_5tupleIJSF_S6_EEENSH_IJSG_SG_EEES6_PlJ6is_oddIiEEEE10hipError_tPvRmT3_T4_T5_T6_T7_T9_mT8_P12ihipStream_tbDpT10_ENKUlT_T0_E_clISt17integral_constantIbLb1EES15_IbLb0EEEEDaS11_S12_EUlS11_E_NS1_11comp_targetILNS1_3genE10ELNS1_11target_archE1200ELNS1_3gpuE4ELNS1_3repE0EEENS1_30default_config_static_selectorELNS0_4arch9wavefront6targetE0EEEvT1_.kd
    .uniform_work_group_size: 1
    .uses_dynamic_stack: false
    .vgpr_count:     0
    .vgpr_spill_count: 0
    .wavefront_size: 32
    .workgroup_processor_mode: 1
  - .args:
      - .offset:         0
        .size:           112
        .value_kind:     by_value
    .group_segment_fixed_size: 0
    .kernarg_segment_align: 8
    .kernarg_segment_size: 112
    .language:       OpenCL C
    .language_version:
      - 2
      - 0
    .max_flat_workgroup_size: 128
    .name:           _ZN7rocprim17ROCPRIM_400000_NS6detail17trampoline_kernelINS0_14default_configENS1_25partition_config_selectorILNS1_17partition_subalgoE6EiNS0_10empty_typeEbEEZZNS1_14partition_implILS5_6ELb0ES3_mN6thrust23THRUST_200600_302600_NS6detail15normal_iteratorINSA_10device_ptrIiEEEEPS6_SG_NS0_5tupleIJSF_S6_EEENSH_IJSG_SG_EEES6_PlJ6is_oddIiEEEE10hipError_tPvRmT3_T4_T5_T6_T7_T9_mT8_P12ihipStream_tbDpT10_ENKUlT_T0_E_clISt17integral_constantIbLb1EES15_IbLb0EEEEDaS11_S12_EUlS11_E_NS1_11comp_targetILNS1_3genE9ELNS1_11target_archE1100ELNS1_3gpuE3ELNS1_3repE0EEENS1_30default_config_static_selectorELNS0_4arch9wavefront6targetE0EEEvT1_
    .private_segment_fixed_size: 0
    .sgpr_count:     0
    .sgpr_spill_count: 0
    .symbol:         _ZN7rocprim17ROCPRIM_400000_NS6detail17trampoline_kernelINS0_14default_configENS1_25partition_config_selectorILNS1_17partition_subalgoE6EiNS0_10empty_typeEbEEZZNS1_14partition_implILS5_6ELb0ES3_mN6thrust23THRUST_200600_302600_NS6detail15normal_iteratorINSA_10device_ptrIiEEEEPS6_SG_NS0_5tupleIJSF_S6_EEENSH_IJSG_SG_EEES6_PlJ6is_oddIiEEEE10hipError_tPvRmT3_T4_T5_T6_T7_T9_mT8_P12ihipStream_tbDpT10_ENKUlT_T0_E_clISt17integral_constantIbLb1EES15_IbLb0EEEEDaS11_S12_EUlS11_E_NS1_11comp_targetILNS1_3genE9ELNS1_11target_archE1100ELNS1_3gpuE3ELNS1_3repE0EEENS1_30default_config_static_selectorELNS0_4arch9wavefront6targetE0EEEvT1_.kd
    .uniform_work_group_size: 1
    .uses_dynamic_stack: false
    .vgpr_count:     0
    .vgpr_spill_count: 0
    .wavefront_size: 32
    .workgroup_processor_mode: 1
  - .args:
      - .offset:         0
        .size:           112
        .value_kind:     by_value
    .group_segment_fixed_size: 0
    .kernarg_segment_align: 8
    .kernarg_segment_size: 112
    .language:       OpenCL C
    .language_version:
      - 2
      - 0
    .max_flat_workgroup_size: 512
    .name:           _ZN7rocprim17ROCPRIM_400000_NS6detail17trampoline_kernelINS0_14default_configENS1_25partition_config_selectorILNS1_17partition_subalgoE6EiNS0_10empty_typeEbEEZZNS1_14partition_implILS5_6ELb0ES3_mN6thrust23THRUST_200600_302600_NS6detail15normal_iteratorINSA_10device_ptrIiEEEEPS6_SG_NS0_5tupleIJSF_S6_EEENSH_IJSG_SG_EEES6_PlJ6is_oddIiEEEE10hipError_tPvRmT3_T4_T5_T6_T7_T9_mT8_P12ihipStream_tbDpT10_ENKUlT_T0_E_clISt17integral_constantIbLb1EES15_IbLb0EEEEDaS11_S12_EUlS11_E_NS1_11comp_targetILNS1_3genE8ELNS1_11target_archE1030ELNS1_3gpuE2ELNS1_3repE0EEENS1_30default_config_static_selectorELNS0_4arch9wavefront6targetE0EEEvT1_
    .private_segment_fixed_size: 0
    .sgpr_count:     0
    .sgpr_spill_count: 0
    .symbol:         _ZN7rocprim17ROCPRIM_400000_NS6detail17trampoline_kernelINS0_14default_configENS1_25partition_config_selectorILNS1_17partition_subalgoE6EiNS0_10empty_typeEbEEZZNS1_14partition_implILS5_6ELb0ES3_mN6thrust23THRUST_200600_302600_NS6detail15normal_iteratorINSA_10device_ptrIiEEEEPS6_SG_NS0_5tupleIJSF_S6_EEENSH_IJSG_SG_EEES6_PlJ6is_oddIiEEEE10hipError_tPvRmT3_T4_T5_T6_T7_T9_mT8_P12ihipStream_tbDpT10_ENKUlT_T0_E_clISt17integral_constantIbLb1EES15_IbLb0EEEEDaS11_S12_EUlS11_E_NS1_11comp_targetILNS1_3genE8ELNS1_11target_archE1030ELNS1_3gpuE2ELNS1_3repE0EEENS1_30default_config_static_selectorELNS0_4arch9wavefront6targetE0EEEvT1_.kd
    .uniform_work_group_size: 1
    .uses_dynamic_stack: false
    .vgpr_count:     0
    .vgpr_spill_count: 0
    .wavefront_size: 32
    .workgroup_processor_mode: 1
  - .args:
      - .address_space:  global
        .offset:         0
        .size:           8
        .value_kind:     global_buffer
      - .offset:         8
        .size:           4
        .value_kind:     by_value
      - .address_space:  global
        .offset:         16
        .size:           8
        .value_kind:     global_buffer
      - .offset:         24
        .size:           4
        .value_kind:     by_value
      - .address_space:  global
        .offset:         32
        .size:           8
        .value_kind:     global_buffer
      - .offset:         40
        .size:           4
        .value_kind:     hidden_block_count_x
      - .offset:         44
        .size:           4
        .value_kind:     hidden_block_count_y
      - .offset:         48
        .size:           4
        .value_kind:     hidden_block_count_z
      - .offset:         52
        .size:           2
        .value_kind:     hidden_group_size_x
      - .offset:         54
        .size:           2
        .value_kind:     hidden_group_size_y
      - .offset:         56
        .size:           2
        .value_kind:     hidden_group_size_z
      - .offset:         58
        .size:           2
        .value_kind:     hidden_remainder_x
      - .offset:         60
        .size:           2
        .value_kind:     hidden_remainder_y
      - .offset:         62
        .size:           2
        .value_kind:     hidden_remainder_z
      - .offset:         80
        .size:           8
        .value_kind:     hidden_global_offset_x
      - .offset:         88
        .size:           8
        .value_kind:     hidden_global_offset_y
      - .offset:         96
        .size:           8
        .value_kind:     hidden_global_offset_z
      - .offset:         104
        .size:           2
        .value_kind:     hidden_grid_dims
    .group_segment_fixed_size: 0
    .kernarg_segment_align: 8
    .kernarg_segment_size: 296
    .language:       OpenCL C
    .language_version:
      - 2
      - 0
    .max_flat_workgroup_size: 256
    .name:           _ZN7rocprim17ROCPRIM_400000_NS6detail31init_lookback_scan_state_kernelINS1_19lookback_scan_stateImLb0ELb1EEENS1_16block_id_wrapperIjLb1EEEEEvT_jT0_jPNS7_10value_typeE
    .private_segment_fixed_size: 0
    .sgpr_count:     13
    .sgpr_spill_count: 0
    .symbol:         _ZN7rocprim17ROCPRIM_400000_NS6detail31init_lookback_scan_state_kernelINS1_19lookback_scan_stateImLb0ELb1EEENS1_16block_id_wrapperIjLb1EEEEEvT_jT0_jPNS7_10value_typeE.kd
    .uniform_work_group_size: 1
    .uses_dynamic_stack: false
    .vgpr_count:     8
    .vgpr_spill_count: 0
    .wavefront_size: 32
    .workgroup_processor_mode: 1
  - .args:
      - .offset:         0
        .size:           128
        .value_kind:     by_value
    .group_segment_fixed_size: 0
    .kernarg_segment_align: 8
    .kernarg_segment_size: 128
    .language:       OpenCL C
    .language_version:
      - 2
      - 0
    .max_flat_workgroup_size: 256
    .name:           _ZN7rocprim17ROCPRIM_400000_NS6detail17trampoline_kernelINS0_14default_configENS1_25partition_config_selectorILNS1_17partition_subalgoE6EiNS0_10empty_typeEbEEZZNS1_14partition_implILS5_6ELb0ES3_mN6thrust23THRUST_200600_302600_NS6detail15normal_iteratorINSA_10device_ptrIiEEEEPS6_SG_NS0_5tupleIJSF_S6_EEENSH_IJSG_SG_EEES6_PlJ6is_oddIiEEEE10hipError_tPvRmT3_T4_T5_T6_T7_T9_mT8_P12ihipStream_tbDpT10_ENKUlT_T0_E_clISt17integral_constantIbLb0EES15_IbLb1EEEEDaS11_S12_EUlS11_E_NS1_11comp_targetILNS1_3genE0ELNS1_11target_archE4294967295ELNS1_3gpuE0ELNS1_3repE0EEENS1_30default_config_static_selectorELNS0_4arch9wavefront6targetE0EEEvT1_
    .private_segment_fixed_size: 0
    .sgpr_count:     0
    .sgpr_spill_count: 0
    .symbol:         _ZN7rocprim17ROCPRIM_400000_NS6detail17trampoline_kernelINS0_14default_configENS1_25partition_config_selectorILNS1_17partition_subalgoE6EiNS0_10empty_typeEbEEZZNS1_14partition_implILS5_6ELb0ES3_mN6thrust23THRUST_200600_302600_NS6detail15normal_iteratorINSA_10device_ptrIiEEEEPS6_SG_NS0_5tupleIJSF_S6_EEENSH_IJSG_SG_EEES6_PlJ6is_oddIiEEEE10hipError_tPvRmT3_T4_T5_T6_T7_T9_mT8_P12ihipStream_tbDpT10_ENKUlT_T0_E_clISt17integral_constantIbLb0EES15_IbLb1EEEEDaS11_S12_EUlS11_E_NS1_11comp_targetILNS1_3genE0ELNS1_11target_archE4294967295ELNS1_3gpuE0ELNS1_3repE0EEENS1_30default_config_static_selectorELNS0_4arch9wavefront6targetE0EEEvT1_.kd
    .uniform_work_group_size: 1
    .uses_dynamic_stack: false
    .vgpr_count:     0
    .vgpr_spill_count: 0
    .wavefront_size: 32
    .workgroup_processor_mode: 1
  - .args:
      - .offset:         0
        .size:           128
        .value_kind:     by_value
    .group_segment_fixed_size: 0
    .kernarg_segment_align: 8
    .kernarg_segment_size: 128
    .language:       OpenCL C
    .language_version:
      - 2
      - 0
    .max_flat_workgroup_size: 512
    .name:           _ZN7rocprim17ROCPRIM_400000_NS6detail17trampoline_kernelINS0_14default_configENS1_25partition_config_selectorILNS1_17partition_subalgoE6EiNS0_10empty_typeEbEEZZNS1_14partition_implILS5_6ELb0ES3_mN6thrust23THRUST_200600_302600_NS6detail15normal_iteratorINSA_10device_ptrIiEEEEPS6_SG_NS0_5tupleIJSF_S6_EEENSH_IJSG_SG_EEES6_PlJ6is_oddIiEEEE10hipError_tPvRmT3_T4_T5_T6_T7_T9_mT8_P12ihipStream_tbDpT10_ENKUlT_T0_E_clISt17integral_constantIbLb0EES15_IbLb1EEEEDaS11_S12_EUlS11_E_NS1_11comp_targetILNS1_3genE5ELNS1_11target_archE942ELNS1_3gpuE9ELNS1_3repE0EEENS1_30default_config_static_selectorELNS0_4arch9wavefront6targetE0EEEvT1_
    .private_segment_fixed_size: 0
    .sgpr_count:     0
    .sgpr_spill_count: 0
    .symbol:         _ZN7rocprim17ROCPRIM_400000_NS6detail17trampoline_kernelINS0_14default_configENS1_25partition_config_selectorILNS1_17partition_subalgoE6EiNS0_10empty_typeEbEEZZNS1_14partition_implILS5_6ELb0ES3_mN6thrust23THRUST_200600_302600_NS6detail15normal_iteratorINSA_10device_ptrIiEEEEPS6_SG_NS0_5tupleIJSF_S6_EEENSH_IJSG_SG_EEES6_PlJ6is_oddIiEEEE10hipError_tPvRmT3_T4_T5_T6_T7_T9_mT8_P12ihipStream_tbDpT10_ENKUlT_T0_E_clISt17integral_constantIbLb0EES15_IbLb1EEEEDaS11_S12_EUlS11_E_NS1_11comp_targetILNS1_3genE5ELNS1_11target_archE942ELNS1_3gpuE9ELNS1_3repE0EEENS1_30default_config_static_selectorELNS0_4arch9wavefront6targetE0EEEvT1_.kd
    .uniform_work_group_size: 1
    .uses_dynamic_stack: false
    .vgpr_count:     0
    .vgpr_spill_count: 0
    .wavefront_size: 32
    .workgroup_processor_mode: 1
  - .args:
      - .offset:         0
        .size:           128
        .value_kind:     by_value
    .group_segment_fixed_size: 0
    .kernarg_segment_align: 8
    .kernarg_segment_size: 128
    .language:       OpenCL C
    .language_version:
      - 2
      - 0
    .max_flat_workgroup_size: 512
    .name:           _ZN7rocprim17ROCPRIM_400000_NS6detail17trampoline_kernelINS0_14default_configENS1_25partition_config_selectorILNS1_17partition_subalgoE6EiNS0_10empty_typeEbEEZZNS1_14partition_implILS5_6ELb0ES3_mN6thrust23THRUST_200600_302600_NS6detail15normal_iteratorINSA_10device_ptrIiEEEEPS6_SG_NS0_5tupleIJSF_S6_EEENSH_IJSG_SG_EEES6_PlJ6is_oddIiEEEE10hipError_tPvRmT3_T4_T5_T6_T7_T9_mT8_P12ihipStream_tbDpT10_ENKUlT_T0_E_clISt17integral_constantIbLb0EES15_IbLb1EEEEDaS11_S12_EUlS11_E_NS1_11comp_targetILNS1_3genE4ELNS1_11target_archE910ELNS1_3gpuE8ELNS1_3repE0EEENS1_30default_config_static_selectorELNS0_4arch9wavefront6targetE0EEEvT1_
    .private_segment_fixed_size: 0
    .sgpr_count:     0
    .sgpr_spill_count: 0
    .symbol:         _ZN7rocprim17ROCPRIM_400000_NS6detail17trampoline_kernelINS0_14default_configENS1_25partition_config_selectorILNS1_17partition_subalgoE6EiNS0_10empty_typeEbEEZZNS1_14partition_implILS5_6ELb0ES3_mN6thrust23THRUST_200600_302600_NS6detail15normal_iteratorINSA_10device_ptrIiEEEEPS6_SG_NS0_5tupleIJSF_S6_EEENSH_IJSG_SG_EEES6_PlJ6is_oddIiEEEE10hipError_tPvRmT3_T4_T5_T6_T7_T9_mT8_P12ihipStream_tbDpT10_ENKUlT_T0_E_clISt17integral_constantIbLb0EES15_IbLb1EEEEDaS11_S12_EUlS11_E_NS1_11comp_targetILNS1_3genE4ELNS1_11target_archE910ELNS1_3gpuE8ELNS1_3repE0EEENS1_30default_config_static_selectorELNS0_4arch9wavefront6targetE0EEEvT1_.kd
    .uniform_work_group_size: 1
    .uses_dynamic_stack: false
    .vgpr_count:     0
    .vgpr_spill_count: 0
    .wavefront_size: 32
    .workgroup_processor_mode: 1
  - .args:
      - .offset:         0
        .size:           128
        .value_kind:     by_value
    .group_segment_fixed_size: 0
    .kernarg_segment_align: 8
    .kernarg_segment_size: 128
    .language:       OpenCL C
    .language_version:
      - 2
      - 0
    .max_flat_workgroup_size: 256
    .name:           _ZN7rocprim17ROCPRIM_400000_NS6detail17trampoline_kernelINS0_14default_configENS1_25partition_config_selectorILNS1_17partition_subalgoE6EiNS0_10empty_typeEbEEZZNS1_14partition_implILS5_6ELb0ES3_mN6thrust23THRUST_200600_302600_NS6detail15normal_iteratorINSA_10device_ptrIiEEEEPS6_SG_NS0_5tupleIJSF_S6_EEENSH_IJSG_SG_EEES6_PlJ6is_oddIiEEEE10hipError_tPvRmT3_T4_T5_T6_T7_T9_mT8_P12ihipStream_tbDpT10_ENKUlT_T0_E_clISt17integral_constantIbLb0EES15_IbLb1EEEEDaS11_S12_EUlS11_E_NS1_11comp_targetILNS1_3genE3ELNS1_11target_archE908ELNS1_3gpuE7ELNS1_3repE0EEENS1_30default_config_static_selectorELNS0_4arch9wavefront6targetE0EEEvT1_
    .private_segment_fixed_size: 0
    .sgpr_count:     0
    .sgpr_spill_count: 0
    .symbol:         _ZN7rocprim17ROCPRIM_400000_NS6detail17trampoline_kernelINS0_14default_configENS1_25partition_config_selectorILNS1_17partition_subalgoE6EiNS0_10empty_typeEbEEZZNS1_14partition_implILS5_6ELb0ES3_mN6thrust23THRUST_200600_302600_NS6detail15normal_iteratorINSA_10device_ptrIiEEEEPS6_SG_NS0_5tupleIJSF_S6_EEENSH_IJSG_SG_EEES6_PlJ6is_oddIiEEEE10hipError_tPvRmT3_T4_T5_T6_T7_T9_mT8_P12ihipStream_tbDpT10_ENKUlT_T0_E_clISt17integral_constantIbLb0EES15_IbLb1EEEEDaS11_S12_EUlS11_E_NS1_11comp_targetILNS1_3genE3ELNS1_11target_archE908ELNS1_3gpuE7ELNS1_3repE0EEENS1_30default_config_static_selectorELNS0_4arch9wavefront6targetE0EEEvT1_.kd
    .uniform_work_group_size: 1
    .uses_dynamic_stack: false
    .vgpr_count:     0
    .vgpr_spill_count: 0
    .wavefront_size: 32
    .workgroup_processor_mode: 1
  - .args:
      - .offset:         0
        .size:           128
        .value_kind:     by_value
    .group_segment_fixed_size: 0
    .kernarg_segment_align: 8
    .kernarg_segment_size: 128
    .language:       OpenCL C
    .language_version:
      - 2
      - 0
    .max_flat_workgroup_size: 192
    .name:           _ZN7rocprim17ROCPRIM_400000_NS6detail17trampoline_kernelINS0_14default_configENS1_25partition_config_selectorILNS1_17partition_subalgoE6EiNS0_10empty_typeEbEEZZNS1_14partition_implILS5_6ELb0ES3_mN6thrust23THRUST_200600_302600_NS6detail15normal_iteratorINSA_10device_ptrIiEEEEPS6_SG_NS0_5tupleIJSF_S6_EEENSH_IJSG_SG_EEES6_PlJ6is_oddIiEEEE10hipError_tPvRmT3_T4_T5_T6_T7_T9_mT8_P12ihipStream_tbDpT10_ENKUlT_T0_E_clISt17integral_constantIbLb0EES15_IbLb1EEEEDaS11_S12_EUlS11_E_NS1_11comp_targetILNS1_3genE2ELNS1_11target_archE906ELNS1_3gpuE6ELNS1_3repE0EEENS1_30default_config_static_selectorELNS0_4arch9wavefront6targetE0EEEvT1_
    .private_segment_fixed_size: 0
    .sgpr_count:     0
    .sgpr_spill_count: 0
    .symbol:         _ZN7rocprim17ROCPRIM_400000_NS6detail17trampoline_kernelINS0_14default_configENS1_25partition_config_selectorILNS1_17partition_subalgoE6EiNS0_10empty_typeEbEEZZNS1_14partition_implILS5_6ELb0ES3_mN6thrust23THRUST_200600_302600_NS6detail15normal_iteratorINSA_10device_ptrIiEEEEPS6_SG_NS0_5tupleIJSF_S6_EEENSH_IJSG_SG_EEES6_PlJ6is_oddIiEEEE10hipError_tPvRmT3_T4_T5_T6_T7_T9_mT8_P12ihipStream_tbDpT10_ENKUlT_T0_E_clISt17integral_constantIbLb0EES15_IbLb1EEEEDaS11_S12_EUlS11_E_NS1_11comp_targetILNS1_3genE2ELNS1_11target_archE906ELNS1_3gpuE6ELNS1_3repE0EEENS1_30default_config_static_selectorELNS0_4arch9wavefront6targetE0EEEvT1_.kd
    .uniform_work_group_size: 1
    .uses_dynamic_stack: false
    .vgpr_count:     0
    .vgpr_spill_count: 0
    .wavefront_size: 32
    .workgroup_processor_mode: 1
  - .args:
      - .offset:         0
        .size:           128
        .value_kind:     by_value
    .group_segment_fixed_size: 10768
    .kernarg_segment_align: 8
    .kernarg_segment_size: 128
    .language:       OpenCL C
    .language_version:
      - 2
      - 0
    .max_flat_workgroup_size: 384
    .name:           _ZN7rocprim17ROCPRIM_400000_NS6detail17trampoline_kernelINS0_14default_configENS1_25partition_config_selectorILNS1_17partition_subalgoE6EiNS0_10empty_typeEbEEZZNS1_14partition_implILS5_6ELb0ES3_mN6thrust23THRUST_200600_302600_NS6detail15normal_iteratorINSA_10device_ptrIiEEEEPS6_SG_NS0_5tupleIJSF_S6_EEENSH_IJSG_SG_EEES6_PlJ6is_oddIiEEEE10hipError_tPvRmT3_T4_T5_T6_T7_T9_mT8_P12ihipStream_tbDpT10_ENKUlT_T0_E_clISt17integral_constantIbLb0EES15_IbLb1EEEEDaS11_S12_EUlS11_E_NS1_11comp_targetILNS1_3genE10ELNS1_11target_archE1200ELNS1_3gpuE4ELNS1_3repE0EEENS1_30default_config_static_selectorELNS0_4arch9wavefront6targetE0EEEvT1_
    .private_segment_fixed_size: 0
    .sgpr_count:     22
    .sgpr_spill_count: 0
    .symbol:         _ZN7rocprim17ROCPRIM_400000_NS6detail17trampoline_kernelINS0_14default_configENS1_25partition_config_selectorILNS1_17partition_subalgoE6EiNS0_10empty_typeEbEEZZNS1_14partition_implILS5_6ELb0ES3_mN6thrust23THRUST_200600_302600_NS6detail15normal_iteratorINSA_10device_ptrIiEEEEPS6_SG_NS0_5tupleIJSF_S6_EEENSH_IJSG_SG_EEES6_PlJ6is_oddIiEEEE10hipError_tPvRmT3_T4_T5_T6_T7_T9_mT8_P12ihipStream_tbDpT10_ENKUlT_T0_E_clISt17integral_constantIbLb0EES15_IbLb1EEEEDaS11_S12_EUlS11_E_NS1_11comp_targetILNS1_3genE10ELNS1_11target_archE1200ELNS1_3gpuE4ELNS1_3repE0EEENS1_30default_config_static_selectorELNS0_4arch9wavefront6targetE0EEEvT1_.kd
    .uniform_work_group_size: 1
    .uses_dynamic_stack: false
    .vgpr_count:     52
    .vgpr_spill_count: 0
    .wavefront_size: 32
    .workgroup_processor_mode: 1
  - .args:
      - .offset:         0
        .size:           128
        .value_kind:     by_value
    .group_segment_fixed_size: 0
    .kernarg_segment_align: 8
    .kernarg_segment_size: 128
    .language:       OpenCL C
    .language_version:
      - 2
      - 0
    .max_flat_workgroup_size: 128
    .name:           _ZN7rocprim17ROCPRIM_400000_NS6detail17trampoline_kernelINS0_14default_configENS1_25partition_config_selectorILNS1_17partition_subalgoE6EiNS0_10empty_typeEbEEZZNS1_14partition_implILS5_6ELb0ES3_mN6thrust23THRUST_200600_302600_NS6detail15normal_iteratorINSA_10device_ptrIiEEEEPS6_SG_NS0_5tupleIJSF_S6_EEENSH_IJSG_SG_EEES6_PlJ6is_oddIiEEEE10hipError_tPvRmT3_T4_T5_T6_T7_T9_mT8_P12ihipStream_tbDpT10_ENKUlT_T0_E_clISt17integral_constantIbLb0EES15_IbLb1EEEEDaS11_S12_EUlS11_E_NS1_11comp_targetILNS1_3genE9ELNS1_11target_archE1100ELNS1_3gpuE3ELNS1_3repE0EEENS1_30default_config_static_selectorELNS0_4arch9wavefront6targetE0EEEvT1_
    .private_segment_fixed_size: 0
    .sgpr_count:     0
    .sgpr_spill_count: 0
    .symbol:         _ZN7rocprim17ROCPRIM_400000_NS6detail17trampoline_kernelINS0_14default_configENS1_25partition_config_selectorILNS1_17partition_subalgoE6EiNS0_10empty_typeEbEEZZNS1_14partition_implILS5_6ELb0ES3_mN6thrust23THRUST_200600_302600_NS6detail15normal_iteratorINSA_10device_ptrIiEEEEPS6_SG_NS0_5tupleIJSF_S6_EEENSH_IJSG_SG_EEES6_PlJ6is_oddIiEEEE10hipError_tPvRmT3_T4_T5_T6_T7_T9_mT8_P12ihipStream_tbDpT10_ENKUlT_T0_E_clISt17integral_constantIbLb0EES15_IbLb1EEEEDaS11_S12_EUlS11_E_NS1_11comp_targetILNS1_3genE9ELNS1_11target_archE1100ELNS1_3gpuE3ELNS1_3repE0EEENS1_30default_config_static_selectorELNS0_4arch9wavefront6targetE0EEEvT1_.kd
    .uniform_work_group_size: 1
    .uses_dynamic_stack: false
    .vgpr_count:     0
    .vgpr_spill_count: 0
    .wavefront_size: 32
    .workgroup_processor_mode: 1
  - .args:
      - .offset:         0
        .size:           128
        .value_kind:     by_value
    .group_segment_fixed_size: 0
    .kernarg_segment_align: 8
    .kernarg_segment_size: 128
    .language:       OpenCL C
    .language_version:
      - 2
      - 0
    .max_flat_workgroup_size: 512
    .name:           _ZN7rocprim17ROCPRIM_400000_NS6detail17trampoline_kernelINS0_14default_configENS1_25partition_config_selectorILNS1_17partition_subalgoE6EiNS0_10empty_typeEbEEZZNS1_14partition_implILS5_6ELb0ES3_mN6thrust23THRUST_200600_302600_NS6detail15normal_iteratorINSA_10device_ptrIiEEEEPS6_SG_NS0_5tupleIJSF_S6_EEENSH_IJSG_SG_EEES6_PlJ6is_oddIiEEEE10hipError_tPvRmT3_T4_T5_T6_T7_T9_mT8_P12ihipStream_tbDpT10_ENKUlT_T0_E_clISt17integral_constantIbLb0EES15_IbLb1EEEEDaS11_S12_EUlS11_E_NS1_11comp_targetILNS1_3genE8ELNS1_11target_archE1030ELNS1_3gpuE2ELNS1_3repE0EEENS1_30default_config_static_selectorELNS0_4arch9wavefront6targetE0EEEvT1_
    .private_segment_fixed_size: 0
    .sgpr_count:     0
    .sgpr_spill_count: 0
    .symbol:         _ZN7rocprim17ROCPRIM_400000_NS6detail17trampoline_kernelINS0_14default_configENS1_25partition_config_selectorILNS1_17partition_subalgoE6EiNS0_10empty_typeEbEEZZNS1_14partition_implILS5_6ELb0ES3_mN6thrust23THRUST_200600_302600_NS6detail15normal_iteratorINSA_10device_ptrIiEEEEPS6_SG_NS0_5tupleIJSF_S6_EEENSH_IJSG_SG_EEES6_PlJ6is_oddIiEEEE10hipError_tPvRmT3_T4_T5_T6_T7_T9_mT8_P12ihipStream_tbDpT10_ENKUlT_T0_E_clISt17integral_constantIbLb0EES15_IbLb1EEEEDaS11_S12_EUlS11_E_NS1_11comp_targetILNS1_3genE8ELNS1_11target_archE1030ELNS1_3gpuE2ELNS1_3repE0EEENS1_30default_config_static_selectorELNS0_4arch9wavefront6targetE0EEEvT1_.kd
    .uniform_work_group_size: 1
    .uses_dynamic_stack: false
    .vgpr_count:     0
    .vgpr_spill_count: 0
    .wavefront_size: 32
    .workgroup_processor_mode: 1
  - .args:
      - .offset:         0
        .size:           64
        .value_kind:     by_value
    .group_segment_fixed_size: 0
    .kernarg_segment_align: 8
    .kernarg_segment_size: 64
    .language:       OpenCL C
    .language_version:
      - 2
      - 0
    .max_flat_workgroup_size: 256
    .name:           _ZN7rocprim17ROCPRIM_400000_NS6detail17trampoline_kernelINS0_14default_configENS1_22reduce_config_selectorIlEEZNS1_11reduce_implILb1ES3_PlS7_lN6thrust23THRUST_200600_302600_NS4plusIlEEEE10hipError_tPvRmT1_T2_T3_mT4_P12ihipStream_tbEUlT_E0_NS1_11comp_targetILNS1_3genE0ELNS1_11target_archE4294967295ELNS1_3gpuE0ELNS1_3repE0EEENS1_30default_config_static_selectorELNS0_4arch9wavefront6targetE0EEEvSF_
    .private_segment_fixed_size: 0
    .sgpr_count:     0
    .sgpr_spill_count: 0
    .symbol:         _ZN7rocprim17ROCPRIM_400000_NS6detail17trampoline_kernelINS0_14default_configENS1_22reduce_config_selectorIlEEZNS1_11reduce_implILb1ES3_PlS7_lN6thrust23THRUST_200600_302600_NS4plusIlEEEE10hipError_tPvRmT1_T2_T3_mT4_P12ihipStream_tbEUlT_E0_NS1_11comp_targetILNS1_3genE0ELNS1_11target_archE4294967295ELNS1_3gpuE0ELNS1_3repE0EEENS1_30default_config_static_selectorELNS0_4arch9wavefront6targetE0EEEvSF_.kd
    .uniform_work_group_size: 1
    .uses_dynamic_stack: false
    .vgpr_count:     0
    .vgpr_spill_count: 0
    .wavefront_size: 32
    .workgroup_processor_mode: 1
  - .args:
      - .offset:         0
        .size:           64
        .value_kind:     by_value
    .group_segment_fixed_size: 0
    .kernarg_segment_align: 8
    .kernarg_segment_size: 64
    .language:       OpenCL C
    .language_version:
      - 2
      - 0
    .max_flat_workgroup_size: 256
    .name:           _ZN7rocprim17ROCPRIM_400000_NS6detail17trampoline_kernelINS0_14default_configENS1_22reduce_config_selectorIlEEZNS1_11reduce_implILb1ES3_PlS7_lN6thrust23THRUST_200600_302600_NS4plusIlEEEE10hipError_tPvRmT1_T2_T3_mT4_P12ihipStream_tbEUlT_E0_NS1_11comp_targetILNS1_3genE5ELNS1_11target_archE942ELNS1_3gpuE9ELNS1_3repE0EEENS1_30default_config_static_selectorELNS0_4arch9wavefront6targetE0EEEvSF_
    .private_segment_fixed_size: 0
    .sgpr_count:     0
    .sgpr_spill_count: 0
    .symbol:         _ZN7rocprim17ROCPRIM_400000_NS6detail17trampoline_kernelINS0_14default_configENS1_22reduce_config_selectorIlEEZNS1_11reduce_implILb1ES3_PlS7_lN6thrust23THRUST_200600_302600_NS4plusIlEEEE10hipError_tPvRmT1_T2_T3_mT4_P12ihipStream_tbEUlT_E0_NS1_11comp_targetILNS1_3genE5ELNS1_11target_archE942ELNS1_3gpuE9ELNS1_3repE0EEENS1_30default_config_static_selectorELNS0_4arch9wavefront6targetE0EEEvSF_.kd
    .uniform_work_group_size: 1
    .uses_dynamic_stack: false
    .vgpr_count:     0
    .vgpr_spill_count: 0
    .wavefront_size: 32
    .workgroup_processor_mode: 1
  - .args:
      - .offset:         0
        .size:           64
        .value_kind:     by_value
    .group_segment_fixed_size: 0
    .kernarg_segment_align: 8
    .kernarg_segment_size: 64
    .language:       OpenCL C
    .language_version:
      - 2
      - 0
    .max_flat_workgroup_size: 256
    .name:           _ZN7rocprim17ROCPRIM_400000_NS6detail17trampoline_kernelINS0_14default_configENS1_22reduce_config_selectorIlEEZNS1_11reduce_implILb1ES3_PlS7_lN6thrust23THRUST_200600_302600_NS4plusIlEEEE10hipError_tPvRmT1_T2_T3_mT4_P12ihipStream_tbEUlT_E0_NS1_11comp_targetILNS1_3genE4ELNS1_11target_archE910ELNS1_3gpuE8ELNS1_3repE0EEENS1_30default_config_static_selectorELNS0_4arch9wavefront6targetE0EEEvSF_
    .private_segment_fixed_size: 0
    .sgpr_count:     0
    .sgpr_spill_count: 0
    .symbol:         _ZN7rocprim17ROCPRIM_400000_NS6detail17trampoline_kernelINS0_14default_configENS1_22reduce_config_selectorIlEEZNS1_11reduce_implILb1ES3_PlS7_lN6thrust23THRUST_200600_302600_NS4plusIlEEEE10hipError_tPvRmT1_T2_T3_mT4_P12ihipStream_tbEUlT_E0_NS1_11comp_targetILNS1_3genE4ELNS1_11target_archE910ELNS1_3gpuE8ELNS1_3repE0EEENS1_30default_config_static_selectorELNS0_4arch9wavefront6targetE0EEEvSF_.kd
    .uniform_work_group_size: 1
    .uses_dynamic_stack: false
    .vgpr_count:     0
    .vgpr_spill_count: 0
    .wavefront_size: 32
    .workgroup_processor_mode: 1
  - .args:
      - .offset:         0
        .size:           64
        .value_kind:     by_value
    .group_segment_fixed_size: 0
    .kernarg_segment_align: 8
    .kernarg_segment_size: 64
    .language:       OpenCL C
    .language_version:
      - 2
      - 0
    .max_flat_workgroup_size: 256
    .name:           _ZN7rocprim17ROCPRIM_400000_NS6detail17trampoline_kernelINS0_14default_configENS1_22reduce_config_selectorIlEEZNS1_11reduce_implILb1ES3_PlS7_lN6thrust23THRUST_200600_302600_NS4plusIlEEEE10hipError_tPvRmT1_T2_T3_mT4_P12ihipStream_tbEUlT_E0_NS1_11comp_targetILNS1_3genE3ELNS1_11target_archE908ELNS1_3gpuE7ELNS1_3repE0EEENS1_30default_config_static_selectorELNS0_4arch9wavefront6targetE0EEEvSF_
    .private_segment_fixed_size: 0
    .sgpr_count:     0
    .sgpr_spill_count: 0
    .symbol:         _ZN7rocprim17ROCPRIM_400000_NS6detail17trampoline_kernelINS0_14default_configENS1_22reduce_config_selectorIlEEZNS1_11reduce_implILb1ES3_PlS7_lN6thrust23THRUST_200600_302600_NS4plusIlEEEE10hipError_tPvRmT1_T2_T3_mT4_P12ihipStream_tbEUlT_E0_NS1_11comp_targetILNS1_3genE3ELNS1_11target_archE908ELNS1_3gpuE7ELNS1_3repE0EEENS1_30default_config_static_selectorELNS0_4arch9wavefront6targetE0EEEvSF_.kd
    .uniform_work_group_size: 1
    .uses_dynamic_stack: false
    .vgpr_count:     0
    .vgpr_spill_count: 0
    .wavefront_size: 32
    .workgroup_processor_mode: 1
  - .args:
      - .offset:         0
        .size:           64
        .value_kind:     by_value
    .group_segment_fixed_size: 0
    .kernarg_segment_align: 8
    .kernarg_segment_size: 64
    .language:       OpenCL C
    .language_version:
      - 2
      - 0
    .max_flat_workgroup_size: 256
    .name:           _ZN7rocprim17ROCPRIM_400000_NS6detail17trampoline_kernelINS0_14default_configENS1_22reduce_config_selectorIlEEZNS1_11reduce_implILb1ES3_PlS7_lN6thrust23THRUST_200600_302600_NS4plusIlEEEE10hipError_tPvRmT1_T2_T3_mT4_P12ihipStream_tbEUlT_E0_NS1_11comp_targetILNS1_3genE2ELNS1_11target_archE906ELNS1_3gpuE6ELNS1_3repE0EEENS1_30default_config_static_selectorELNS0_4arch9wavefront6targetE0EEEvSF_
    .private_segment_fixed_size: 0
    .sgpr_count:     0
    .sgpr_spill_count: 0
    .symbol:         _ZN7rocprim17ROCPRIM_400000_NS6detail17trampoline_kernelINS0_14default_configENS1_22reduce_config_selectorIlEEZNS1_11reduce_implILb1ES3_PlS7_lN6thrust23THRUST_200600_302600_NS4plusIlEEEE10hipError_tPvRmT1_T2_T3_mT4_P12ihipStream_tbEUlT_E0_NS1_11comp_targetILNS1_3genE2ELNS1_11target_archE906ELNS1_3gpuE6ELNS1_3repE0EEENS1_30default_config_static_selectorELNS0_4arch9wavefront6targetE0EEEvSF_.kd
    .uniform_work_group_size: 1
    .uses_dynamic_stack: false
    .vgpr_count:     0
    .vgpr_spill_count: 0
    .wavefront_size: 32
    .workgroup_processor_mode: 1
  - .args:
      - .offset:         0
        .size:           64
        .value_kind:     by_value
    .group_segment_fixed_size: 128
    .kernarg_segment_align: 8
    .kernarg_segment_size: 64
    .language:       OpenCL C
    .language_version:
      - 2
      - 0
    .max_flat_workgroup_size: 256
    .name:           _ZN7rocprim17ROCPRIM_400000_NS6detail17trampoline_kernelINS0_14default_configENS1_22reduce_config_selectorIlEEZNS1_11reduce_implILb1ES3_PlS7_lN6thrust23THRUST_200600_302600_NS4plusIlEEEE10hipError_tPvRmT1_T2_T3_mT4_P12ihipStream_tbEUlT_E0_NS1_11comp_targetILNS1_3genE10ELNS1_11target_archE1201ELNS1_3gpuE5ELNS1_3repE0EEENS1_30default_config_static_selectorELNS0_4arch9wavefront6targetE0EEEvSF_
    .private_segment_fixed_size: 0
    .sgpr_count:     32
    .sgpr_spill_count: 0
    .symbol:         _ZN7rocprim17ROCPRIM_400000_NS6detail17trampoline_kernelINS0_14default_configENS1_22reduce_config_selectorIlEEZNS1_11reduce_implILb1ES3_PlS7_lN6thrust23THRUST_200600_302600_NS4plusIlEEEE10hipError_tPvRmT1_T2_T3_mT4_P12ihipStream_tbEUlT_E0_NS1_11comp_targetILNS1_3genE10ELNS1_11target_archE1201ELNS1_3gpuE5ELNS1_3repE0EEENS1_30default_config_static_selectorELNS0_4arch9wavefront6targetE0EEEvSF_.kd
    .uniform_work_group_size: 1
    .uses_dynamic_stack: false
    .vgpr_count:     36
    .vgpr_spill_count: 0
    .wavefront_size: 32
    .workgroup_processor_mode: 1
  - .args:
      - .offset:         0
        .size:           64
        .value_kind:     by_value
    .group_segment_fixed_size: 0
    .kernarg_segment_align: 8
    .kernarg_segment_size: 64
    .language:       OpenCL C
    .language_version:
      - 2
      - 0
    .max_flat_workgroup_size: 256
    .name:           _ZN7rocprim17ROCPRIM_400000_NS6detail17trampoline_kernelINS0_14default_configENS1_22reduce_config_selectorIlEEZNS1_11reduce_implILb1ES3_PlS7_lN6thrust23THRUST_200600_302600_NS4plusIlEEEE10hipError_tPvRmT1_T2_T3_mT4_P12ihipStream_tbEUlT_E0_NS1_11comp_targetILNS1_3genE10ELNS1_11target_archE1200ELNS1_3gpuE4ELNS1_3repE0EEENS1_30default_config_static_selectorELNS0_4arch9wavefront6targetE0EEEvSF_
    .private_segment_fixed_size: 0
    .sgpr_count:     0
    .sgpr_spill_count: 0
    .symbol:         _ZN7rocprim17ROCPRIM_400000_NS6detail17trampoline_kernelINS0_14default_configENS1_22reduce_config_selectorIlEEZNS1_11reduce_implILb1ES3_PlS7_lN6thrust23THRUST_200600_302600_NS4plusIlEEEE10hipError_tPvRmT1_T2_T3_mT4_P12ihipStream_tbEUlT_E0_NS1_11comp_targetILNS1_3genE10ELNS1_11target_archE1200ELNS1_3gpuE4ELNS1_3repE0EEENS1_30default_config_static_selectorELNS0_4arch9wavefront6targetE0EEEvSF_.kd
    .uniform_work_group_size: 1
    .uses_dynamic_stack: false
    .vgpr_count:     0
    .vgpr_spill_count: 0
    .wavefront_size: 32
    .workgroup_processor_mode: 1
  - .args:
      - .offset:         0
        .size:           64
        .value_kind:     by_value
    .group_segment_fixed_size: 0
    .kernarg_segment_align: 8
    .kernarg_segment_size: 64
    .language:       OpenCL C
    .language_version:
      - 2
      - 0
    .max_flat_workgroup_size: 256
    .name:           _ZN7rocprim17ROCPRIM_400000_NS6detail17trampoline_kernelINS0_14default_configENS1_22reduce_config_selectorIlEEZNS1_11reduce_implILb1ES3_PlS7_lN6thrust23THRUST_200600_302600_NS4plusIlEEEE10hipError_tPvRmT1_T2_T3_mT4_P12ihipStream_tbEUlT_E0_NS1_11comp_targetILNS1_3genE9ELNS1_11target_archE1100ELNS1_3gpuE3ELNS1_3repE0EEENS1_30default_config_static_selectorELNS0_4arch9wavefront6targetE0EEEvSF_
    .private_segment_fixed_size: 0
    .sgpr_count:     0
    .sgpr_spill_count: 0
    .symbol:         _ZN7rocprim17ROCPRIM_400000_NS6detail17trampoline_kernelINS0_14default_configENS1_22reduce_config_selectorIlEEZNS1_11reduce_implILb1ES3_PlS7_lN6thrust23THRUST_200600_302600_NS4plusIlEEEE10hipError_tPvRmT1_T2_T3_mT4_P12ihipStream_tbEUlT_E0_NS1_11comp_targetILNS1_3genE9ELNS1_11target_archE1100ELNS1_3gpuE3ELNS1_3repE0EEENS1_30default_config_static_selectorELNS0_4arch9wavefront6targetE0EEEvSF_.kd
    .uniform_work_group_size: 1
    .uses_dynamic_stack: false
    .vgpr_count:     0
    .vgpr_spill_count: 0
    .wavefront_size: 32
    .workgroup_processor_mode: 1
  - .args:
      - .offset:         0
        .size:           64
        .value_kind:     by_value
    .group_segment_fixed_size: 0
    .kernarg_segment_align: 8
    .kernarg_segment_size: 64
    .language:       OpenCL C
    .language_version:
      - 2
      - 0
    .max_flat_workgroup_size: 256
    .name:           _ZN7rocprim17ROCPRIM_400000_NS6detail17trampoline_kernelINS0_14default_configENS1_22reduce_config_selectorIlEEZNS1_11reduce_implILb1ES3_PlS7_lN6thrust23THRUST_200600_302600_NS4plusIlEEEE10hipError_tPvRmT1_T2_T3_mT4_P12ihipStream_tbEUlT_E0_NS1_11comp_targetILNS1_3genE8ELNS1_11target_archE1030ELNS1_3gpuE2ELNS1_3repE0EEENS1_30default_config_static_selectorELNS0_4arch9wavefront6targetE0EEEvSF_
    .private_segment_fixed_size: 0
    .sgpr_count:     0
    .sgpr_spill_count: 0
    .symbol:         _ZN7rocprim17ROCPRIM_400000_NS6detail17trampoline_kernelINS0_14default_configENS1_22reduce_config_selectorIlEEZNS1_11reduce_implILb1ES3_PlS7_lN6thrust23THRUST_200600_302600_NS4plusIlEEEE10hipError_tPvRmT1_T2_T3_mT4_P12ihipStream_tbEUlT_E0_NS1_11comp_targetILNS1_3genE8ELNS1_11target_archE1030ELNS1_3gpuE2ELNS1_3repE0EEENS1_30default_config_static_selectorELNS0_4arch9wavefront6targetE0EEEvSF_.kd
    .uniform_work_group_size: 1
    .uses_dynamic_stack: false
    .vgpr_count:     0
    .vgpr_spill_count: 0
    .wavefront_size: 32
    .workgroup_processor_mode: 1
  - .args:
      - .offset:         0
        .size:           48
        .value_kind:     by_value
    .group_segment_fixed_size: 0
    .kernarg_segment_align: 8
    .kernarg_segment_size: 48
    .language:       OpenCL C
    .language_version:
      - 2
      - 0
    .max_flat_workgroup_size: 256
    .name:           _ZN7rocprim17ROCPRIM_400000_NS6detail17trampoline_kernelINS0_14default_configENS1_22reduce_config_selectorIlEEZNS1_11reduce_implILb1ES3_PlS7_lN6thrust23THRUST_200600_302600_NS4plusIlEEEE10hipError_tPvRmT1_T2_T3_mT4_P12ihipStream_tbEUlT_E1_NS1_11comp_targetILNS1_3genE0ELNS1_11target_archE4294967295ELNS1_3gpuE0ELNS1_3repE0EEENS1_30default_config_static_selectorELNS0_4arch9wavefront6targetE0EEEvSF_
    .private_segment_fixed_size: 0
    .sgpr_count:     0
    .sgpr_spill_count: 0
    .symbol:         _ZN7rocprim17ROCPRIM_400000_NS6detail17trampoline_kernelINS0_14default_configENS1_22reduce_config_selectorIlEEZNS1_11reduce_implILb1ES3_PlS7_lN6thrust23THRUST_200600_302600_NS4plusIlEEEE10hipError_tPvRmT1_T2_T3_mT4_P12ihipStream_tbEUlT_E1_NS1_11comp_targetILNS1_3genE0ELNS1_11target_archE4294967295ELNS1_3gpuE0ELNS1_3repE0EEENS1_30default_config_static_selectorELNS0_4arch9wavefront6targetE0EEEvSF_.kd
    .uniform_work_group_size: 1
    .uses_dynamic_stack: false
    .vgpr_count:     0
    .vgpr_spill_count: 0
    .wavefront_size: 32
    .workgroup_processor_mode: 1
  - .args:
      - .offset:         0
        .size:           48
        .value_kind:     by_value
    .group_segment_fixed_size: 0
    .kernarg_segment_align: 8
    .kernarg_segment_size: 48
    .language:       OpenCL C
    .language_version:
      - 2
      - 0
    .max_flat_workgroup_size: 256
    .name:           _ZN7rocprim17ROCPRIM_400000_NS6detail17trampoline_kernelINS0_14default_configENS1_22reduce_config_selectorIlEEZNS1_11reduce_implILb1ES3_PlS7_lN6thrust23THRUST_200600_302600_NS4plusIlEEEE10hipError_tPvRmT1_T2_T3_mT4_P12ihipStream_tbEUlT_E1_NS1_11comp_targetILNS1_3genE5ELNS1_11target_archE942ELNS1_3gpuE9ELNS1_3repE0EEENS1_30default_config_static_selectorELNS0_4arch9wavefront6targetE0EEEvSF_
    .private_segment_fixed_size: 0
    .sgpr_count:     0
    .sgpr_spill_count: 0
    .symbol:         _ZN7rocprim17ROCPRIM_400000_NS6detail17trampoline_kernelINS0_14default_configENS1_22reduce_config_selectorIlEEZNS1_11reduce_implILb1ES3_PlS7_lN6thrust23THRUST_200600_302600_NS4plusIlEEEE10hipError_tPvRmT1_T2_T3_mT4_P12ihipStream_tbEUlT_E1_NS1_11comp_targetILNS1_3genE5ELNS1_11target_archE942ELNS1_3gpuE9ELNS1_3repE0EEENS1_30default_config_static_selectorELNS0_4arch9wavefront6targetE0EEEvSF_.kd
    .uniform_work_group_size: 1
    .uses_dynamic_stack: false
    .vgpr_count:     0
    .vgpr_spill_count: 0
    .wavefront_size: 32
    .workgroup_processor_mode: 1
  - .args:
      - .offset:         0
        .size:           48
        .value_kind:     by_value
    .group_segment_fixed_size: 0
    .kernarg_segment_align: 8
    .kernarg_segment_size: 48
    .language:       OpenCL C
    .language_version:
      - 2
      - 0
    .max_flat_workgroup_size: 256
    .name:           _ZN7rocprim17ROCPRIM_400000_NS6detail17trampoline_kernelINS0_14default_configENS1_22reduce_config_selectorIlEEZNS1_11reduce_implILb1ES3_PlS7_lN6thrust23THRUST_200600_302600_NS4plusIlEEEE10hipError_tPvRmT1_T2_T3_mT4_P12ihipStream_tbEUlT_E1_NS1_11comp_targetILNS1_3genE4ELNS1_11target_archE910ELNS1_3gpuE8ELNS1_3repE0EEENS1_30default_config_static_selectorELNS0_4arch9wavefront6targetE0EEEvSF_
    .private_segment_fixed_size: 0
    .sgpr_count:     0
    .sgpr_spill_count: 0
    .symbol:         _ZN7rocprim17ROCPRIM_400000_NS6detail17trampoline_kernelINS0_14default_configENS1_22reduce_config_selectorIlEEZNS1_11reduce_implILb1ES3_PlS7_lN6thrust23THRUST_200600_302600_NS4plusIlEEEE10hipError_tPvRmT1_T2_T3_mT4_P12ihipStream_tbEUlT_E1_NS1_11comp_targetILNS1_3genE4ELNS1_11target_archE910ELNS1_3gpuE8ELNS1_3repE0EEENS1_30default_config_static_selectorELNS0_4arch9wavefront6targetE0EEEvSF_.kd
    .uniform_work_group_size: 1
    .uses_dynamic_stack: false
    .vgpr_count:     0
    .vgpr_spill_count: 0
    .wavefront_size: 32
    .workgroup_processor_mode: 1
  - .args:
      - .offset:         0
        .size:           48
        .value_kind:     by_value
    .group_segment_fixed_size: 0
    .kernarg_segment_align: 8
    .kernarg_segment_size: 48
    .language:       OpenCL C
    .language_version:
      - 2
      - 0
    .max_flat_workgroup_size: 256
    .name:           _ZN7rocprim17ROCPRIM_400000_NS6detail17trampoline_kernelINS0_14default_configENS1_22reduce_config_selectorIlEEZNS1_11reduce_implILb1ES3_PlS7_lN6thrust23THRUST_200600_302600_NS4plusIlEEEE10hipError_tPvRmT1_T2_T3_mT4_P12ihipStream_tbEUlT_E1_NS1_11comp_targetILNS1_3genE3ELNS1_11target_archE908ELNS1_3gpuE7ELNS1_3repE0EEENS1_30default_config_static_selectorELNS0_4arch9wavefront6targetE0EEEvSF_
    .private_segment_fixed_size: 0
    .sgpr_count:     0
    .sgpr_spill_count: 0
    .symbol:         _ZN7rocprim17ROCPRIM_400000_NS6detail17trampoline_kernelINS0_14default_configENS1_22reduce_config_selectorIlEEZNS1_11reduce_implILb1ES3_PlS7_lN6thrust23THRUST_200600_302600_NS4plusIlEEEE10hipError_tPvRmT1_T2_T3_mT4_P12ihipStream_tbEUlT_E1_NS1_11comp_targetILNS1_3genE3ELNS1_11target_archE908ELNS1_3gpuE7ELNS1_3repE0EEENS1_30default_config_static_selectorELNS0_4arch9wavefront6targetE0EEEvSF_.kd
    .uniform_work_group_size: 1
    .uses_dynamic_stack: false
    .vgpr_count:     0
    .vgpr_spill_count: 0
    .wavefront_size: 32
    .workgroup_processor_mode: 1
  - .args:
      - .offset:         0
        .size:           48
        .value_kind:     by_value
    .group_segment_fixed_size: 0
    .kernarg_segment_align: 8
    .kernarg_segment_size: 48
    .language:       OpenCL C
    .language_version:
      - 2
      - 0
    .max_flat_workgroup_size: 256
    .name:           _ZN7rocprim17ROCPRIM_400000_NS6detail17trampoline_kernelINS0_14default_configENS1_22reduce_config_selectorIlEEZNS1_11reduce_implILb1ES3_PlS7_lN6thrust23THRUST_200600_302600_NS4plusIlEEEE10hipError_tPvRmT1_T2_T3_mT4_P12ihipStream_tbEUlT_E1_NS1_11comp_targetILNS1_3genE2ELNS1_11target_archE906ELNS1_3gpuE6ELNS1_3repE0EEENS1_30default_config_static_selectorELNS0_4arch9wavefront6targetE0EEEvSF_
    .private_segment_fixed_size: 0
    .sgpr_count:     0
    .sgpr_spill_count: 0
    .symbol:         _ZN7rocprim17ROCPRIM_400000_NS6detail17trampoline_kernelINS0_14default_configENS1_22reduce_config_selectorIlEEZNS1_11reduce_implILb1ES3_PlS7_lN6thrust23THRUST_200600_302600_NS4plusIlEEEE10hipError_tPvRmT1_T2_T3_mT4_P12ihipStream_tbEUlT_E1_NS1_11comp_targetILNS1_3genE2ELNS1_11target_archE906ELNS1_3gpuE6ELNS1_3repE0EEENS1_30default_config_static_selectorELNS0_4arch9wavefront6targetE0EEEvSF_.kd
    .uniform_work_group_size: 1
    .uses_dynamic_stack: false
    .vgpr_count:     0
    .vgpr_spill_count: 0
    .wavefront_size: 32
    .workgroup_processor_mode: 1
  - .args:
      - .offset:         0
        .size:           48
        .value_kind:     by_value
    .group_segment_fixed_size: 384
    .kernarg_segment_align: 8
    .kernarg_segment_size: 48
    .language:       OpenCL C
    .language_version:
      - 2
      - 0
    .max_flat_workgroup_size: 256
    .name:           _ZN7rocprim17ROCPRIM_400000_NS6detail17trampoline_kernelINS0_14default_configENS1_22reduce_config_selectorIlEEZNS1_11reduce_implILb1ES3_PlS7_lN6thrust23THRUST_200600_302600_NS4plusIlEEEE10hipError_tPvRmT1_T2_T3_mT4_P12ihipStream_tbEUlT_E1_NS1_11comp_targetILNS1_3genE10ELNS1_11target_archE1201ELNS1_3gpuE5ELNS1_3repE0EEENS1_30default_config_static_selectorELNS0_4arch9wavefront6targetE0EEEvSF_
    .private_segment_fixed_size: 0
    .sgpr_count:     32
    .sgpr_spill_count: 0
    .symbol:         _ZN7rocprim17ROCPRIM_400000_NS6detail17trampoline_kernelINS0_14default_configENS1_22reduce_config_selectorIlEEZNS1_11reduce_implILb1ES3_PlS7_lN6thrust23THRUST_200600_302600_NS4plusIlEEEE10hipError_tPvRmT1_T2_T3_mT4_P12ihipStream_tbEUlT_E1_NS1_11comp_targetILNS1_3genE10ELNS1_11target_archE1201ELNS1_3gpuE5ELNS1_3repE0EEENS1_30default_config_static_selectorELNS0_4arch9wavefront6targetE0EEEvSF_.kd
    .uniform_work_group_size: 1
    .uses_dynamic_stack: false
    .vgpr_count:     34
    .vgpr_spill_count: 0
    .wavefront_size: 32
    .workgroup_processor_mode: 1
  - .args:
      - .offset:         0
        .size:           48
        .value_kind:     by_value
    .group_segment_fixed_size: 0
    .kernarg_segment_align: 8
    .kernarg_segment_size: 48
    .language:       OpenCL C
    .language_version:
      - 2
      - 0
    .max_flat_workgroup_size: 256
    .name:           _ZN7rocprim17ROCPRIM_400000_NS6detail17trampoline_kernelINS0_14default_configENS1_22reduce_config_selectorIlEEZNS1_11reduce_implILb1ES3_PlS7_lN6thrust23THRUST_200600_302600_NS4plusIlEEEE10hipError_tPvRmT1_T2_T3_mT4_P12ihipStream_tbEUlT_E1_NS1_11comp_targetILNS1_3genE10ELNS1_11target_archE1200ELNS1_3gpuE4ELNS1_3repE0EEENS1_30default_config_static_selectorELNS0_4arch9wavefront6targetE0EEEvSF_
    .private_segment_fixed_size: 0
    .sgpr_count:     0
    .sgpr_spill_count: 0
    .symbol:         _ZN7rocprim17ROCPRIM_400000_NS6detail17trampoline_kernelINS0_14default_configENS1_22reduce_config_selectorIlEEZNS1_11reduce_implILb1ES3_PlS7_lN6thrust23THRUST_200600_302600_NS4plusIlEEEE10hipError_tPvRmT1_T2_T3_mT4_P12ihipStream_tbEUlT_E1_NS1_11comp_targetILNS1_3genE10ELNS1_11target_archE1200ELNS1_3gpuE4ELNS1_3repE0EEENS1_30default_config_static_selectorELNS0_4arch9wavefront6targetE0EEEvSF_.kd
    .uniform_work_group_size: 1
    .uses_dynamic_stack: false
    .vgpr_count:     0
    .vgpr_spill_count: 0
    .wavefront_size: 32
    .workgroup_processor_mode: 1
  - .args:
      - .offset:         0
        .size:           48
        .value_kind:     by_value
    .group_segment_fixed_size: 0
    .kernarg_segment_align: 8
    .kernarg_segment_size: 48
    .language:       OpenCL C
    .language_version:
      - 2
      - 0
    .max_flat_workgroup_size: 256
    .name:           _ZN7rocprim17ROCPRIM_400000_NS6detail17trampoline_kernelINS0_14default_configENS1_22reduce_config_selectorIlEEZNS1_11reduce_implILb1ES3_PlS7_lN6thrust23THRUST_200600_302600_NS4plusIlEEEE10hipError_tPvRmT1_T2_T3_mT4_P12ihipStream_tbEUlT_E1_NS1_11comp_targetILNS1_3genE9ELNS1_11target_archE1100ELNS1_3gpuE3ELNS1_3repE0EEENS1_30default_config_static_selectorELNS0_4arch9wavefront6targetE0EEEvSF_
    .private_segment_fixed_size: 0
    .sgpr_count:     0
    .sgpr_spill_count: 0
    .symbol:         _ZN7rocprim17ROCPRIM_400000_NS6detail17trampoline_kernelINS0_14default_configENS1_22reduce_config_selectorIlEEZNS1_11reduce_implILb1ES3_PlS7_lN6thrust23THRUST_200600_302600_NS4plusIlEEEE10hipError_tPvRmT1_T2_T3_mT4_P12ihipStream_tbEUlT_E1_NS1_11comp_targetILNS1_3genE9ELNS1_11target_archE1100ELNS1_3gpuE3ELNS1_3repE0EEENS1_30default_config_static_selectorELNS0_4arch9wavefront6targetE0EEEvSF_.kd
    .uniform_work_group_size: 1
    .uses_dynamic_stack: false
    .vgpr_count:     0
    .vgpr_spill_count: 0
    .wavefront_size: 32
    .workgroup_processor_mode: 1
  - .args:
      - .offset:         0
        .size:           48
        .value_kind:     by_value
    .group_segment_fixed_size: 0
    .kernarg_segment_align: 8
    .kernarg_segment_size: 48
    .language:       OpenCL C
    .language_version:
      - 2
      - 0
    .max_flat_workgroup_size: 256
    .name:           _ZN7rocprim17ROCPRIM_400000_NS6detail17trampoline_kernelINS0_14default_configENS1_22reduce_config_selectorIlEEZNS1_11reduce_implILb1ES3_PlS7_lN6thrust23THRUST_200600_302600_NS4plusIlEEEE10hipError_tPvRmT1_T2_T3_mT4_P12ihipStream_tbEUlT_E1_NS1_11comp_targetILNS1_3genE8ELNS1_11target_archE1030ELNS1_3gpuE2ELNS1_3repE0EEENS1_30default_config_static_selectorELNS0_4arch9wavefront6targetE0EEEvSF_
    .private_segment_fixed_size: 0
    .sgpr_count:     0
    .sgpr_spill_count: 0
    .symbol:         _ZN7rocprim17ROCPRIM_400000_NS6detail17trampoline_kernelINS0_14default_configENS1_22reduce_config_selectorIlEEZNS1_11reduce_implILb1ES3_PlS7_lN6thrust23THRUST_200600_302600_NS4plusIlEEEE10hipError_tPvRmT1_T2_T3_mT4_P12ihipStream_tbEUlT_E1_NS1_11comp_targetILNS1_3genE8ELNS1_11target_archE1030ELNS1_3gpuE2ELNS1_3repE0EEENS1_30default_config_static_selectorELNS0_4arch9wavefront6targetE0EEEvSF_.kd
    .uniform_work_group_size: 1
    .uses_dynamic_stack: false
    .vgpr_count:     0
    .vgpr_spill_count: 0
    .wavefront_size: 32
    .workgroup_processor_mode: 1
  - .args:
      - .offset:         0
        .size:           72
        .value_kind:     by_value
    .group_segment_fixed_size: 0
    .kernarg_segment_align: 8
    .kernarg_segment_size: 72
    .language:       OpenCL C
    .language_version:
      - 2
      - 0
    .max_flat_workgroup_size: 256
    .name:           _ZN7rocprim17ROCPRIM_400000_NS6detail17trampoline_kernelINS0_14default_configENS1_22reduce_config_selectorIlEEZNS1_11reduce_implILb1ES3_N6thrust23THRUST_200600_302600_NS11hip_rocprim26transform_input_iterator_tIlNS8_6detail15normal_iteratorINS8_10device_ptrIiEEEE6is_oddIiEEEPllNS8_4plusIlEEEE10hipError_tPvRmT1_T2_T3_mT4_P12ihipStream_tbEUlT_E0_NS1_11comp_targetILNS1_3genE0ELNS1_11target_archE4294967295ELNS1_3gpuE0ELNS1_3repE0EEENS1_30default_config_static_selectorELNS0_4arch9wavefront6targetE0EEEvSP_
    .private_segment_fixed_size: 0
    .sgpr_count:     0
    .sgpr_spill_count: 0
    .symbol:         _ZN7rocprim17ROCPRIM_400000_NS6detail17trampoline_kernelINS0_14default_configENS1_22reduce_config_selectorIlEEZNS1_11reduce_implILb1ES3_N6thrust23THRUST_200600_302600_NS11hip_rocprim26transform_input_iterator_tIlNS8_6detail15normal_iteratorINS8_10device_ptrIiEEEE6is_oddIiEEEPllNS8_4plusIlEEEE10hipError_tPvRmT1_T2_T3_mT4_P12ihipStream_tbEUlT_E0_NS1_11comp_targetILNS1_3genE0ELNS1_11target_archE4294967295ELNS1_3gpuE0ELNS1_3repE0EEENS1_30default_config_static_selectorELNS0_4arch9wavefront6targetE0EEEvSP_.kd
    .uniform_work_group_size: 1
    .uses_dynamic_stack: false
    .vgpr_count:     0
    .vgpr_spill_count: 0
    .wavefront_size: 32
    .workgroup_processor_mode: 1
  - .args:
      - .offset:         0
        .size:           72
        .value_kind:     by_value
    .group_segment_fixed_size: 0
    .kernarg_segment_align: 8
    .kernarg_segment_size: 72
    .language:       OpenCL C
    .language_version:
      - 2
      - 0
    .max_flat_workgroup_size: 256
    .name:           _ZN7rocprim17ROCPRIM_400000_NS6detail17trampoline_kernelINS0_14default_configENS1_22reduce_config_selectorIlEEZNS1_11reduce_implILb1ES3_N6thrust23THRUST_200600_302600_NS11hip_rocprim26transform_input_iterator_tIlNS8_6detail15normal_iteratorINS8_10device_ptrIiEEEE6is_oddIiEEEPllNS8_4plusIlEEEE10hipError_tPvRmT1_T2_T3_mT4_P12ihipStream_tbEUlT_E0_NS1_11comp_targetILNS1_3genE5ELNS1_11target_archE942ELNS1_3gpuE9ELNS1_3repE0EEENS1_30default_config_static_selectorELNS0_4arch9wavefront6targetE0EEEvSP_
    .private_segment_fixed_size: 0
    .sgpr_count:     0
    .sgpr_spill_count: 0
    .symbol:         _ZN7rocprim17ROCPRIM_400000_NS6detail17trampoline_kernelINS0_14default_configENS1_22reduce_config_selectorIlEEZNS1_11reduce_implILb1ES3_N6thrust23THRUST_200600_302600_NS11hip_rocprim26transform_input_iterator_tIlNS8_6detail15normal_iteratorINS8_10device_ptrIiEEEE6is_oddIiEEEPllNS8_4plusIlEEEE10hipError_tPvRmT1_T2_T3_mT4_P12ihipStream_tbEUlT_E0_NS1_11comp_targetILNS1_3genE5ELNS1_11target_archE942ELNS1_3gpuE9ELNS1_3repE0EEENS1_30default_config_static_selectorELNS0_4arch9wavefront6targetE0EEEvSP_.kd
    .uniform_work_group_size: 1
    .uses_dynamic_stack: false
    .vgpr_count:     0
    .vgpr_spill_count: 0
    .wavefront_size: 32
    .workgroup_processor_mode: 1
  - .args:
      - .offset:         0
        .size:           72
        .value_kind:     by_value
    .group_segment_fixed_size: 0
    .kernarg_segment_align: 8
    .kernarg_segment_size: 72
    .language:       OpenCL C
    .language_version:
      - 2
      - 0
    .max_flat_workgroup_size: 256
    .name:           _ZN7rocprim17ROCPRIM_400000_NS6detail17trampoline_kernelINS0_14default_configENS1_22reduce_config_selectorIlEEZNS1_11reduce_implILb1ES3_N6thrust23THRUST_200600_302600_NS11hip_rocprim26transform_input_iterator_tIlNS8_6detail15normal_iteratorINS8_10device_ptrIiEEEE6is_oddIiEEEPllNS8_4plusIlEEEE10hipError_tPvRmT1_T2_T3_mT4_P12ihipStream_tbEUlT_E0_NS1_11comp_targetILNS1_3genE4ELNS1_11target_archE910ELNS1_3gpuE8ELNS1_3repE0EEENS1_30default_config_static_selectorELNS0_4arch9wavefront6targetE0EEEvSP_
    .private_segment_fixed_size: 0
    .sgpr_count:     0
    .sgpr_spill_count: 0
    .symbol:         _ZN7rocprim17ROCPRIM_400000_NS6detail17trampoline_kernelINS0_14default_configENS1_22reduce_config_selectorIlEEZNS1_11reduce_implILb1ES3_N6thrust23THRUST_200600_302600_NS11hip_rocprim26transform_input_iterator_tIlNS8_6detail15normal_iteratorINS8_10device_ptrIiEEEE6is_oddIiEEEPllNS8_4plusIlEEEE10hipError_tPvRmT1_T2_T3_mT4_P12ihipStream_tbEUlT_E0_NS1_11comp_targetILNS1_3genE4ELNS1_11target_archE910ELNS1_3gpuE8ELNS1_3repE0EEENS1_30default_config_static_selectorELNS0_4arch9wavefront6targetE0EEEvSP_.kd
    .uniform_work_group_size: 1
    .uses_dynamic_stack: false
    .vgpr_count:     0
    .vgpr_spill_count: 0
    .wavefront_size: 32
    .workgroup_processor_mode: 1
  - .args:
      - .offset:         0
        .size:           72
        .value_kind:     by_value
    .group_segment_fixed_size: 0
    .kernarg_segment_align: 8
    .kernarg_segment_size: 72
    .language:       OpenCL C
    .language_version:
      - 2
      - 0
    .max_flat_workgroup_size: 256
    .name:           _ZN7rocprim17ROCPRIM_400000_NS6detail17trampoline_kernelINS0_14default_configENS1_22reduce_config_selectorIlEEZNS1_11reduce_implILb1ES3_N6thrust23THRUST_200600_302600_NS11hip_rocprim26transform_input_iterator_tIlNS8_6detail15normal_iteratorINS8_10device_ptrIiEEEE6is_oddIiEEEPllNS8_4plusIlEEEE10hipError_tPvRmT1_T2_T3_mT4_P12ihipStream_tbEUlT_E0_NS1_11comp_targetILNS1_3genE3ELNS1_11target_archE908ELNS1_3gpuE7ELNS1_3repE0EEENS1_30default_config_static_selectorELNS0_4arch9wavefront6targetE0EEEvSP_
    .private_segment_fixed_size: 0
    .sgpr_count:     0
    .sgpr_spill_count: 0
    .symbol:         _ZN7rocprim17ROCPRIM_400000_NS6detail17trampoline_kernelINS0_14default_configENS1_22reduce_config_selectorIlEEZNS1_11reduce_implILb1ES3_N6thrust23THRUST_200600_302600_NS11hip_rocprim26transform_input_iterator_tIlNS8_6detail15normal_iteratorINS8_10device_ptrIiEEEE6is_oddIiEEEPllNS8_4plusIlEEEE10hipError_tPvRmT1_T2_T3_mT4_P12ihipStream_tbEUlT_E0_NS1_11comp_targetILNS1_3genE3ELNS1_11target_archE908ELNS1_3gpuE7ELNS1_3repE0EEENS1_30default_config_static_selectorELNS0_4arch9wavefront6targetE0EEEvSP_.kd
    .uniform_work_group_size: 1
    .uses_dynamic_stack: false
    .vgpr_count:     0
    .vgpr_spill_count: 0
    .wavefront_size: 32
    .workgroup_processor_mode: 1
  - .args:
      - .offset:         0
        .size:           72
        .value_kind:     by_value
    .group_segment_fixed_size: 0
    .kernarg_segment_align: 8
    .kernarg_segment_size: 72
    .language:       OpenCL C
    .language_version:
      - 2
      - 0
    .max_flat_workgroup_size: 256
    .name:           _ZN7rocprim17ROCPRIM_400000_NS6detail17trampoline_kernelINS0_14default_configENS1_22reduce_config_selectorIlEEZNS1_11reduce_implILb1ES3_N6thrust23THRUST_200600_302600_NS11hip_rocprim26transform_input_iterator_tIlNS8_6detail15normal_iteratorINS8_10device_ptrIiEEEE6is_oddIiEEEPllNS8_4plusIlEEEE10hipError_tPvRmT1_T2_T3_mT4_P12ihipStream_tbEUlT_E0_NS1_11comp_targetILNS1_3genE2ELNS1_11target_archE906ELNS1_3gpuE6ELNS1_3repE0EEENS1_30default_config_static_selectorELNS0_4arch9wavefront6targetE0EEEvSP_
    .private_segment_fixed_size: 0
    .sgpr_count:     0
    .sgpr_spill_count: 0
    .symbol:         _ZN7rocprim17ROCPRIM_400000_NS6detail17trampoline_kernelINS0_14default_configENS1_22reduce_config_selectorIlEEZNS1_11reduce_implILb1ES3_N6thrust23THRUST_200600_302600_NS11hip_rocprim26transform_input_iterator_tIlNS8_6detail15normal_iteratorINS8_10device_ptrIiEEEE6is_oddIiEEEPllNS8_4plusIlEEEE10hipError_tPvRmT1_T2_T3_mT4_P12ihipStream_tbEUlT_E0_NS1_11comp_targetILNS1_3genE2ELNS1_11target_archE906ELNS1_3gpuE6ELNS1_3repE0EEENS1_30default_config_static_selectorELNS0_4arch9wavefront6targetE0EEEvSP_.kd
    .uniform_work_group_size: 1
    .uses_dynamic_stack: false
    .vgpr_count:     0
    .vgpr_spill_count: 0
    .wavefront_size: 32
    .workgroup_processor_mode: 1
  - .args:
      - .offset:         0
        .size:           72
        .value_kind:     by_value
    .group_segment_fixed_size: 128
    .kernarg_segment_align: 8
    .kernarg_segment_size: 72
    .language:       OpenCL C
    .language_version:
      - 2
      - 0
    .max_flat_workgroup_size: 256
    .name:           _ZN7rocprim17ROCPRIM_400000_NS6detail17trampoline_kernelINS0_14default_configENS1_22reduce_config_selectorIlEEZNS1_11reduce_implILb1ES3_N6thrust23THRUST_200600_302600_NS11hip_rocprim26transform_input_iterator_tIlNS8_6detail15normal_iteratorINS8_10device_ptrIiEEEE6is_oddIiEEEPllNS8_4plusIlEEEE10hipError_tPvRmT1_T2_T3_mT4_P12ihipStream_tbEUlT_E0_NS1_11comp_targetILNS1_3genE10ELNS1_11target_archE1201ELNS1_3gpuE5ELNS1_3repE0EEENS1_30default_config_static_selectorELNS0_4arch9wavefront6targetE0EEEvSP_
    .private_segment_fixed_size: 0
    .sgpr_count:     32
    .sgpr_spill_count: 0
    .symbol:         _ZN7rocprim17ROCPRIM_400000_NS6detail17trampoline_kernelINS0_14default_configENS1_22reduce_config_selectorIlEEZNS1_11reduce_implILb1ES3_N6thrust23THRUST_200600_302600_NS11hip_rocprim26transform_input_iterator_tIlNS8_6detail15normal_iteratorINS8_10device_ptrIiEEEE6is_oddIiEEEPllNS8_4plusIlEEEE10hipError_tPvRmT1_T2_T3_mT4_P12ihipStream_tbEUlT_E0_NS1_11comp_targetILNS1_3genE10ELNS1_11target_archE1201ELNS1_3gpuE5ELNS1_3repE0EEENS1_30default_config_static_selectorELNS0_4arch9wavefront6targetE0EEEvSP_.kd
    .uniform_work_group_size: 1
    .uses_dynamic_stack: false
    .vgpr_count:     36
    .vgpr_spill_count: 0
    .wavefront_size: 32
    .workgroup_processor_mode: 1
  - .args:
      - .offset:         0
        .size:           72
        .value_kind:     by_value
    .group_segment_fixed_size: 0
    .kernarg_segment_align: 8
    .kernarg_segment_size: 72
    .language:       OpenCL C
    .language_version:
      - 2
      - 0
    .max_flat_workgroup_size: 256
    .name:           _ZN7rocprim17ROCPRIM_400000_NS6detail17trampoline_kernelINS0_14default_configENS1_22reduce_config_selectorIlEEZNS1_11reduce_implILb1ES3_N6thrust23THRUST_200600_302600_NS11hip_rocprim26transform_input_iterator_tIlNS8_6detail15normal_iteratorINS8_10device_ptrIiEEEE6is_oddIiEEEPllNS8_4plusIlEEEE10hipError_tPvRmT1_T2_T3_mT4_P12ihipStream_tbEUlT_E0_NS1_11comp_targetILNS1_3genE10ELNS1_11target_archE1200ELNS1_3gpuE4ELNS1_3repE0EEENS1_30default_config_static_selectorELNS0_4arch9wavefront6targetE0EEEvSP_
    .private_segment_fixed_size: 0
    .sgpr_count:     0
    .sgpr_spill_count: 0
    .symbol:         _ZN7rocprim17ROCPRIM_400000_NS6detail17trampoline_kernelINS0_14default_configENS1_22reduce_config_selectorIlEEZNS1_11reduce_implILb1ES3_N6thrust23THRUST_200600_302600_NS11hip_rocprim26transform_input_iterator_tIlNS8_6detail15normal_iteratorINS8_10device_ptrIiEEEE6is_oddIiEEEPllNS8_4plusIlEEEE10hipError_tPvRmT1_T2_T3_mT4_P12ihipStream_tbEUlT_E0_NS1_11comp_targetILNS1_3genE10ELNS1_11target_archE1200ELNS1_3gpuE4ELNS1_3repE0EEENS1_30default_config_static_selectorELNS0_4arch9wavefront6targetE0EEEvSP_.kd
    .uniform_work_group_size: 1
    .uses_dynamic_stack: false
    .vgpr_count:     0
    .vgpr_spill_count: 0
    .wavefront_size: 32
    .workgroup_processor_mode: 1
  - .args:
      - .offset:         0
        .size:           72
        .value_kind:     by_value
    .group_segment_fixed_size: 0
    .kernarg_segment_align: 8
    .kernarg_segment_size: 72
    .language:       OpenCL C
    .language_version:
      - 2
      - 0
    .max_flat_workgroup_size: 256
    .name:           _ZN7rocprim17ROCPRIM_400000_NS6detail17trampoline_kernelINS0_14default_configENS1_22reduce_config_selectorIlEEZNS1_11reduce_implILb1ES3_N6thrust23THRUST_200600_302600_NS11hip_rocprim26transform_input_iterator_tIlNS8_6detail15normal_iteratorINS8_10device_ptrIiEEEE6is_oddIiEEEPllNS8_4plusIlEEEE10hipError_tPvRmT1_T2_T3_mT4_P12ihipStream_tbEUlT_E0_NS1_11comp_targetILNS1_3genE9ELNS1_11target_archE1100ELNS1_3gpuE3ELNS1_3repE0EEENS1_30default_config_static_selectorELNS0_4arch9wavefront6targetE0EEEvSP_
    .private_segment_fixed_size: 0
    .sgpr_count:     0
    .sgpr_spill_count: 0
    .symbol:         _ZN7rocprim17ROCPRIM_400000_NS6detail17trampoline_kernelINS0_14default_configENS1_22reduce_config_selectorIlEEZNS1_11reduce_implILb1ES3_N6thrust23THRUST_200600_302600_NS11hip_rocprim26transform_input_iterator_tIlNS8_6detail15normal_iteratorINS8_10device_ptrIiEEEE6is_oddIiEEEPllNS8_4plusIlEEEE10hipError_tPvRmT1_T2_T3_mT4_P12ihipStream_tbEUlT_E0_NS1_11comp_targetILNS1_3genE9ELNS1_11target_archE1100ELNS1_3gpuE3ELNS1_3repE0EEENS1_30default_config_static_selectorELNS0_4arch9wavefront6targetE0EEEvSP_.kd
    .uniform_work_group_size: 1
    .uses_dynamic_stack: false
    .vgpr_count:     0
    .vgpr_spill_count: 0
    .wavefront_size: 32
    .workgroup_processor_mode: 1
  - .args:
      - .offset:         0
        .size:           72
        .value_kind:     by_value
    .group_segment_fixed_size: 0
    .kernarg_segment_align: 8
    .kernarg_segment_size: 72
    .language:       OpenCL C
    .language_version:
      - 2
      - 0
    .max_flat_workgroup_size: 256
    .name:           _ZN7rocprim17ROCPRIM_400000_NS6detail17trampoline_kernelINS0_14default_configENS1_22reduce_config_selectorIlEEZNS1_11reduce_implILb1ES3_N6thrust23THRUST_200600_302600_NS11hip_rocprim26transform_input_iterator_tIlNS8_6detail15normal_iteratorINS8_10device_ptrIiEEEE6is_oddIiEEEPllNS8_4plusIlEEEE10hipError_tPvRmT1_T2_T3_mT4_P12ihipStream_tbEUlT_E0_NS1_11comp_targetILNS1_3genE8ELNS1_11target_archE1030ELNS1_3gpuE2ELNS1_3repE0EEENS1_30default_config_static_selectorELNS0_4arch9wavefront6targetE0EEEvSP_
    .private_segment_fixed_size: 0
    .sgpr_count:     0
    .sgpr_spill_count: 0
    .symbol:         _ZN7rocprim17ROCPRIM_400000_NS6detail17trampoline_kernelINS0_14default_configENS1_22reduce_config_selectorIlEEZNS1_11reduce_implILb1ES3_N6thrust23THRUST_200600_302600_NS11hip_rocprim26transform_input_iterator_tIlNS8_6detail15normal_iteratorINS8_10device_ptrIiEEEE6is_oddIiEEEPllNS8_4plusIlEEEE10hipError_tPvRmT1_T2_T3_mT4_P12ihipStream_tbEUlT_E0_NS1_11comp_targetILNS1_3genE8ELNS1_11target_archE1030ELNS1_3gpuE2ELNS1_3repE0EEENS1_30default_config_static_selectorELNS0_4arch9wavefront6targetE0EEEvSP_.kd
    .uniform_work_group_size: 1
    .uses_dynamic_stack: false
    .vgpr_count:     0
    .vgpr_spill_count: 0
    .wavefront_size: 32
    .workgroup_processor_mode: 1
  - .args:
      - .offset:         0
        .size:           56
        .value_kind:     by_value
    .group_segment_fixed_size: 0
    .kernarg_segment_align: 8
    .kernarg_segment_size: 56
    .language:       OpenCL C
    .language_version:
      - 2
      - 0
    .max_flat_workgroup_size: 256
    .name:           _ZN7rocprim17ROCPRIM_400000_NS6detail17trampoline_kernelINS0_14default_configENS1_22reduce_config_selectorIlEEZNS1_11reduce_implILb1ES3_N6thrust23THRUST_200600_302600_NS11hip_rocprim26transform_input_iterator_tIlNS8_6detail15normal_iteratorINS8_10device_ptrIiEEEE6is_oddIiEEEPllNS8_4plusIlEEEE10hipError_tPvRmT1_T2_T3_mT4_P12ihipStream_tbEUlT_E1_NS1_11comp_targetILNS1_3genE0ELNS1_11target_archE4294967295ELNS1_3gpuE0ELNS1_3repE0EEENS1_30default_config_static_selectorELNS0_4arch9wavefront6targetE0EEEvSP_
    .private_segment_fixed_size: 0
    .sgpr_count:     0
    .sgpr_spill_count: 0
    .symbol:         _ZN7rocprim17ROCPRIM_400000_NS6detail17trampoline_kernelINS0_14default_configENS1_22reduce_config_selectorIlEEZNS1_11reduce_implILb1ES3_N6thrust23THRUST_200600_302600_NS11hip_rocprim26transform_input_iterator_tIlNS8_6detail15normal_iteratorINS8_10device_ptrIiEEEE6is_oddIiEEEPllNS8_4plusIlEEEE10hipError_tPvRmT1_T2_T3_mT4_P12ihipStream_tbEUlT_E1_NS1_11comp_targetILNS1_3genE0ELNS1_11target_archE4294967295ELNS1_3gpuE0ELNS1_3repE0EEENS1_30default_config_static_selectorELNS0_4arch9wavefront6targetE0EEEvSP_.kd
    .uniform_work_group_size: 1
    .uses_dynamic_stack: false
    .vgpr_count:     0
    .vgpr_spill_count: 0
    .wavefront_size: 32
    .workgroup_processor_mode: 1
  - .args:
      - .offset:         0
        .size:           56
        .value_kind:     by_value
    .group_segment_fixed_size: 0
    .kernarg_segment_align: 8
    .kernarg_segment_size: 56
    .language:       OpenCL C
    .language_version:
      - 2
      - 0
    .max_flat_workgroup_size: 256
    .name:           _ZN7rocprim17ROCPRIM_400000_NS6detail17trampoline_kernelINS0_14default_configENS1_22reduce_config_selectorIlEEZNS1_11reduce_implILb1ES3_N6thrust23THRUST_200600_302600_NS11hip_rocprim26transform_input_iterator_tIlNS8_6detail15normal_iteratorINS8_10device_ptrIiEEEE6is_oddIiEEEPllNS8_4plusIlEEEE10hipError_tPvRmT1_T2_T3_mT4_P12ihipStream_tbEUlT_E1_NS1_11comp_targetILNS1_3genE5ELNS1_11target_archE942ELNS1_3gpuE9ELNS1_3repE0EEENS1_30default_config_static_selectorELNS0_4arch9wavefront6targetE0EEEvSP_
    .private_segment_fixed_size: 0
    .sgpr_count:     0
    .sgpr_spill_count: 0
    .symbol:         _ZN7rocprim17ROCPRIM_400000_NS6detail17trampoline_kernelINS0_14default_configENS1_22reduce_config_selectorIlEEZNS1_11reduce_implILb1ES3_N6thrust23THRUST_200600_302600_NS11hip_rocprim26transform_input_iterator_tIlNS8_6detail15normal_iteratorINS8_10device_ptrIiEEEE6is_oddIiEEEPllNS8_4plusIlEEEE10hipError_tPvRmT1_T2_T3_mT4_P12ihipStream_tbEUlT_E1_NS1_11comp_targetILNS1_3genE5ELNS1_11target_archE942ELNS1_3gpuE9ELNS1_3repE0EEENS1_30default_config_static_selectorELNS0_4arch9wavefront6targetE0EEEvSP_.kd
    .uniform_work_group_size: 1
    .uses_dynamic_stack: false
    .vgpr_count:     0
    .vgpr_spill_count: 0
    .wavefront_size: 32
    .workgroup_processor_mode: 1
  - .args:
      - .offset:         0
        .size:           56
        .value_kind:     by_value
    .group_segment_fixed_size: 0
    .kernarg_segment_align: 8
    .kernarg_segment_size: 56
    .language:       OpenCL C
    .language_version:
      - 2
      - 0
    .max_flat_workgroup_size: 256
    .name:           _ZN7rocprim17ROCPRIM_400000_NS6detail17trampoline_kernelINS0_14default_configENS1_22reduce_config_selectorIlEEZNS1_11reduce_implILb1ES3_N6thrust23THRUST_200600_302600_NS11hip_rocprim26transform_input_iterator_tIlNS8_6detail15normal_iteratorINS8_10device_ptrIiEEEE6is_oddIiEEEPllNS8_4plusIlEEEE10hipError_tPvRmT1_T2_T3_mT4_P12ihipStream_tbEUlT_E1_NS1_11comp_targetILNS1_3genE4ELNS1_11target_archE910ELNS1_3gpuE8ELNS1_3repE0EEENS1_30default_config_static_selectorELNS0_4arch9wavefront6targetE0EEEvSP_
    .private_segment_fixed_size: 0
    .sgpr_count:     0
    .sgpr_spill_count: 0
    .symbol:         _ZN7rocprim17ROCPRIM_400000_NS6detail17trampoline_kernelINS0_14default_configENS1_22reduce_config_selectorIlEEZNS1_11reduce_implILb1ES3_N6thrust23THRUST_200600_302600_NS11hip_rocprim26transform_input_iterator_tIlNS8_6detail15normal_iteratorINS8_10device_ptrIiEEEE6is_oddIiEEEPllNS8_4plusIlEEEE10hipError_tPvRmT1_T2_T3_mT4_P12ihipStream_tbEUlT_E1_NS1_11comp_targetILNS1_3genE4ELNS1_11target_archE910ELNS1_3gpuE8ELNS1_3repE0EEENS1_30default_config_static_selectorELNS0_4arch9wavefront6targetE0EEEvSP_.kd
    .uniform_work_group_size: 1
    .uses_dynamic_stack: false
    .vgpr_count:     0
    .vgpr_spill_count: 0
    .wavefront_size: 32
    .workgroup_processor_mode: 1
  - .args:
      - .offset:         0
        .size:           56
        .value_kind:     by_value
    .group_segment_fixed_size: 0
    .kernarg_segment_align: 8
    .kernarg_segment_size: 56
    .language:       OpenCL C
    .language_version:
      - 2
      - 0
    .max_flat_workgroup_size: 256
    .name:           _ZN7rocprim17ROCPRIM_400000_NS6detail17trampoline_kernelINS0_14default_configENS1_22reduce_config_selectorIlEEZNS1_11reduce_implILb1ES3_N6thrust23THRUST_200600_302600_NS11hip_rocprim26transform_input_iterator_tIlNS8_6detail15normal_iteratorINS8_10device_ptrIiEEEE6is_oddIiEEEPllNS8_4plusIlEEEE10hipError_tPvRmT1_T2_T3_mT4_P12ihipStream_tbEUlT_E1_NS1_11comp_targetILNS1_3genE3ELNS1_11target_archE908ELNS1_3gpuE7ELNS1_3repE0EEENS1_30default_config_static_selectorELNS0_4arch9wavefront6targetE0EEEvSP_
    .private_segment_fixed_size: 0
    .sgpr_count:     0
    .sgpr_spill_count: 0
    .symbol:         _ZN7rocprim17ROCPRIM_400000_NS6detail17trampoline_kernelINS0_14default_configENS1_22reduce_config_selectorIlEEZNS1_11reduce_implILb1ES3_N6thrust23THRUST_200600_302600_NS11hip_rocprim26transform_input_iterator_tIlNS8_6detail15normal_iteratorINS8_10device_ptrIiEEEE6is_oddIiEEEPllNS8_4plusIlEEEE10hipError_tPvRmT1_T2_T3_mT4_P12ihipStream_tbEUlT_E1_NS1_11comp_targetILNS1_3genE3ELNS1_11target_archE908ELNS1_3gpuE7ELNS1_3repE0EEENS1_30default_config_static_selectorELNS0_4arch9wavefront6targetE0EEEvSP_.kd
    .uniform_work_group_size: 1
    .uses_dynamic_stack: false
    .vgpr_count:     0
    .vgpr_spill_count: 0
    .wavefront_size: 32
    .workgroup_processor_mode: 1
  - .args:
      - .offset:         0
        .size:           56
        .value_kind:     by_value
    .group_segment_fixed_size: 0
    .kernarg_segment_align: 8
    .kernarg_segment_size: 56
    .language:       OpenCL C
    .language_version:
      - 2
      - 0
    .max_flat_workgroup_size: 256
    .name:           _ZN7rocprim17ROCPRIM_400000_NS6detail17trampoline_kernelINS0_14default_configENS1_22reduce_config_selectorIlEEZNS1_11reduce_implILb1ES3_N6thrust23THRUST_200600_302600_NS11hip_rocprim26transform_input_iterator_tIlNS8_6detail15normal_iteratorINS8_10device_ptrIiEEEE6is_oddIiEEEPllNS8_4plusIlEEEE10hipError_tPvRmT1_T2_T3_mT4_P12ihipStream_tbEUlT_E1_NS1_11comp_targetILNS1_3genE2ELNS1_11target_archE906ELNS1_3gpuE6ELNS1_3repE0EEENS1_30default_config_static_selectorELNS0_4arch9wavefront6targetE0EEEvSP_
    .private_segment_fixed_size: 0
    .sgpr_count:     0
    .sgpr_spill_count: 0
    .symbol:         _ZN7rocprim17ROCPRIM_400000_NS6detail17trampoline_kernelINS0_14default_configENS1_22reduce_config_selectorIlEEZNS1_11reduce_implILb1ES3_N6thrust23THRUST_200600_302600_NS11hip_rocprim26transform_input_iterator_tIlNS8_6detail15normal_iteratorINS8_10device_ptrIiEEEE6is_oddIiEEEPllNS8_4plusIlEEEE10hipError_tPvRmT1_T2_T3_mT4_P12ihipStream_tbEUlT_E1_NS1_11comp_targetILNS1_3genE2ELNS1_11target_archE906ELNS1_3gpuE6ELNS1_3repE0EEENS1_30default_config_static_selectorELNS0_4arch9wavefront6targetE0EEEvSP_.kd
    .uniform_work_group_size: 1
    .uses_dynamic_stack: false
    .vgpr_count:     0
    .vgpr_spill_count: 0
    .wavefront_size: 32
    .workgroup_processor_mode: 1
  - .args:
      - .offset:         0
        .size:           56
        .value_kind:     by_value
    .group_segment_fixed_size: 384
    .kernarg_segment_align: 8
    .kernarg_segment_size: 56
    .language:       OpenCL C
    .language_version:
      - 2
      - 0
    .max_flat_workgroup_size: 256
    .name:           _ZN7rocprim17ROCPRIM_400000_NS6detail17trampoline_kernelINS0_14default_configENS1_22reduce_config_selectorIlEEZNS1_11reduce_implILb1ES3_N6thrust23THRUST_200600_302600_NS11hip_rocprim26transform_input_iterator_tIlNS8_6detail15normal_iteratorINS8_10device_ptrIiEEEE6is_oddIiEEEPllNS8_4plusIlEEEE10hipError_tPvRmT1_T2_T3_mT4_P12ihipStream_tbEUlT_E1_NS1_11comp_targetILNS1_3genE10ELNS1_11target_archE1201ELNS1_3gpuE5ELNS1_3repE0EEENS1_30default_config_static_selectorELNS0_4arch9wavefront6targetE0EEEvSP_
    .private_segment_fixed_size: 0
    .sgpr_count:     32
    .sgpr_spill_count: 0
    .symbol:         _ZN7rocprim17ROCPRIM_400000_NS6detail17trampoline_kernelINS0_14default_configENS1_22reduce_config_selectorIlEEZNS1_11reduce_implILb1ES3_N6thrust23THRUST_200600_302600_NS11hip_rocprim26transform_input_iterator_tIlNS8_6detail15normal_iteratorINS8_10device_ptrIiEEEE6is_oddIiEEEPllNS8_4plusIlEEEE10hipError_tPvRmT1_T2_T3_mT4_P12ihipStream_tbEUlT_E1_NS1_11comp_targetILNS1_3genE10ELNS1_11target_archE1201ELNS1_3gpuE5ELNS1_3repE0EEENS1_30default_config_static_selectorELNS0_4arch9wavefront6targetE0EEEvSP_.kd
    .uniform_work_group_size: 1
    .uses_dynamic_stack: false
    .vgpr_count:     34
    .vgpr_spill_count: 0
    .wavefront_size: 32
    .workgroup_processor_mode: 1
  - .args:
      - .offset:         0
        .size:           56
        .value_kind:     by_value
    .group_segment_fixed_size: 0
    .kernarg_segment_align: 8
    .kernarg_segment_size: 56
    .language:       OpenCL C
    .language_version:
      - 2
      - 0
    .max_flat_workgroup_size: 256
    .name:           _ZN7rocprim17ROCPRIM_400000_NS6detail17trampoline_kernelINS0_14default_configENS1_22reduce_config_selectorIlEEZNS1_11reduce_implILb1ES3_N6thrust23THRUST_200600_302600_NS11hip_rocprim26transform_input_iterator_tIlNS8_6detail15normal_iteratorINS8_10device_ptrIiEEEE6is_oddIiEEEPllNS8_4plusIlEEEE10hipError_tPvRmT1_T2_T3_mT4_P12ihipStream_tbEUlT_E1_NS1_11comp_targetILNS1_3genE10ELNS1_11target_archE1200ELNS1_3gpuE4ELNS1_3repE0EEENS1_30default_config_static_selectorELNS0_4arch9wavefront6targetE0EEEvSP_
    .private_segment_fixed_size: 0
    .sgpr_count:     0
    .sgpr_spill_count: 0
    .symbol:         _ZN7rocprim17ROCPRIM_400000_NS6detail17trampoline_kernelINS0_14default_configENS1_22reduce_config_selectorIlEEZNS1_11reduce_implILb1ES3_N6thrust23THRUST_200600_302600_NS11hip_rocprim26transform_input_iterator_tIlNS8_6detail15normal_iteratorINS8_10device_ptrIiEEEE6is_oddIiEEEPllNS8_4plusIlEEEE10hipError_tPvRmT1_T2_T3_mT4_P12ihipStream_tbEUlT_E1_NS1_11comp_targetILNS1_3genE10ELNS1_11target_archE1200ELNS1_3gpuE4ELNS1_3repE0EEENS1_30default_config_static_selectorELNS0_4arch9wavefront6targetE0EEEvSP_.kd
    .uniform_work_group_size: 1
    .uses_dynamic_stack: false
    .vgpr_count:     0
    .vgpr_spill_count: 0
    .wavefront_size: 32
    .workgroup_processor_mode: 1
  - .args:
      - .offset:         0
        .size:           56
        .value_kind:     by_value
    .group_segment_fixed_size: 0
    .kernarg_segment_align: 8
    .kernarg_segment_size: 56
    .language:       OpenCL C
    .language_version:
      - 2
      - 0
    .max_flat_workgroup_size: 256
    .name:           _ZN7rocprim17ROCPRIM_400000_NS6detail17trampoline_kernelINS0_14default_configENS1_22reduce_config_selectorIlEEZNS1_11reduce_implILb1ES3_N6thrust23THRUST_200600_302600_NS11hip_rocprim26transform_input_iterator_tIlNS8_6detail15normal_iteratorINS8_10device_ptrIiEEEE6is_oddIiEEEPllNS8_4plusIlEEEE10hipError_tPvRmT1_T2_T3_mT4_P12ihipStream_tbEUlT_E1_NS1_11comp_targetILNS1_3genE9ELNS1_11target_archE1100ELNS1_3gpuE3ELNS1_3repE0EEENS1_30default_config_static_selectorELNS0_4arch9wavefront6targetE0EEEvSP_
    .private_segment_fixed_size: 0
    .sgpr_count:     0
    .sgpr_spill_count: 0
    .symbol:         _ZN7rocprim17ROCPRIM_400000_NS6detail17trampoline_kernelINS0_14default_configENS1_22reduce_config_selectorIlEEZNS1_11reduce_implILb1ES3_N6thrust23THRUST_200600_302600_NS11hip_rocprim26transform_input_iterator_tIlNS8_6detail15normal_iteratorINS8_10device_ptrIiEEEE6is_oddIiEEEPllNS8_4plusIlEEEE10hipError_tPvRmT1_T2_T3_mT4_P12ihipStream_tbEUlT_E1_NS1_11comp_targetILNS1_3genE9ELNS1_11target_archE1100ELNS1_3gpuE3ELNS1_3repE0EEENS1_30default_config_static_selectorELNS0_4arch9wavefront6targetE0EEEvSP_.kd
    .uniform_work_group_size: 1
    .uses_dynamic_stack: false
    .vgpr_count:     0
    .vgpr_spill_count: 0
    .wavefront_size: 32
    .workgroup_processor_mode: 1
  - .args:
      - .offset:         0
        .size:           56
        .value_kind:     by_value
    .group_segment_fixed_size: 0
    .kernarg_segment_align: 8
    .kernarg_segment_size: 56
    .language:       OpenCL C
    .language_version:
      - 2
      - 0
    .max_flat_workgroup_size: 256
    .name:           _ZN7rocprim17ROCPRIM_400000_NS6detail17trampoline_kernelINS0_14default_configENS1_22reduce_config_selectorIlEEZNS1_11reduce_implILb1ES3_N6thrust23THRUST_200600_302600_NS11hip_rocprim26transform_input_iterator_tIlNS8_6detail15normal_iteratorINS8_10device_ptrIiEEEE6is_oddIiEEEPllNS8_4plusIlEEEE10hipError_tPvRmT1_T2_T3_mT4_P12ihipStream_tbEUlT_E1_NS1_11comp_targetILNS1_3genE8ELNS1_11target_archE1030ELNS1_3gpuE2ELNS1_3repE0EEENS1_30default_config_static_selectorELNS0_4arch9wavefront6targetE0EEEvSP_
    .private_segment_fixed_size: 0
    .sgpr_count:     0
    .sgpr_spill_count: 0
    .symbol:         _ZN7rocprim17ROCPRIM_400000_NS6detail17trampoline_kernelINS0_14default_configENS1_22reduce_config_selectorIlEEZNS1_11reduce_implILb1ES3_N6thrust23THRUST_200600_302600_NS11hip_rocprim26transform_input_iterator_tIlNS8_6detail15normal_iteratorINS8_10device_ptrIiEEEE6is_oddIiEEEPllNS8_4plusIlEEEE10hipError_tPvRmT1_T2_T3_mT4_P12ihipStream_tbEUlT_E1_NS1_11comp_targetILNS1_3genE8ELNS1_11target_archE1030ELNS1_3gpuE2ELNS1_3repE0EEENS1_30default_config_static_selectorELNS0_4arch9wavefront6targetE0EEEvSP_.kd
    .uniform_work_group_size: 1
    .uses_dynamic_stack: false
    .vgpr_count:     0
    .vgpr_spill_count: 0
    .wavefront_size: 32
    .workgroup_processor_mode: 1
  - .args:
      - .offset:         0
        .size:           112
        .value_kind:     by_value
    .group_segment_fixed_size: 0
    .kernarg_segment_align: 8
    .kernarg_segment_size: 112
    .language:       OpenCL C
    .language_version:
      - 2
      - 0
    .max_flat_workgroup_size: 256
    .name:           _ZN7rocprim17ROCPRIM_400000_NS6detail17trampoline_kernelINS0_14default_configENS1_25partition_config_selectorILNS1_17partition_subalgoE6EiNS0_10empty_typeEbEEZZNS1_14partition_implILS5_6ELb0ES3_mN6thrust23THRUST_200600_302600_NS6detail15normal_iteratorINSA_10device_ptrIiEEEEPS6_SG_NS0_5tupleIJSF_S6_EEENSH_IJSG_SG_EEES6_PlJNSB_9not_fun_tI6is_oddIiEEEEEE10hipError_tPvRmT3_T4_T5_T6_T7_T9_mT8_P12ihipStream_tbDpT10_ENKUlT_T0_E_clISt17integral_constantIbLb0EES18_EEDaS13_S14_EUlS13_E_NS1_11comp_targetILNS1_3genE0ELNS1_11target_archE4294967295ELNS1_3gpuE0ELNS1_3repE0EEENS1_30default_config_static_selectorELNS0_4arch9wavefront6targetE0EEEvT1_
    .private_segment_fixed_size: 0
    .sgpr_count:     0
    .sgpr_spill_count: 0
    .symbol:         _ZN7rocprim17ROCPRIM_400000_NS6detail17trampoline_kernelINS0_14default_configENS1_25partition_config_selectorILNS1_17partition_subalgoE6EiNS0_10empty_typeEbEEZZNS1_14partition_implILS5_6ELb0ES3_mN6thrust23THRUST_200600_302600_NS6detail15normal_iteratorINSA_10device_ptrIiEEEEPS6_SG_NS0_5tupleIJSF_S6_EEENSH_IJSG_SG_EEES6_PlJNSB_9not_fun_tI6is_oddIiEEEEEE10hipError_tPvRmT3_T4_T5_T6_T7_T9_mT8_P12ihipStream_tbDpT10_ENKUlT_T0_E_clISt17integral_constantIbLb0EES18_EEDaS13_S14_EUlS13_E_NS1_11comp_targetILNS1_3genE0ELNS1_11target_archE4294967295ELNS1_3gpuE0ELNS1_3repE0EEENS1_30default_config_static_selectorELNS0_4arch9wavefront6targetE0EEEvT1_.kd
    .uniform_work_group_size: 1
    .uses_dynamic_stack: false
    .vgpr_count:     0
    .vgpr_spill_count: 0
    .wavefront_size: 32
    .workgroup_processor_mode: 1
  - .args:
      - .offset:         0
        .size:           112
        .value_kind:     by_value
    .group_segment_fixed_size: 0
    .kernarg_segment_align: 8
    .kernarg_segment_size: 112
    .language:       OpenCL C
    .language_version:
      - 2
      - 0
    .max_flat_workgroup_size: 512
    .name:           _ZN7rocprim17ROCPRIM_400000_NS6detail17trampoline_kernelINS0_14default_configENS1_25partition_config_selectorILNS1_17partition_subalgoE6EiNS0_10empty_typeEbEEZZNS1_14partition_implILS5_6ELb0ES3_mN6thrust23THRUST_200600_302600_NS6detail15normal_iteratorINSA_10device_ptrIiEEEEPS6_SG_NS0_5tupleIJSF_S6_EEENSH_IJSG_SG_EEES6_PlJNSB_9not_fun_tI6is_oddIiEEEEEE10hipError_tPvRmT3_T4_T5_T6_T7_T9_mT8_P12ihipStream_tbDpT10_ENKUlT_T0_E_clISt17integral_constantIbLb0EES18_EEDaS13_S14_EUlS13_E_NS1_11comp_targetILNS1_3genE5ELNS1_11target_archE942ELNS1_3gpuE9ELNS1_3repE0EEENS1_30default_config_static_selectorELNS0_4arch9wavefront6targetE0EEEvT1_
    .private_segment_fixed_size: 0
    .sgpr_count:     0
    .sgpr_spill_count: 0
    .symbol:         _ZN7rocprim17ROCPRIM_400000_NS6detail17trampoline_kernelINS0_14default_configENS1_25partition_config_selectorILNS1_17partition_subalgoE6EiNS0_10empty_typeEbEEZZNS1_14partition_implILS5_6ELb0ES3_mN6thrust23THRUST_200600_302600_NS6detail15normal_iteratorINSA_10device_ptrIiEEEEPS6_SG_NS0_5tupleIJSF_S6_EEENSH_IJSG_SG_EEES6_PlJNSB_9not_fun_tI6is_oddIiEEEEEE10hipError_tPvRmT3_T4_T5_T6_T7_T9_mT8_P12ihipStream_tbDpT10_ENKUlT_T0_E_clISt17integral_constantIbLb0EES18_EEDaS13_S14_EUlS13_E_NS1_11comp_targetILNS1_3genE5ELNS1_11target_archE942ELNS1_3gpuE9ELNS1_3repE0EEENS1_30default_config_static_selectorELNS0_4arch9wavefront6targetE0EEEvT1_.kd
    .uniform_work_group_size: 1
    .uses_dynamic_stack: false
    .vgpr_count:     0
    .vgpr_spill_count: 0
    .wavefront_size: 32
    .workgroup_processor_mode: 1
  - .args:
      - .offset:         0
        .size:           112
        .value_kind:     by_value
    .group_segment_fixed_size: 0
    .kernarg_segment_align: 8
    .kernarg_segment_size: 112
    .language:       OpenCL C
    .language_version:
      - 2
      - 0
    .max_flat_workgroup_size: 512
    .name:           _ZN7rocprim17ROCPRIM_400000_NS6detail17trampoline_kernelINS0_14default_configENS1_25partition_config_selectorILNS1_17partition_subalgoE6EiNS0_10empty_typeEbEEZZNS1_14partition_implILS5_6ELb0ES3_mN6thrust23THRUST_200600_302600_NS6detail15normal_iteratorINSA_10device_ptrIiEEEEPS6_SG_NS0_5tupleIJSF_S6_EEENSH_IJSG_SG_EEES6_PlJNSB_9not_fun_tI6is_oddIiEEEEEE10hipError_tPvRmT3_T4_T5_T6_T7_T9_mT8_P12ihipStream_tbDpT10_ENKUlT_T0_E_clISt17integral_constantIbLb0EES18_EEDaS13_S14_EUlS13_E_NS1_11comp_targetILNS1_3genE4ELNS1_11target_archE910ELNS1_3gpuE8ELNS1_3repE0EEENS1_30default_config_static_selectorELNS0_4arch9wavefront6targetE0EEEvT1_
    .private_segment_fixed_size: 0
    .sgpr_count:     0
    .sgpr_spill_count: 0
    .symbol:         _ZN7rocprim17ROCPRIM_400000_NS6detail17trampoline_kernelINS0_14default_configENS1_25partition_config_selectorILNS1_17partition_subalgoE6EiNS0_10empty_typeEbEEZZNS1_14partition_implILS5_6ELb0ES3_mN6thrust23THRUST_200600_302600_NS6detail15normal_iteratorINSA_10device_ptrIiEEEEPS6_SG_NS0_5tupleIJSF_S6_EEENSH_IJSG_SG_EEES6_PlJNSB_9not_fun_tI6is_oddIiEEEEEE10hipError_tPvRmT3_T4_T5_T6_T7_T9_mT8_P12ihipStream_tbDpT10_ENKUlT_T0_E_clISt17integral_constantIbLb0EES18_EEDaS13_S14_EUlS13_E_NS1_11comp_targetILNS1_3genE4ELNS1_11target_archE910ELNS1_3gpuE8ELNS1_3repE0EEENS1_30default_config_static_selectorELNS0_4arch9wavefront6targetE0EEEvT1_.kd
    .uniform_work_group_size: 1
    .uses_dynamic_stack: false
    .vgpr_count:     0
    .vgpr_spill_count: 0
    .wavefront_size: 32
    .workgroup_processor_mode: 1
  - .args:
      - .offset:         0
        .size:           112
        .value_kind:     by_value
    .group_segment_fixed_size: 0
    .kernarg_segment_align: 8
    .kernarg_segment_size: 112
    .language:       OpenCL C
    .language_version:
      - 2
      - 0
    .max_flat_workgroup_size: 256
    .name:           _ZN7rocprim17ROCPRIM_400000_NS6detail17trampoline_kernelINS0_14default_configENS1_25partition_config_selectorILNS1_17partition_subalgoE6EiNS0_10empty_typeEbEEZZNS1_14partition_implILS5_6ELb0ES3_mN6thrust23THRUST_200600_302600_NS6detail15normal_iteratorINSA_10device_ptrIiEEEEPS6_SG_NS0_5tupleIJSF_S6_EEENSH_IJSG_SG_EEES6_PlJNSB_9not_fun_tI6is_oddIiEEEEEE10hipError_tPvRmT3_T4_T5_T6_T7_T9_mT8_P12ihipStream_tbDpT10_ENKUlT_T0_E_clISt17integral_constantIbLb0EES18_EEDaS13_S14_EUlS13_E_NS1_11comp_targetILNS1_3genE3ELNS1_11target_archE908ELNS1_3gpuE7ELNS1_3repE0EEENS1_30default_config_static_selectorELNS0_4arch9wavefront6targetE0EEEvT1_
    .private_segment_fixed_size: 0
    .sgpr_count:     0
    .sgpr_spill_count: 0
    .symbol:         _ZN7rocprim17ROCPRIM_400000_NS6detail17trampoline_kernelINS0_14default_configENS1_25partition_config_selectorILNS1_17partition_subalgoE6EiNS0_10empty_typeEbEEZZNS1_14partition_implILS5_6ELb0ES3_mN6thrust23THRUST_200600_302600_NS6detail15normal_iteratorINSA_10device_ptrIiEEEEPS6_SG_NS0_5tupleIJSF_S6_EEENSH_IJSG_SG_EEES6_PlJNSB_9not_fun_tI6is_oddIiEEEEEE10hipError_tPvRmT3_T4_T5_T6_T7_T9_mT8_P12ihipStream_tbDpT10_ENKUlT_T0_E_clISt17integral_constantIbLb0EES18_EEDaS13_S14_EUlS13_E_NS1_11comp_targetILNS1_3genE3ELNS1_11target_archE908ELNS1_3gpuE7ELNS1_3repE0EEENS1_30default_config_static_selectorELNS0_4arch9wavefront6targetE0EEEvT1_.kd
    .uniform_work_group_size: 1
    .uses_dynamic_stack: false
    .vgpr_count:     0
    .vgpr_spill_count: 0
    .wavefront_size: 32
    .workgroup_processor_mode: 1
  - .args:
      - .offset:         0
        .size:           112
        .value_kind:     by_value
    .group_segment_fixed_size: 0
    .kernarg_segment_align: 8
    .kernarg_segment_size: 112
    .language:       OpenCL C
    .language_version:
      - 2
      - 0
    .max_flat_workgroup_size: 192
    .name:           _ZN7rocprim17ROCPRIM_400000_NS6detail17trampoline_kernelINS0_14default_configENS1_25partition_config_selectorILNS1_17partition_subalgoE6EiNS0_10empty_typeEbEEZZNS1_14partition_implILS5_6ELb0ES3_mN6thrust23THRUST_200600_302600_NS6detail15normal_iteratorINSA_10device_ptrIiEEEEPS6_SG_NS0_5tupleIJSF_S6_EEENSH_IJSG_SG_EEES6_PlJNSB_9not_fun_tI6is_oddIiEEEEEE10hipError_tPvRmT3_T4_T5_T6_T7_T9_mT8_P12ihipStream_tbDpT10_ENKUlT_T0_E_clISt17integral_constantIbLb0EES18_EEDaS13_S14_EUlS13_E_NS1_11comp_targetILNS1_3genE2ELNS1_11target_archE906ELNS1_3gpuE6ELNS1_3repE0EEENS1_30default_config_static_selectorELNS0_4arch9wavefront6targetE0EEEvT1_
    .private_segment_fixed_size: 0
    .sgpr_count:     0
    .sgpr_spill_count: 0
    .symbol:         _ZN7rocprim17ROCPRIM_400000_NS6detail17trampoline_kernelINS0_14default_configENS1_25partition_config_selectorILNS1_17partition_subalgoE6EiNS0_10empty_typeEbEEZZNS1_14partition_implILS5_6ELb0ES3_mN6thrust23THRUST_200600_302600_NS6detail15normal_iteratorINSA_10device_ptrIiEEEEPS6_SG_NS0_5tupleIJSF_S6_EEENSH_IJSG_SG_EEES6_PlJNSB_9not_fun_tI6is_oddIiEEEEEE10hipError_tPvRmT3_T4_T5_T6_T7_T9_mT8_P12ihipStream_tbDpT10_ENKUlT_T0_E_clISt17integral_constantIbLb0EES18_EEDaS13_S14_EUlS13_E_NS1_11comp_targetILNS1_3genE2ELNS1_11target_archE906ELNS1_3gpuE6ELNS1_3repE0EEENS1_30default_config_static_selectorELNS0_4arch9wavefront6targetE0EEEvT1_.kd
    .uniform_work_group_size: 1
    .uses_dynamic_stack: false
    .vgpr_count:     0
    .vgpr_spill_count: 0
    .wavefront_size: 32
    .workgroup_processor_mode: 1
  - .args:
      - .offset:         0
        .size:           112
        .value_kind:     by_value
    .group_segment_fixed_size: 10768
    .kernarg_segment_align: 8
    .kernarg_segment_size: 112
    .language:       OpenCL C
    .language_version:
      - 2
      - 0
    .max_flat_workgroup_size: 384
    .name:           _ZN7rocprim17ROCPRIM_400000_NS6detail17trampoline_kernelINS0_14default_configENS1_25partition_config_selectorILNS1_17partition_subalgoE6EiNS0_10empty_typeEbEEZZNS1_14partition_implILS5_6ELb0ES3_mN6thrust23THRUST_200600_302600_NS6detail15normal_iteratorINSA_10device_ptrIiEEEEPS6_SG_NS0_5tupleIJSF_S6_EEENSH_IJSG_SG_EEES6_PlJNSB_9not_fun_tI6is_oddIiEEEEEE10hipError_tPvRmT3_T4_T5_T6_T7_T9_mT8_P12ihipStream_tbDpT10_ENKUlT_T0_E_clISt17integral_constantIbLb0EES18_EEDaS13_S14_EUlS13_E_NS1_11comp_targetILNS1_3genE10ELNS1_11target_archE1200ELNS1_3gpuE4ELNS1_3repE0EEENS1_30default_config_static_selectorELNS0_4arch9wavefront6targetE0EEEvT1_
    .private_segment_fixed_size: 0
    .sgpr_count:     21
    .sgpr_spill_count: 0
    .symbol:         _ZN7rocprim17ROCPRIM_400000_NS6detail17trampoline_kernelINS0_14default_configENS1_25partition_config_selectorILNS1_17partition_subalgoE6EiNS0_10empty_typeEbEEZZNS1_14partition_implILS5_6ELb0ES3_mN6thrust23THRUST_200600_302600_NS6detail15normal_iteratorINSA_10device_ptrIiEEEEPS6_SG_NS0_5tupleIJSF_S6_EEENSH_IJSG_SG_EEES6_PlJNSB_9not_fun_tI6is_oddIiEEEEEE10hipError_tPvRmT3_T4_T5_T6_T7_T9_mT8_P12ihipStream_tbDpT10_ENKUlT_T0_E_clISt17integral_constantIbLb0EES18_EEDaS13_S14_EUlS13_E_NS1_11comp_targetILNS1_3genE10ELNS1_11target_archE1200ELNS1_3gpuE4ELNS1_3repE0EEENS1_30default_config_static_selectorELNS0_4arch9wavefront6targetE0EEEvT1_.kd
    .uniform_work_group_size: 1
    .uses_dynamic_stack: false
    .vgpr_count:     50
    .vgpr_spill_count: 0
    .wavefront_size: 32
    .workgroup_processor_mode: 1
  - .args:
      - .offset:         0
        .size:           112
        .value_kind:     by_value
    .group_segment_fixed_size: 0
    .kernarg_segment_align: 8
    .kernarg_segment_size: 112
    .language:       OpenCL C
    .language_version:
      - 2
      - 0
    .max_flat_workgroup_size: 128
    .name:           _ZN7rocprim17ROCPRIM_400000_NS6detail17trampoline_kernelINS0_14default_configENS1_25partition_config_selectorILNS1_17partition_subalgoE6EiNS0_10empty_typeEbEEZZNS1_14partition_implILS5_6ELb0ES3_mN6thrust23THRUST_200600_302600_NS6detail15normal_iteratorINSA_10device_ptrIiEEEEPS6_SG_NS0_5tupleIJSF_S6_EEENSH_IJSG_SG_EEES6_PlJNSB_9not_fun_tI6is_oddIiEEEEEE10hipError_tPvRmT3_T4_T5_T6_T7_T9_mT8_P12ihipStream_tbDpT10_ENKUlT_T0_E_clISt17integral_constantIbLb0EES18_EEDaS13_S14_EUlS13_E_NS1_11comp_targetILNS1_3genE9ELNS1_11target_archE1100ELNS1_3gpuE3ELNS1_3repE0EEENS1_30default_config_static_selectorELNS0_4arch9wavefront6targetE0EEEvT1_
    .private_segment_fixed_size: 0
    .sgpr_count:     0
    .sgpr_spill_count: 0
    .symbol:         _ZN7rocprim17ROCPRIM_400000_NS6detail17trampoline_kernelINS0_14default_configENS1_25partition_config_selectorILNS1_17partition_subalgoE6EiNS0_10empty_typeEbEEZZNS1_14partition_implILS5_6ELb0ES3_mN6thrust23THRUST_200600_302600_NS6detail15normal_iteratorINSA_10device_ptrIiEEEEPS6_SG_NS0_5tupleIJSF_S6_EEENSH_IJSG_SG_EEES6_PlJNSB_9not_fun_tI6is_oddIiEEEEEE10hipError_tPvRmT3_T4_T5_T6_T7_T9_mT8_P12ihipStream_tbDpT10_ENKUlT_T0_E_clISt17integral_constantIbLb0EES18_EEDaS13_S14_EUlS13_E_NS1_11comp_targetILNS1_3genE9ELNS1_11target_archE1100ELNS1_3gpuE3ELNS1_3repE0EEENS1_30default_config_static_selectorELNS0_4arch9wavefront6targetE0EEEvT1_.kd
    .uniform_work_group_size: 1
    .uses_dynamic_stack: false
    .vgpr_count:     0
    .vgpr_spill_count: 0
    .wavefront_size: 32
    .workgroup_processor_mode: 1
  - .args:
      - .offset:         0
        .size:           112
        .value_kind:     by_value
    .group_segment_fixed_size: 0
    .kernarg_segment_align: 8
    .kernarg_segment_size: 112
    .language:       OpenCL C
    .language_version:
      - 2
      - 0
    .max_flat_workgroup_size: 512
    .name:           _ZN7rocprim17ROCPRIM_400000_NS6detail17trampoline_kernelINS0_14default_configENS1_25partition_config_selectorILNS1_17partition_subalgoE6EiNS0_10empty_typeEbEEZZNS1_14partition_implILS5_6ELb0ES3_mN6thrust23THRUST_200600_302600_NS6detail15normal_iteratorINSA_10device_ptrIiEEEEPS6_SG_NS0_5tupleIJSF_S6_EEENSH_IJSG_SG_EEES6_PlJNSB_9not_fun_tI6is_oddIiEEEEEE10hipError_tPvRmT3_T4_T5_T6_T7_T9_mT8_P12ihipStream_tbDpT10_ENKUlT_T0_E_clISt17integral_constantIbLb0EES18_EEDaS13_S14_EUlS13_E_NS1_11comp_targetILNS1_3genE8ELNS1_11target_archE1030ELNS1_3gpuE2ELNS1_3repE0EEENS1_30default_config_static_selectorELNS0_4arch9wavefront6targetE0EEEvT1_
    .private_segment_fixed_size: 0
    .sgpr_count:     0
    .sgpr_spill_count: 0
    .symbol:         _ZN7rocprim17ROCPRIM_400000_NS6detail17trampoline_kernelINS0_14default_configENS1_25partition_config_selectorILNS1_17partition_subalgoE6EiNS0_10empty_typeEbEEZZNS1_14partition_implILS5_6ELb0ES3_mN6thrust23THRUST_200600_302600_NS6detail15normal_iteratorINSA_10device_ptrIiEEEEPS6_SG_NS0_5tupleIJSF_S6_EEENSH_IJSG_SG_EEES6_PlJNSB_9not_fun_tI6is_oddIiEEEEEE10hipError_tPvRmT3_T4_T5_T6_T7_T9_mT8_P12ihipStream_tbDpT10_ENKUlT_T0_E_clISt17integral_constantIbLb0EES18_EEDaS13_S14_EUlS13_E_NS1_11comp_targetILNS1_3genE8ELNS1_11target_archE1030ELNS1_3gpuE2ELNS1_3repE0EEENS1_30default_config_static_selectorELNS0_4arch9wavefront6targetE0EEEvT1_.kd
    .uniform_work_group_size: 1
    .uses_dynamic_stack: false
    .vgpr_count:     0
    .vgpr_spill_count: 0
    .wavefront_size: 32
    .workgroup_processor_mode: 1
  - .args:
      - .offset:         0
        .size:           128
        .value_kind:     by_value
    .group_segment_fixed_size: 0
    .kernarg_segment_align: 8
    .kernarg_segment_size: 128
    .language:       OpenCL C
    .language_version:
      - 2
      - 0
    .max_flat_workgroup_size: 256
    .name:           _ZN7rocprim17ROCPRIM_400000_NS6detail17trampoline_kernelINS0_14default_configENS1_25partition_config_selectorILNS1_17partition_subalgoE6EiNS0_10empty_typeEbEEZZNS1_14partition_implILS5_6ELb0ES3_mN6thrust23THRUST_200600_302600_NS6detail15normal_iteratorINSA_10device_ptrIiEEEEPS6_SG_NS0_5tupleIJSF_S6_EEENSH_IJSG_SG_EEES6_PlJNSB_9not_fun_tI6is_oddIiEEEEEE10hipError_tPvRmT3_T4_T5_T6_T7_T9_mT8_P12ihipStream_tbDpT10_ENKUlT_T0_E_clISt17integral_constantIbLb1EES18_EEDaS13_S14_EUlS13_E_NS1_11comp_targetILNS1_3genE0ELNS1_11target_archE4294967295ELNS1_3gpuE0ELNS1_3repE0EEENS1_30default_config_static_selectorELNS0_4arch9wavefront6targetE0EEEvT1_
    .private_segment_fixed_size: 0
    .sgpr_count:     0
    .sgpr_spill_count: 0
    .symbol:         _ZN7rocprim17ROCPRIM_400000_NS6detail17trampoline_kernelINS0_14default_configENS1_25partition_config_selectorILNS1_17partition_subalgoE6EiNS0_10empty_typeEbEEZZNS1_14partition_implILS5_6ELb0ES3_mN6thrust23THRUST_200600_302600_NS6detail15normal_iteratorINSA_10device_ptrIiEEEEPS6_SG_NS0_5tupleIJSF_S6_EEENSH_IJSG_SG_EEES6_PlJNSB_9not_fun_tI6is_oddIiEEEEEE10hipError_tPvRmT3_T4_T5_T6_T7_T9_mT8_P12ihipStream_tbDpT10_ENKUlT_T0_E_clISt17integral_constantIbLb1EES18_EEDaS13_S14_EUlS13_E_NS1_11comp_targetILNS1_3genE0ELNS1_11target_archE4294967295ELNS1_3gpuE0ELNS1_3repE0EEENS1_30default_config_static_selectorELNS0_4arch9wavefront6targetE0EEEvT1_.kd
    .uniform_work_group_size: 1
    .uses_dynamic_stack: false
    .vgpr_count:     0
    .vgpr_spill_count: 0
    .wavefront_size: 32
    .workgroup_processor_mode: 1
  - .args:
      - .offset:         0
        .size:           128
        .value_kind:     by_value
    .group_segment_fixed_size: 0
    .kernarg_segment_align: 8
    .kernarg_segment_size: 128
    .language:       OpenCL C
    .language_version:
      - 2
      - 0
    .max_flat_workgroup_size: 512
    .name:           _ZN7rocprim17ROCPRIM_400000_NS6detail17trampoline_kernelINS0_14default_configENS1_25partition_config_selectorILNS1_17partition_subalgoE6EiNS0_10empty_typeEbEEZZNS1_14partition_implILS5_6ELb0ES3_mN6thrust23THRUST_200600_302600_NS6detail15normal_iteratorINSA_10device_ptrIiEEEEPS6_SG_NS0_5tupleIJSF_S6_EEENSH_IJSG_SG_EEES6_PlJNSB_9not_fun_tI6is_oddIiEEEEEE10hipError_tPvRmT3_T4_T5_T6_T7_T9_mT8_P12ihipStream_tbDpT10_ENKUlT_T0_E_clISt17integral_constantIbLb1EES18_EEDaS13_S14_EUlS13_E_NS1_11comp_targetILNS1_3genE5ELNS1_11target_archE942ELNS1_3gpuE9ELNS1_3repE0EEENS1_30default_config_static_selectorELNS0_4arch9wavefront6targetE0EEEvT1_
    .private_segment_fixed_size: 0
    .sgpr_count:     0
    .sgpr_spill_count: 0
    .symbol:         _ZN7rocprim17ROCPRIM_400000_NS6detail17trampoline_kernelINS0_14default_configENS1_25partition_config_selectorILNS1_17partition_subalgoE6EiNS0_10empty_typeEbEEZZNS1_14partition_implILS5_6ELb0ES3_mN6thrust23THRUST_200600_302600_NS6detail15normal_iteratorINSA_10device_ptrIiEEEEPS6_SG_NS0_5tupleIJSF_S6_EEENSH_IJSG_SG_EEES6_PlJNSB_9not_fun_tI6is_oddIiEEEEEE10hipError_tPvRmT3_T4_T5_T6_T7_T9_mT8_P12ihipStream_tbDpT10_ENKUlT_T0_E_clISt17integral_constantIbLb1EES18_EEDaS13_S14_EUlS13_E_NS1_11comp_targetILNS1_3genE5ELNS1_11target_archE942ELNS1_3gpuE9ELNS1_3repE0EEENS1_30default_config_static_selectorELNS0_4arch9wavefront6targetE0EEEvT1_.kd
    .uniform_work_group_size: 1
    .uses_dynamic_stack: false
    .vgpr_count:     0
    .vgpr_spill_count: 0
    .wavefront_size: 32
    .workgroup_processor_mode: 1
  - .args:
      - .offset:         0
        .size:           128
        .value_kind:     by_value
    .group_segment_fixed_size: 0
    .kernarg_segment_align: 8
    .kernarg_segment_size: 128
    .language:       OpenCL C
    .language_version:
      - 2
      - 0
    .max_flat_workgroup_size: 512
    .name:           _ZN7rocprim17ROCPRIM_400000_NS6detail17trampoline_kernelINS0_14default_configENS1_25partition_config_selectorILNS1_17partition_subalgoE6EiNS0_10empty_typeEbEEZZNS1_14partition_implILS5_6ELb0ES3_mN6thrust23THRUST_200600_302600_NS6detail15normal_iteratorINSA_10device_ptrIiEEEEPS6_SG_NS0_5tupleIJSF_S6_EEENSH_IJSG_SG_EEES6_PlJNSB_9not_fun_tI6is_oddIiEEEEEE10hipError_tPvRmT3_T4_T5_T6_T7_T9_mT8_P12ihipStream_tbDpT10_ENKUlT_T0_E_clISt17integral_constantIbLb1EES18_EEDaS13_S14_EUlS13_E_NS1_11comp_targetILNS1_3genE4ELNS1_11target_archE910ELNS1_3gpuE8ELNS1_3repE0EEENS1_30default_config_static_selectorELNS0_4arch9wavefront6targetE0EEEvT1_
    .private_segment_fixed_size: 0
    .sgpr_count:     0
    .sgpr_spill_count: 0
    .symbol:         _ZN7rocprim17ROCPRIM_400000_NS6detail17trampoline_kernelINS0_14default_configENS1_25partition_config_selectorILNS1_17partition_subalgoE6EiNS0_10empty_typeEbEEZZNS1_14partition_implILS5_6ELb0ES3_mN6thrust23THRUST_200600_302600_NS6detail15normal_iteratorINSA_10device_ptrIiEEEEPS6_SG_NS0_5tupleIJSF_S6_EEENSH_IJSG_SG_EEES6_PlJNSB_9not_fun_tI6is_oddIiEEEEEE10hipError_tPvRmT3_T4_T5_T6_T7_T9_mT8_P12ihipStream_tbDpT10_ENKUlT_T0_E_clISt17integral_constantIbLb1EES18_EEDaS13_S14_EUlS13_E_NS1_11comp_targetILNS1_3genE4ELNS1_11target_archE910ELNS1_3gpuE8ELNS1_3repE0EEENS1_30default_config_static_selectorELNS0_4arch9wavefront6targetE0EEEvT1_.kd
    .uniform_work_group_size: 1
    .uses_dynamic_stack: false
    .vgpr_count:     0
    .vgpr_spill_count: 0
    .wavefront_size: 32
    .workgroup_processor_mode: 1
  - .args:
      - .offset:         0
        .size:           128
        .value_kind:     by_value
    .group_segment_fixed_size: 0
    .kernarg_segment_align: 8
    .kernarg_segment_size: 128
    .language:       OpenCL C
    .language_version:
      - 2
      - 0
    .max_flat_workgroup_size: 256
    .name:           _ZN7rocprim17ROCPRIM_400000_NS6detail17trampoline_kernelINS0_14default_configENS1_25partition_config_selectorILNS1_17partition_subalgoE6EiNS0_10empty_typeEbEEZZNS1_14partition_implILS5_6ELb0ES3_mN6thrust23THRUST_200600_302600_NS6detail15normal_iteratorINSA_10device_ptrIiEEEEPS6_SG_NS0_5tupleIJSF_S6_EEENSH_IJSG_SG_EEES6_PlJNSB_9not_fun_tI6is_oddIiEEEEEE10hipError_tPvRmT3_T4_T5_T6_T7_T9_mT8_P12ihipStream_tbDpT10_ENKUlT_T0_E_clISt17integral_constantIbLb1EES18_EEDaS13_S14_EUlS13_E_NS1_11comp_targetILNS1_3genE3ELNS1_11target_archE908ELNS1_3gpuE7ELNS1_3repE0EEENS1_30default_config_static_selectorELNS0_4arch9wavefront6targetE0EEEvT1_
    .private_segment_fixed_size: 0
    .sgpr_count:     0
    .sgpr_spill_count: 0
    .symbol:         _ZN7rocprim17ROCPRIM_400000_NS6detail17trampoline_kernelINS0_14default_configENS1_25partition_config_selectorILNS1_17partition_subalgoE6EiNS0_10empty_typeEbEEZZNS1_14partition_implILS5_6ELb0ES3_mN6thrust23THRUST_200600_302600_NS6detail15normal_iteratorINSA_10device_ptrIiEEEEPS6_SG_NS0_5tupleIJSF_S6_EEENSH_IJSG_SG_EEES6_PlJNSB_9not_fun_tI6is_oddIiEEEEEE10hipError_tPvRmT3_T4_T5_T6_T7_T9_mT8_P12ihipStream_tbDpT10_ENKUlT_T0_E_clISt17integral_constantIbLb1EES18_EEDaS13_S14_EUlS13_E_NS1_11comp_targetILNS1_3genE3ELNS1_11target_archE908ELNS1_3gpuE7ELNS1_3repE0EEENS1_30default_config_static_selectorELNS0_4arch9wavefront6targetE0EEEvT1_.kd
    .uniform_work_group_size: 1
    .uses_dynamic_stack: false
    .vgpr_count:     0
    .vgpr_spill_count: 0
    .wavefront_size: 32
    .workgroup_processor_mode: 1
  - .args:
      - .offset:         0
        .size:           128
        .value_kind:     by_value
    .group_segment_fixed_size: 0
    .kernarg_segment_align: 8
    .kernarg_segment_size: 128
    .language:       OpenCL C
    .language_version:
      - 2
      - 0
    .max_flat_workgroup_size: 192
    .name:           _ZN7rocprim17ROCPRIM_400000_NS6detail17trampoline_kernelINS0_14default_configENS1_25partition_config_selectorILNS1_17partition_subalgoE6EiNS0_10empty_typeEbEEZZNS1_14partition_implILS5_6ELb0ES3_mN6thrust23THRUST_200600_302600_NS6detail15normal_iteratorINSA_10device_ptrIiEEEEPS6_SG_NS0_5tupleIJSF_S6_EEENSH_IJSG_SG_EEES6_PlJNSB_9not_fun_tI6is_oddIiEEEEEE10hipError_tPvRmT3_T4_T5_T6_T7_T9_mT8_P12ihipStream_tbDpT10_ENKUlT_T0_E_clISt17integral_constantIbLb1EES18_EEDaS13_S14_EUlS13_E_NS1_11comp_targetILNS1_3genE2ELNS1_11target_archE906ELNS1_3gpuE6ELNS1_3repE0EEENS1_30default_config_static_selectorELNS0_4arch9wavefront6targetE0EEEvT1_
    .private_segment_fixed_size: 0
    .sgpr_count:     0
    .sgpr_spill_count: 0
    .symbol:         _ZN7rocprim17ROCPRIM_400000_NS6detail17trampoline_kernelINS0_14default_configENS1_25partition_config_selectorILNS1_17partition_subalgoE6EiNS0_10empty_typeEbEEZZNS1_14partition_implILS5_6ELb0ES3_mN6thrust23THRUST_200600_302600_NS6detail15normal_iteratorINSA_10device_ptrIiEEEEPS6_SG_NS0_5tupleIJSF_S6_EEENSH_IJSG_SG_EEES6_PlJNSB_9not_fun_tI6is_oddIiEEEEEE10hipError_tPvRmT3_T4_T5_T6_T7_T9_mT8_P12ihipStream_tbDpT10_ENKUlT_T0_E_clISt17integral_constantIbLb1EES18_EEDaS13_S14_EUlS13_E_NS1_11comp_targetILNS1_3genE2ELNS1_11target_archE906ELNS1_3gpuE6ELNS1_3repE0EEENS1_30default_config_static_selectorELNS0_4arch9wavefront6targetE0EEEvT1_.kd
    .uniform_work_group_size: 1
    .uses_dynamic_stack: false
    .vgpr_count:     0
    .vgpr_spill_count: 0
    .wavefront_size: 32
    .workgroup_processor_mode: 1
  - .args:
      - .offset:         0
        .size:           128
        .value_kind:     by_value
    .group_segment_fixed_size: 0
    .kernarg_segment_align: 8
    .kernarg_segment_size: 128
    .language:       OpenCL C
    .language_version:
      - 2
      - 0
    .max_flat_workgroup_size: 384
    .name:           _ZN7rocprim17ROCPRIM_400000_NS6detail17trampoline_kernelINS0_14default_configENS1_25partition_config_selectorILNS1_17partition_subalgoE6EiNS0_10empty_typeEbEEZZNS1_14partition_implILS5_6ELb0ES3_mN6thrust23THRUST_200600_302600_NS6detail15normal_iteratorINSA_10device_ptrIiEEEEPS6_SG_NS0_5tupleIJSF_S6_EEENSH_IJSG_SG_EEES6_PlJNSB_9not_fun_tI6is_oddIiEEEEEE10hipError_tPvRmT3_T4_T5_T6_T7_T9_mT8_P12ihipStream_tbDpT10_ENKUlT_T0_E_clISt17integral_constantIbLb1EES18_EEDaS13_S14_EUlS13_E_NS1_11comp_targetILNS1_3genE10ELNS1_11target_archE1200ELNS1_3gpuE4ELNS1_3repE0EEENS1_30default_config_static_selectorELNS0_4arch9wavefront6targetE0EEEvT1_
    .private_segment_fixed_size: 0
    .sgpr_count:     0
    .sgpr_spill_count: 0
    .symbol:         _ZN7rocprim17ROCPRIM_400000_NS6detail17trampoline_kernelINS0_14default_configENS1_25partition_config_selectorILNS1_17partition_subalgoE6EiNS0_10empty_typeEbEEZZNS1_14partition_implILS5_6ELb0ES3_mN6thrust23THRUST_200600_302600_NS6detail15normal_iteratorINSA_10device_ptrIiEEEEPS6_SG_NS0_5tupleIJSF_S6_EEENSH_IJSG_SG_EEES6_PlJNSB_9not_fun_tI6is_oddIiEEEEEE10hipError_tPvRmT3_T4_T5_T6_T7_T9_mT8_P12ihipStream_tbDpT10_ENKUlT_T0_E_clISt17integral_constantIbLb1EES18_EEDaS13_S14_EUlS13_E_NS1_11comp_targetILNS1_3genE10ELNS1_11target_archE1200ELNS1_3gpuE4ELNS1_3repE0EEENS1_30default_config_static_selectorELNS0_4arch9wavefront6targetE0EEEvT1_.kd
    .uniform_work_group_size: 1
    .uses_dynamic_stack: false
    .vgpr_count:     0
    .vgpr_spill_count: 0
    .wavefront_size: 32
    .workgroup_processor_mode: 1
  - .args:
      - .offset:         0
        .size:           128
        .value_kind:     by_value
    .group_segment_fixed_size: 0
    .kernarg_segment_align: 8
    .kernarg_segment_size: 128
    .language:       OpenCL C
    .language_version:
      - 2
      - 0
    .max_flat_workgroup_size: 128
    .name:           _ZN7rocprim17ROCPRIM_400000_NS6detail17trampoline_kernelINS0_14default_configENS1_25partition_config_selectorILNS1_17partition_subalgoE6EiNS0_10empty_typeEbEEZZNS1_14partition_implILS5_6ELb0ES3_mN6thrust23THRUST_200600_302600_NS6detail15normal_iteratorINSA_10device_ptrIiEEEEPS6_SG_NS0_5tupleIJSF_S6_EEENSH_IJSG_SG_EEES6_PlJNSB_9not_fun_tI6is_oddIiEEEEEE10hipError_tPvRmT3_T4_T5_T6_T7_T9_mT8_P12ihipStream_tbDpT10_ENKUlT_T0_E_clISt17integral_constantIbLb1EES18_EEDaS13_S14_EUlS13_E_NS1_11comp_targetILNS1_3genE9ELNS1_11target_archE1100ELNS1_3gpuE3ELNS1_3repE0EEENS1_30default_config_static_selectorELNS0_4arch9wavefront6targetE0EEEvT1_
    .private_segment_fixed_size: 0
    .sgpr_count:     0
    .sgpr_spill_count: 0
    .symbol:         _ZN7rocprim17ROCPRIM_400000_NS6detail17trampoline_kernelINS0_14default_configENS1_25partition_config_selectorILNS1_17partition_subalgoE6EiNS0_10empty_typeEbEEZZNS1_14partition_implILS5_6ELb0ES3_mN6thrust23THRUST_200600_302600_NS6detail15normal_iteratorINSA_10device_ptrIiEEEEPS6_SG_NS0_5tupleIJSF_S6_EEENSH_IJSG_SG_EEES6_PlJNSB_9not_fun_tI6is_oddIiEEEEEE10hipError_tPvRmT3_T4_T5_T6_T7_T9_mT8_P12ihipStream_tbDpT10_ENKUlT_T0_E_clISt17integral_constantIbLb1EES18_EEDaS13_S14_EUlS13_E_NS1_11comp_targetILNS1_3genE9ELNS1_11target_archE1100ELNS1_3gpuE3ELNS1_3repE0EEENS1_30default_config_static_selectorELNS0_4arch9wavefront6targetE0EEEvT1_.kd
    .uniform_work_group_size: 1
    .uses_dynamic_stack: false
    .vgpr_count:     0
    .vgpr_spill_count: 0
    .wavefront_size: 32
    .workgroup_processor_mode: 1
  - .args:
      - .offset:         0
        .size:           128
        .value_kind:     by_value
    .group_segment_fixed_size: 0
    .kernarg_segment_align: 8
    .kernarg_segment_size: 128
    .language:       OpenCL C
    .language_version:
      - 2
      - 0
    .max_flat_workgroup_size: 512
    .name:           _ZN7rocprim17ROCPRIM_400000_NS6detail17trampoline_kernelINS0_14default_configENS1_25partition_config_selectorILNS1_17partition_subalgoE6EiNS0_10empty_typeEbEEZZNS1_14partition_implILS5_6ELb0ES3_mN6thrust23THRUST_200600_302600_NS6detail15normal_iteratorINSA_10device_ptrIiEEEEPS6_SG_NS0_5tupleIJSF_S6_EEENSH_IJSG_SG_EEES6_PlJNSB_9not_fun_tI6is_oddIiEEEEEE10hipError_tPvRmT3_T4_T5_T6_T7_T9_mT8_P12ihipStream_tbDpT10_ENKUlT_T0_E_clISt17integral_constantIbLb1EES18_EEDaS13_S14_EUlS13_E_NS1_11comp_targetILNS1_3genE8ELNS1_11target_archE1030ELNS1_3gpuE2ELNS1_3repE0EEENS1_30default_config_static_selectorELNS0_4arch9wavefront6targetE0EEEvT1_
    .private_segment_fixed_size: 0
    .sgpr_count:     0
    .sgpr_spill_count: 0
    .symbol:         _ZN7rocprim17ROCPRIM_400000_NS6detail17trampoline_kernelINS0_14default_configENS1_25partition_config_selectorILNS1_17partition_subalgoE6EiNS0_10empty_typeEbEEZZNS1_14partition_implILS5_6ELb0ES3_mN6thrust23THRUST_200600_302600_NS6detail15normal_iteratorINSA_10device_ptrIiEEEEPS6_SG_NS0_5tupleIJSF_S6_EEENSH_IJSG_SG_EEES6_PlJNSB_9not_fun_tI6is_oddIiEEEEEE10hipError_tPvRmT3_T4_T5_T6_T7_T9_mT8_P12ihipStream_tbDpT10_ENKUlT_T0_E_clISt17integral_constantIbLb1EES18_EEDaS13_S14_EUlS13_E_NS1_11comp_targetILNS1_3genE8ELNS1_11target_archE1030ELNS1_3gpuE2ELNS1_3repE0EEENS1_30default_config_static_selectorELNS0_4arch9wavefront6targetE0EEEvT1_.kd
    .uniform_work_group_size: 1
    .uses_dynamic_stack: false
    .vgpr_count:     0
    .vgpr_spill_count: 0
    .wavefront_size: 32
    .workgroup_processor_mode: 1
  - .args:
      - .offset:         0
        .size:           112
        .value_kind:     by_value
    .group_segment_fixed_size: 0
    .kernarg_segment_align: 8
    .kernarg_segment_size: 112
    .language:       OpenCL C
    .language_version:
      - 2
      - 0
    .max_flat_workgroup_size: 256
    .name:           _ZN7rocprim17ROCPRIM_400000_NS6detail17trampoline_kernelINS0_14default_configENS1_25partition_config_selectorILNS1_17partition_subalgoE6EiNS0_10empty_typeEbEEZZNS1_14partition_implILS5_6ELb0ES3_mN6thrust23THRUST_200600_302600_NS6detail15normal_iteratorINSA_10device_ptrIiEEEEPS6_SG_NS0_5tupleIJSF_S6_EEENSH_IJSG_SG_EEES6_PlJNSB_9not_fun_tI6is_oddIiEEEEEE10hipError_tPvRmT3_T4_T5_T6_T7_T9_mT8_P12ihipStream_tbDpT10_ENKUlT_T0_E_clISt17integral_constantIbLb1EES17_IbLb0EEEEDaS13_S14_EUlS13_E_NS1_11comp_targetILNS1_3genE0ELNS1_11target_archE4294967295ELNS1_3gpuE0ELNS1_3repE0EEENS1_30default_config_static_selectorELNS0_4arch9wavefront6targetE0EEEvT1_
    .private_segment_fixed_size: 0
    .sgpr_count:     0
    .sgpr_spill_count: 0
    .symbol:         _ZN7rocprim17ROCPRIM_400000_NS6detail17trampoline_kernelINS0_14default_configENS1_25partition_config_selectorILNS1_17partition_subalgoE6EiNS0_10empty_typeEbEEZZNS1_14partition_implILS5_6ELb0ES3_mN6thrust23THRUST_200600_302600_NS6detail15normal_iteratorINSA_10device_ptrIiEEEEPS6_SG_NS0_5tupleIJSF_S6_EEENSH_IJSG_SG_EEES6_PlJNSB_9not_fun_tI6is_oddIiEEEEEE10hipError_tPvRmT3_T4_T5_T6_T7_T9_mT8_P12ihipStream_tbDpT10_ENKUlT_T0_E_clISt17integral_constantIbLb1EES17_IbLb0EEEEDaS13_S14_EUlS13_E_NS1_11comp_targetILNS1_3genE0ELNS1_11target_archE4294967295ELNS1_3gpuE0ELNS1_3repE0EEENS1_30default_config_static_selectorELNS0_4arch9wavefront6targetE0EEEvT1_.kd
    .uniform_work_group_size: 1
    .uses_dynamic_stack: false
    .vgpr_count:     0
    .vgpr_spill_count: 0
    .wavefront_size: 32
    .workgroup_processor_mode: 1
  - .args:
      - .offset:         0
        .size:           112
        .value_kind:     by_value
    .group_segment_fixed_size: 0
    .kernarg_segment_align: 8
    .kernarg_segment_size: 112
    .language:       OpenCL C
    .language_version:
      - 2
      - 0
    .max_flat_workgroup_size: 512
    .name:           _ZN7rocprim17ROCPRIM_400000_NS6detail17trampoline_kernelINS0_14default_configENS1_25partition_config_selectorILNS1_17partition_subalgoE6EiNS0_10empty_typeEbEEZZNS1_14partition_implILS5_6ELb0ES3_mN6thrust23THRUST_200600_302600_NS6detail15normal_iteratorINSA_10device_ptrIiEEEEPS6_SG_NS0_5tupleIJSF_S6_EEENSH_IJSG_SG_EEES6_PlJNSB_9not_fun_tI6is_oddIiEEEEEE10hipError_tPvRmT3_T4_T5_T6_T7_T9_mT8_P12ihipStream_tbDpT10_ENKUlT_T0_E_clISt17integral_constantIbLb1EES17_IbLb0EEEEDaS13_S14_EUlS13_E_NS1_11comp_targetILNS1_3genE5ELNS1_11target_archE942ELNS1_3gpuE9ELNS1_3repE0EEENS1_30default_config_static_selectorELNS0_4arch9wavefront6targetE0EEEvT1_
    .private_segment_fixed_size: 0
    .sgpr_count:     0
    .sgpr_spill_count: 0
    .symbol:         _ZN7rocprim17ROCPRIM_400000_NS6detail17trampoline_kernelINS0_14default_configENS1_25partition_config_selectorILNS1_17partition_subalgoE6EiNS0_10empty_typeEbEEZZNS1_14partition_implILS5_6ELb0ES3_mN6thrust23THRUST_200600_302600_NS6detail15normal_iteratorINSA_10device_ptrIiEEEEPS6_SG_NS0_5tupleIJSF_S6_EEENSH_IJSG_SG_EEES6_PlJNSB_9not_fun_tI6is_oddIiEEEEEE10hipError_tPvRmT3_T4_T5_T6_T7_T9_mT8_P12ihipStream_tbDpT10_ENKUlT_T0_E_clISt17integral_constantIbLb1EES17_IbLb0EEEEDaS13_S14_EUlS13_E_NS1_11comp_targetILNS1_3genE5ELNS1_11target_archE942ELNS1_3gpuE9ELNS1_3repE0EEENS1_30default_config_static_selectorELNS0_4arch9wavefront6targetE0EEEvT1_.kd
    .uniform_work_group_size: 1
    .uses_dynamic_stack: false
    .vgpr_count:     0
    .vgpr_spill_count: 0
    .wavefront_size: 32
    .workgroup_processor_mode: 1
  - .args:
      - .offset:         0
        .size:           112
        .value_kind:     by_value
    .group_segment_fixed_size: 0
    .kernarg_segment_align: 8
    .kernarg_segment_size: 112
    .language:       OpenCL C
    .language_version:
      - 2
      - 0
    .max_flat_workgroup_size: 512
    .name:           _ZN7rocprim17ROCPRIM_400000_NS6detail17trampoline_kernelINS0_14default_configENS1_25partition_config_selectorILNS1_17partition_subalgoE6EiNS0_10empty_typeEbEEZZNS1_14partition_implILS5_6ELb0ES3_mN6thrust23THRUST_200600_302600_NS6detail15normal_iteratorINSA_10device_ptrIiEEEEPS6_SG_NS0_5tupleIJSF_S6_EEENSH_IJSG_SG_EEES6_PlJNSB_9not_fun_tI6is_oddIiEEEEEE10hipError_tPvRmT3_T4_T5_T6_T7_T9_mT8_P12ihipStream_tbDpT10_ENKUlT_T0_E_clISt17integral_constantIbLb1EES17_IbLb0EEEEDaS13_S14_EUlS13_E_NS1_11comp_targetILNS1_3genE4ELNS1_11target_archE910ELNS1_3gpuE8ELNS1_3repE0EEENS1_30default_config_static_selectorELNS0_4arch9wavefront6targetE0EEEvT1_
    .private_segment_fixed_size: 0
    .sgpr_count:     0
    .sgpr_spill_count: 0
    .symbol:         _ZN7rocprim17ROCPRIM_400000_NS6detail17trampoline_kernelINS0_14default_configENS1_25partition_config_selectorILNS1_17partition_subalgoE6EiNS0_10empty_typeEbEEZZNS1_14partition_implILS5_6ELb0ES3_mN6thrust23THRUST_200600_302600_NS6detail15normal_iteratorINSA_10device_ptrIiEEEEPS6_SG_NS0_5tupleIJSF_S6_EEENSH_IJSG_SG_EEES6_PlJNSB_9not_fun_tI6is_oddIiEEEEEE10hipError_tPvRmT3_T4_T5_T6_T7_T9_mT8_P12ihipStream_tbDpT10_ENKUlT_T0_E_clISt17integral_constantIbLb1EES17_IbLb0EEEEDaS13_S14_EUlS13_E_NS1_11comp_targetILNS1_3genE4ELNS1_11target_archE910ELNS1_3gpuE8ELNS1_3repE0EEENS1_30default_config_static_selectorELNS0_4arch9wavefront6targetE0EEEvT1_.kd
    .uniform_work_group_size: 1
    .uses_dynamic_stack: false
    .vgpr_count:     0
    .vgpr_spill_count: 0
    .wavefront_size: 32
    .workgroup_processor_mode: 1
  - .args:
      - .offset:         0
        .size:           112
        .value_kind:     by_value
    .group_segment_fixed_size: 0
    .kernarg_segment_align: 8
    .kernarg_segment_size: 112
    .language:       OpenCL C
    .language_version:
      - 2
      - 0
    .max_flat_workgroup_size: 256
    .name:           _ZN7rocprim17ROCPRIM_400000_NS6detail17trampoline_kernelINS0_14default_configENS1_25partition_config_selectorILNS1_17partition_subalgoE6EiNS0_10empty_typeEbEEZZNS1_14partition_implILS5_6ELb0ES3_mN6thrust23THRUST_200600_302600_NS6detail15normal_iteratorINSA_10device_ptrIiEEEEPS6_SG_NS0_5tupleIJSF_S6_EEENSH_IJSG_SG_EEES6_PlJNSB_9not_fun_tI6is_oddIiEEEEEE10hipError_tPvRmT3_T4_T5_T6_T7_T9_mT8_P12ihipStream_tbDpT10_ENKUlT_T0_E_clISt17integral_constantIbLb1EES17_IbLb0EEEEDaS13_S14_EUlS13_E_NS1_11comp_targetILNS1_3genE3ELNS1_11target_archE908ELNS1_3gpuE7ELNS1_3repE0EEENS1_30default_config_static_selectorELNS0_4arch9wavefront6targetE0EEEvT1_
    .private_segment_fixed_size: 0
    .sgpr_count:     0
    .sgpr_spill_count: 0
    .symbol:         _ZN7rocprim17ROCPRIM_400000_NS6detail17trampoline_kernelINS0_14default_configENS1_25partition_config_selectorILNS1_17partition_subalgoE6EiNS0_10empty_typeEbEEZZNS1_14partition_implILS5_6ELb0ES3_mN6thrust23THRUST_200600_302600_NS6detail15normal_iteratorINSA_10device_ptrIiEEEEPS6_SG_NS0_5tupleIJSF_S6_EEENSH_IJSG_SG_EEES6_PlJNSB_9not_fun_tI6is_oddIiEEEEEE10hipError_tPvRmT3_T4_T5_T6_T7_T9_mT8_P12ihipStream_tbDpT10_ENKUlT_T0_E_clISt17integral_constantIbLb1EES17_IbLb0EEEEDaS13_S14_EUlS13_E_NS1_11comp_targetILNS1_3genE3ELNS1_11target_archE908ELNS1_3gpuE7ELNS1_3repE0EEENS1_30default_config_static_selectorELNS0_4arch9wavefront6targetE0EEEvT1_.kd
    .uniform_work_group_size: 1
    .uses_dynamic_stack: false
    .vgpr_count:     0
    .vgpr_spill_count: 0
    .wavefront_size: 32
    .workgroup_processor_mode: 1
  - .args:
      - .offset:         0
        .size:           112
        .value_kind:     by_value
    .group_segment_fixed_size: 0
    .kernarg_segment_align: 8
    .kernarg_segment_size: 112
    .language:       OpenCL C
    .language_version:
      - 2
      - 0
    .max_flat_workgroup_size: 192
    .name:           _ZN7rocprim17ROCPRIM_400000_NS6detail17trampoline_kernelINS0_14default_configENS1_25partition_config_selectorILNS1_17partition_subalgoE6EiNS0_10empty_typeEbEEZZNS1_14partition_implILS5_6ELb0ES3_mN6thrust23THRUST_200600_302600_NS6detail15normal_iteratorINSA_10device_ptrIiEEEEPS6_SG_NS0_5tupleIJSF_S6_EEENSH_IJSG_SG_EEES6_PlJNSB_9not_fun_tI6is_oddIiEEEEEE10hipError_tPvRmT3_T4_T5_T6_T7_T9_mT8_P12ihipStream_tbDpT10_ENKUlT_T0_E_clISt17integral_constantIbLb1EES17_IbLb0EEEEDaS13_S14_EUlS13_E_NS1_11comp_targetILNS1_3genE2ELNS1_11target_archE906ELNS1_3gpuE6ELNS1_3repE0EEENS1_30default_config_static_selectorELNS0_4arch9wavefront6targetE0EEEvT1_
    .private_segment_fixed_size: 0
    .sgpr_count:     0
    .sgpr_spill_count: 0
    .symbol:         _ZN7rocprim17ROCPRIM_400000_NS6detail17trampoline_kernelINS0_14default_configENS1_25partition_config_selectorILNS1_17partition_subalgoE6EiNS0_10empty_typeEbEEZZNS1_14partition_implILS5_6ELb0ES3_mN6thrust23THRUST_200600_302600_NS6detail15normal_iteratorINSA_10device_ptrIiEEEEPS6_SG_NS0_5tupleIJSF_S6_EEENSH_IJSG_SG_EEES6_PlJNSB_9not_fun_tI6is_oddIiEEEEEE10hipError_tPvRmT3_T4_T5_T6_T7_T9_mT8_P12ihipStream_tbDpT10_ENKUlT_T0_E_clISt17integral_constantIbLb1EES17_IbLb0EEEEDaS13_S14_EUlS13_E_NS1_11comp_targetILNS1_3genE2ELNS1_11target_archE906ELNS1_3gpuE6ELNS1_3repE0EEENS1_30default_config_static_selectorELNS0_4arch9wavefront6targetE0EEEvT1_.kd
    .uniform_work_group_size: 1
    .uses_dynamic_stack: false
    .vgpr_count:     0
    .vgpr_spill_count: 0
    .wavefront_size: 32
    .workgroup_processor_mode: 1
  - .args:
      - .offset:         0
        .size:           112
        .value_kind:     by_value
    .group_segment_fixed_size: 0
    .kernarg_segment_align: 8
    .kernarg_segment_size: 112
    .language:       OpenCL C
    .language_version:
      - 2
      - 0
    .max_flat_workgroup_size: 384
    .name:           _ZN7rocprim17ROCPRIM_400000_NS6detail17trampoline_kernelINS0_14default_configENS1_25partition_config_selectorILNS1_17partition_subalgoE6EiNS0_10empty_typeEbEEZZNS1_14partition_implILS5_6ELb0ES3_mN6thrust23THRUST_200600_302600_NS6detail15normal_iteratorINSA_10device_ptrIiEEEEPS6_SG_NS0_5tupleIJSF_S6_EEENSH_IJSG_SG_EEES6_PlJNSB_9not_fun_tI6is_oddIiEEEEEE10hipError_tPvRmT3_T4_T5_T6_T7_T9_mT8_P12ihipStream_tbDpT10_ENKUlT_T0_E_clISt17integral_constantIbLb1EES17_IbLb0EEEEDaS13_S14_EUlS13_E_NS1_11comp_targetILNS1_3genE10ELNS1_11target_archE1200ELNS1_3gpuE4ELNS1_3repE0EEENS1_30default_config_static_selectorELNS0_4arch9wavefront6targetE0EEEvT1_
    .private_segment_fixed_size: 0
    .sgpr_count:     0
    .sgpr_spill_count: 0
    .symbol:         _ZN7rocprim17ROCPRIM_400000_NS6detail17trampoline_kernelINS0_14default_configENS1_25partition_config_selectorILNS1_17partition_subalgoE6EiNS0_10empty_typeEbEEZZNS1_14partition_implILS5_6ELb0ES3_mN6thrust23THRUST_200600_302600_NS6detail15normal_iteratorINSA_10device_ptrIiEEEEPS6_SG_NS0_5tupleIJSF_S6_EEENSH_IJSG_SG_EEES6_PlJNSB_9not_fun_tI6is_oddIiEEEEEE10hipError_tPvRmT3_T4_T5_T6_T7_T9_mT8_P12ihipStream_tbDpT10_ENKUlT_T0_E_clISt17integral_constantIbLb1EES17_IbLb0EEEEDaS13_S14_EUlS13_E_NS1_11comp_targetILNS1_3genE10ELNS1_11target_archE1200ELNS1_3gpuE4ELNS1_3repE0EEENS1_30default_config_static_selectorELNS0_4arch9wavefront6targetE0EEEvT1_.kd
    .uniform_work_group_size: 1
    .uses_dynamic_stack: false
    .vgpr_count:     0
    .vgpr_spill_count: 0
    .wavefront_size: 32
    .workgroup_processor_mode: 1
  - .args:
      - .offset:         0
        .size:           112
        .value_kind:     by_value
    .group_segment_fixed_size: 0
    .kernarg_segment_align: 8
    .kernarg_segment_size: 112
    .language:       OpenCL C
    .language_version:
      - 2
      - 0
    .max_flat_workgroup_size: 128
    .name:           _ZN7rocprim17ROCPRIM_400000_NS6detail17trampoline_kernelINS0_14default_configENS1_25partition_config_selectorILNS1_17partition_subalgoE6EiNS0_10empty_typeEbEEZZNS1_14partition_implILS5_6ELb0ES3_mN6thrust23THRUST_200600_302600_NS6detail15normal_iteratorINSA_10device_ptrIiEEEEPS6_SG_NS0_5tupleIJSF_S6_EEENSH_IJSG_SG_EEES6_PlJNSB_9not_fun_tI6is_oddIiEEEEEE10hipError_tPvRmT3_T4_T5_T6_T7_T9_mT8_P12ihipStream_tbDpT10_ENKUlT_T0_E_clISt17integral_constantIbLb1EES17_IbLb0EEEEDaS13_S14_EUlS13_E_NS1_11comp_targetILNS1_3genE9ELNS1_11target_archE1100ELNS1_3gpuE3ELNS1_3repE0EEENS1_30default_config_static_selectorELNS0_4arch9wavefront6targetE0EEEvT1_
    .private_segment_fixed_size: 0
    .sgpr_count:     0
    .sgpr_spill_count: 0
    .symbol:         _ZN7rocprim17ROCPRIM_400000_NS6detail17trampoline_kernelINS0_14default_configENS1_25partition_config_selectorILNS1_17partition_subalgoE6EiNS0_10empty_typeEbEEZZNS1_14partition_implILS5_6ELb0ES3_mN6thrust23THRUST_200600_302600_NS6detail15normal_iteratorINSA_10device_ptrIiEEEEPS6_SG_NS0_5tupleIJSF_S6_EEENSH_IJSG_SG_EEES6_PlJNSB_9not_fun_tI6is_oddIiEEEEEE10hipError_tPvRmT3_T4_T5_T6_T7_T9_mT8_P12ihipStream_tbDpT10_ENKUlT_T0_E_clISt17integral_constantIbLb1EES17_IbLb0EEEEDaS13_S14_EUlS13_E_NS1_11comp_targetILNS1_3genE9ELNS1_11target_archE1100ELNS1_3gpuE3ELNS1_3repE0EEENS1_30default_config_static_selectorELNS0_4arch9wavefront6targetE0EEEvT1_.kd
    .uniform_work_group_size: 1
    .uses_dynamic_stack: false
    .vgpr_count:     0
    .vgpr_spill_count: 0
    .wavefront_size: 32
    .workgroup_processor_mode: 1
  - .args:
      - .offset:         0
        .size:           112
        .value_kind:     by_value
    .group_segment_fixed_size: 0
    .kernarg_segment_align: 8
    .kernarg_segment_size: 112
    .language:       OpenCL C
    .language_version:
      - 2
      - 0
    .max_flat_workgroup_size: 512
    .name:           _ZN7rocprim17ROCPRIM_400000_NS6detail17trampoline_kernelINS0_14default_configENS1_25partition_config_selectorILNS1_17partition_subalgoE6EiNS0_10empty_typeEbEEZZNS1_14partition_implILS5_6ELb0ES3_mN6thrust23THRUST_200600_302600_NS6detail15normal_iteratorINSA_10device_ptrIiEEEEPS6_SG_NS0_5tupleIJSF_S6_EEENSH_IJSG_SG_EEES6_PlJNSB_9not_fun_tI6is_oddIiEEEEEE10hipError_tPvRmT3_T4_T5_T6_T7_T9_mT8_P12ihipStream_tbDpT10_ENKUlT_T0_E_clISt17integral_constantIbLb1EES17_IbLb0EEEEDaS13_S14_EUlS13_E_NS1_11comp_targetILNS1_3genE8ELNS1_11target_archE1030ELNS1_3gpuE2ELNS1_3repE0EEENS1_30default_config_static_selectorELNS0_4arch9wavefront6targetE0EEEvT1_
    .private_segment_fixed_size: 0
    .sgpr_count:     0
    .sgpr_spill_count: 0
    .symbol:         _ZN7rocprim17ROCPRIM_400000_NS6detail17trampoline_kernelINS0_14default_configENS1_25partition_config_selectorILNS1_17partition_subalgoE6EiNS0_10empty_typeEbEEZZNS1_14partition_implILS5_6ELb0ES3_mN6thrust23THRUST_200600_302600_NS6detail15normal_iteratorINSA_10device_ptrIiEEEEPS6_SG_NS0_5tupleIJSF_S6_EEENSH_IJSG_SG_EEES6_PlJNSB_9not_fun_tI6is_oddIiEEEEEE10hipError_tPvRmT3_T4_T5_T6_T7_T9_mT8_P12ihipStream_tbDpT10_ENKUlT_T0_E_clISt17integral_constantIbLb1EES17_IbLb0EEEEDaS13_S14_EUlS13_E_NS1_11comp_targetILNS1_3genE8ELNS1_11target_archE1030ELNS1_3gpuE2ELNS1_3repE0EEENS1_30default_config_static_selectorELNS0_4arch9wavefront6targetE0EEEvT1_.kd
    .uniform_work_group_size: 1
    .uses_dynamic_stack: false
    .vgpr_count:     0
    .vgpr_spill_count: 0
    .wavefront_size: 32
    .workgroup_processor_mode: 1
  - .args:
      - .offset:         0
        .size:           128
        .value_kind:     by_value
    .group_segment_fixed_size: 0
    .kernarg_segment_align: 8
    .kernarg_segment_size: 128
    .language:       OpenCL C
    .language_version:
      - 2
      - 0
    .max_flat_workgroup_size: 256
    .name:           _ZN7rocprim17ROCPRIM_400000_NS6detail17trampoline_kernelINS0_14default_configENS1_25partition_config_selectorILNS1_17partition_subalgoE6EiNS0_10empty_typeEbEEZZNS1_14partition_implILS5_6ELb0ES3_mN6thrust23THRUST_200600_302600_NS6detail15normal_iteratorINSA_10device_ptrIiEEEEPS6_SG_NS0_5tupleIJSF_S6_EEENSH_IJSG_SG_EEES6_PlJNSB_9not_fun_tI6is_oddIiEEEEEE10hipError_tPvRmT3_T4_T5_T6_T7_T9_mT8_P12ihipStream_tbDpT10_ENKUlT_T0_E_clISt17integral_constantIbLb0EES17_IbLb1EEEEDaS13_S14_EUlS13_E_NS1_11comp_targetILNS1_3genE0ELNS1_11target_archE4294967295ELNS1_3gpuE0ELNS1_3repE0EEENS1_30default_config_static_selectorELNS0_4arch9wavefront6targetE0EEEvT1_
    .private_segment_fixed_size: 0
    .sgpr_count:     0
    .sgpr_spill_count: 0
    .symbol:         _ZN7rocprim17ROCPRIM_400000_NS6detail17trampoline_kernelINS0_14default_configENS1_25partition_config_selectorILNS1_17partition_subalgoE6EiNS0_10empty_typeEbEEZZNS1_14partition_implILS5_6ELb0ES3_mN6thrust23THRUST_200600_302600_NS6detail15normal_iteratorINSA_10device_ptrIiEEEEPS6_SG_NS0_5tupleIJSF_S6_EEENSH_IJSG_SG_EEES6_PlJNSB_9not_fun_tI6is_oddIiEEEEEE10hipError_tPvRmT3_T4_T5_T6_T7_T9_mT8_P12ihipStream_tbDpT10_ENKUlT_T0_E_clISt17integral_constantIbLb0EES17_IbLb1EEEEDaS13_S14_EUlS13_E_NS1_11comp_targetILNS1_3genE0ELNS1_11target_archE4294967295ELNS1_3gpuE0ELNS1_3repE0EEENS1_30default_config_static_selectorELNS0_4arch9wavefront6targetE0EEEvT1_.kd
    .uniform_work_group_size: 1
    .uses_dynamic_stack: false
    .vgpr_count:     0
    .vgpr_spill_count: 0
    .wavefront_size: 32
    .workgroup_processor_mode: 1
  - .args:
      - .offset:         0
        .size:           128
        .value_kind:     by_value
    .group_segment_fixed_size: 0
    .kernarg_segment_align: 8
    .kernarg_segment_size: 128
    .language:       OpenCL C
    .language_version:
      - 2
      - 0
    .max_flat_workgroup_size: 512
    .name:           _ZN7rocprim17ROCPRIM_400000_NS6detail17trampoline_kernelINS0_14default_configENS1_25partition_config_selectorILNS1_17partition_subalgoE6EiNS0_10empty_typeEbEEZZNS1_14partition_implILS5_6ELb0ES3_mN6thrust23THRUST_200600_302600_NS6detail15normal_iteratorINSA_10device_ptrIiEEEEPS6_SG_NS0_5tupleIJSF_S6_EEENSH_IJSG_SG_EEES6_PlJNSB_9not_fun_tI6is_oddIiEEEEEE10hipError_tPvRmT3_T4_T5_T6_T7_T9_mT8_P12ihipStream_tbDpT10_ENKUlT_T0_E_clISt17integral_constantIbLb0EES17_IbLb1EEEEDaS13_S14_EUlS13_E_NS1_11comp_targetILNS1_3genE5ELNS1_11target_archE942ELNS1_3gpuE9ELNS1_3repE0EEENS1_30default_config_static_selectorELNS0_4arch9wavefront6targetE0EEEvT1_
    .private_segment_fixed_size: 0
    .sgpr_count:     0
    .sgpr_spill_count: 0
    .symbol:         _ZN7rocprim17ROCPRIM_400000_NS6detail17trampoline_kernelINS0_14default_configENS1_25partition_config_selectorILNS1_17partition_subalgoE6EiNS0_10empty_typeEbEEZZNS1_14partition_implILS5_6ELb0ES3_mN6thrust23THRUST_200600_302600_NS6detail15normal_iteratorINSA_10device_ptrIiEEEEPS6_SG_NS0_5tupleIJSF_S6_EEENSH_IJSG_SG_EEES6_PlJNSB_9not_fun_tI6is_oddIiEEEEEE10hipError_tPvRmT3_T4_T5_T6_T7_T9_mT8_P12ihipStream_tbDpT10_ENKUlT_T0_E_clISt17integral_constantIbLb0EES17_IbLb1EEEEDaS13_S14_EUlS13_E_NS1_11comp_targetILNS1_3genE5ELNS1_11target_archE942ELNS1_3gpuE9ELNS1_3repE0EEENS1_30default_config_static_selectorELNS0_4arch9wavefront6targetE0EEEvT1_.kd
    .uniform_work_group_size: 1
    .uses_dynamic_stack: false
    .vgpr_count:     0
    .vgpr_spill_count: 0
    .wavefront_size: 32
    .workgroup_processor_mode: 1
  - .args:
      - .offset:         0
        .size:           128
        .value_kind:     by_value
    .group_segment_fixed_size: 0
    .kernarg_segment_align: 8
    .kernarg_segment_size: 128
    .language:       OpenCL C
    .language_version:
      - 2
      - 0
    .max_flat_workgroup_size: 512
    .name:           _ZN7rocprim17ROCPRIM_400000_NS6detail17trampoline_kernelINS0_14default_configENS1_25partition_config_selectorILNS1_17partition_subalgoE6EiNS0_10empty_typeEbEEZZNS1_14partition_implILS5_6ELb0ES3_mN6thrust23THRUST_200600_302600_NS6detail15normal_iteratorINSA_10device_ptrIiEEEEPS6_SG_NS0_5tupleIJSF_S6_EEENSH_IJSG_SG_EEES6_PlJNSB_9not_fun_tI6is_oddIiEEEEEE10hipError_tPvRmT3_T4_T5_T6_T7_T9_mT8_P12ihipStream_tbDpT10_ENKUlT_T0_E_clISt17integral_constantIbLb0EES17_IbLb1EEEEDaS13_S14_EUlS13_E_NS1_11comp_targetILNS1_3genE4ELNS1_11target_archE910ELNS1_3gpuE8ELNS1_3repE0EEENS1_30default_config_static_selectorELNS0_4arch9wavefront6targetE0EEEvT1_
    .private_segment_fixed_size: 0
    .sgpr_count:     0
    .sgpr_spill_count: 0
    .symbol:         _ZN7rocprim17ROCPRIM_400000_NS6detail17trampoline_kernelINS0_14default_configENS1_25partition_config_selectorILNS1_17partition_subalgoE6EiNS0_10empty_typeEbEEZZNS1_14partition_implILS5_6ELb0ES3_mN6thrust23THRUST_200600_302600_NS6detail15normal_iteratorINSA_10device_ptrIiEEEEPS6_SG_NS0_5tupleIJSF_S6_EEENSH_IJSG_SG_EEES6_PlJNSB_9not_fun_tI6is_oddIiEEEEEE10hipError_tPvRmT3_T4_T5_T6_T7_T9_mT8_P12ihipStream_tbDpT10_ENKUlT_T0_E_clISt17integral_constantIbLb0EES17_IbLb1EEEEDaS13_S14_EUlS13_E_NS1_11comp_targetILNS1_3genE4ELNS1_11target_archE910ELNS1_3gpuE8ELNS1_3repE0EEENS1_30default_config_static_selectorELNS0_4arch9wavefront6targetE0EEEvT1_.kd
    .uniform_work_group_size: 1
    .uses_dynamic_stack: false
    .vgpr_count:     0
    .vgpr_spill_count: 0
    .wavefront_size: 32
    .workgroup_processor_mode: 1
  - .args:
      - .offset:         0
        .size:           128
        .value_kind:     by_value
    .group_segment_fixed_size: 0
    .kernarg_segment_align: 8
    .kernarg_segment_size: 128
    .language:       OpenCL C
    .language_version:
      - 2
      - 0
    .max_flat_workgroup_size: 256
    .name:           _ZN7rocprim17ROCPRIM_400000_NS6detail17trampoline_kernelINS0_14default_configENS1_25partition_config_selectorILNS1_17partition_subalgoE6EiNS0_10empty_typeEbEEZZNS1_14partition_implILS5_6ELb0ES3_mN6thrust23THRUST_200600_302600_NS6detail15normal_iteratorINSA_10device_ptrIiEEEEPS6_SG_NS0_5tupleIJSF_S6_EEENSH_IJSG_SG_EEES6_PlJNSB_9not_fun_tI6is_oddIiEEEEEE10hipError_tPvRmT3_T4_T5_T6_T7_T9_mT8_P12ihipStream_tbDpT10_ENKUlT_T0_E_clISt17integral_constantIbLb0EES17_IbLb1EEEEDaS13_S14_EUlS13_E_NS1_11comp_targetILNS1_3genE3ELNS1_11target_archE908ELNS1_3gpuE7ELNS1_3repE0EEENS1_30default_config_static_selectorELNS0_4arch9wavefront6targetE0EEEvT1_
    .private_segment_fixed_size: 0
    .sgpr_count:     0
    .sgpr_spill_count: 0
    .symbol:         _ZN7rocprim17ROCPRIM_400000_NS6detail17trampoline_kernelINS0_14default_configENS1_25partition_config_selectorILNS1_17partition_subalgoE6EiNS0_10empty_typeEbEEZZNS1_14partition_implILS5_6ELb0ES3_mN6thrust23THRUST_200600_302600_NS6detail15normal_iteratorINSA_10device_ptrIiEEEEPS6_SG_NS0_5tupleIJSF_S6_EEENSH_IJSG_SG_EEES6_PlJNSB_9not_fun_tI6is_oddIiEEEEEE10hipError_tPvRmT3_T4_T5_T6_T7_T9_mT8_P12ihipStream_tbDpT10_ENKUlT_T0_E_clISt17integral_constantIbLb0EES17_IbLb1EEEEDaS13_S14_EUlS13_E_NS1_11comp_targetILNS1_3genE3ELNS1_11target_archE908ELNS1_3gpuE7ELNS1_3repE0EEENS1_30default_config_static_selectorELNS0_4arch9wavefront6targetE0EEEvT1_.kd
    .uniform_work_group_size: 1
    .uses_dynamic_stack: false
    .vgpr_count:     0
    .vgpr_spill_count: 0
    .wavefront_size: 32
    .workgroup_processor_mode: 1
  - .args:
      - .offset:         0
        .size:           128
        .value_kind:     by_value
    .group_segment_fixed_size: 0
    .kernarg_segment_align: 8
    .kernarg_segment_size: 128
    .language:       OpenCL C
    .language_version:
      - 2
      - 0
    .max_flat_workgroup_size: 192
    .name:           _ZN7rocprim17ROCPRIM_400000_NS6detail17trampoline_kernelINS0_14default_configENS1_25partition_config_selectorILNS1_17partition_subalgoE6EiNS0_10empty_typeEbEEZZNS1_14partition_implILS5_6ELb0ES3_mN6thrust23THRUST_200600_302600_NS6detail15normal_iteratorINSA_10device_ptrIiEEEEPS6_SG_NS0_5tupleIJSF_S6_EEENSH_IJSG_SG_EEES6_PlJNSB_9not_fun_tI6is_oddIiEEEEEE10hipError_tPvRmT3_T4_T5_T6_T7_T9_mT8_P12ihipStream_tbDpT10_ENKUlT_T0_E_clISt17integral_constantIbLb0EES17_IbLb1EEEEDaS13_S14_EUlS13_E_NS1_11comp_targetILNS1_3genE2ELNS1_11target_archE906ELNS1_3gpuE6ELNS1_3repE0EEENS1_30default_config_static_selectorELNS0_4arch9wavefront6targetE0EEEvT1_
    .private_segment_fixed_size: 0
    .sgpr_count:     0
    .sgpr_spill_count: 0
    .symbol:         _ZN7rocprim17ROCPRIM_400000_NS6detail17trampoline_kernelINS0_14default_configENS1_25partition_config_selectorILNS1_17partition_subalgoE6EiNS0_10empty_typeEbEEZZNS1_14partition_implILS5_6ELb0ES3_mN6thrust23THRUST_200600_302600_NS6detail15normal_iteratorINSA_10device_ptrIiEEEEPS6_SG_NS0_5tupleIJSF_S6_EEENSH_IJSG_SG_EEES6_PlJNSB_9not_fun_tI6is_oddIiEEEEEE10hipError_tPvRmT3_T4_T5_T6_T7_T9_mT8_P12ihipStream_tbDpT10_ENKUlT_T0_E_clISt17integral_constantIbLb0EES17_IbLb1EEEEDaS13_S14_EUlS13_E_NS1_11comp_targetILNS1_3genE2ELNS1_11target_archE906ELNS1_3gpuE6ELNS1_3repE0EEENS1_30default_config_static_selectorELNS0_4arch9wavefront6targetE0EEEvT1_.kd
    .uniform_work_group_size: 1
    .uses_dynamic_stack: false
    .vgpr_count:     0
    .vgpr_spill_count: 0
    .wavefront_size: 32
    .workgroup_processor_mode: 1
  - .args:
      - .offset:         0
        .size:           128
        .value_kind:     by_value
    .group_segment_fixed_size: 10768
    .kernarg_segment_align: 8
    .kernarg_segment_size: 128
    .language:       OpenCL C
    .language_version:
      - 2
      - 0
    .max_flat_workgroup_size: 384
    .name:           _ZN7rocprim17ROCPRIM_400000_NS6detail17trampoline_kernelINS0_14default_configENS1_25partition_config_selectorILNS1_17partition_subalgoE6EiNS0_10empty_typeEbEEZZNS1_14partition_implILS5_6ELb0ES3_mN6thrust23THRUST_200600_302600_NS6detail15normal_iteratorINSA_10device_ptrIiEEEEPS6_SG_NS0_5tupleIJSF_S6_EEENSH_IJSG_SG_EEES6_PlJNSB_9not_fun_tI6is_oddIiEEEEEE10hipError_tPvRmT3_T4_T5_T6_T7_T9_mT8_P12ihipStream_tbDpT10_ENKUlT_T0_E_clISt17integral_constantIbLb0EES17_IbLb1EEEEDaS13_S14_EUlS13_E_NS1_11comp_targetILNS1_3genE10ELNS1_11target_archE1200ELNS1_3gpuE4ELNS1_3repE0EEENS1_30default_config_static_selectorELNS0_4arch9wavefront6targetE0EEEvT1_
    .private_segment_fixed_size: 0
    .sgpr_count:     22
    .sgpr_spill_count: 0
    .symbol:         _ZN7rocprim17ROCPRIM_400000_NS6detail17trampoline_kernelINS0_14default_configENS1_25partition_config_selectorILNS1_17partition_subalgoE6EiNS0_10empty_typeEbEEZZNS1_14partition_implILS5_6ELb0ES3_mN6thrust23THRUST_200600_302600_NS6detail15normal_iteratorINSA_10device_ptrIiEEEEPS6_SG_NS0_5tupleIJSF_S6_EEENSH_IJSG_SG_EEES6_PlJNSB_9not_fun_tI6is_oddIiEEEEEE10hipError_tPvRmT3_T4_T5_T6_T7_T9_mT8_P12ihipStream_tbDpT10_ENKUlT_T0_E_clISt17integral_constantIbLb0EES17_IbLb1EEEEDaS13_S14_EUlS13_E_NS1_11comp_targetILNS1_3genE10ELNS1_11target_archE1200ELNS1_3gpuE4ELNS1_3repE0EEENS1_30default_config_static_selectorELNS0_4arch9wavefront6targetE0EEEvT1_.kd
    .uniform_work_group_size: 1
    .uses_dynamic_stack: false
    .vgpr_count:     52
    .vgpr_spill_count: 0
    .wavefront_size: 32
    .workgroup_processor_mode: 1
  - .args:
      - .offset:         0
        .size:           128
        .value_kind:     by_value
    .group_segment_fixed_size: 0
    .kernarg_segment_align: 8
    .kernarg_segment_size: 128
    .language:       OpenCL C
    .language_version:
      - 2
      - 0
    .max_flat_workgroup_size: 128
    .name:           _ZN7rocprim17ROCPRIM_400000_NS6detail17trampoline_kernelINS0_14default_configENS1_25partition_config_selectorILNS1_17partition_subalgoE6EiNS0_10empty_typeEbEEZZNS1_14partition_implILS5_6ELb0ES3_mN6thrust23THRUST_200600_302600_NS6detail15normal_iteratorINSA_10device_ptrIiEEEEPS6_SG_NS0_5tupleIJSF_S6_EEENSH_IJSG_SG_EEES6_PlJNSB_9not_fun_tI6is_oddIiEEEEEE10hipError_tPvRmT3_T4_T5_T6_T7_T9_mT8_P12ihipStream_tbDpT10_ENKUlT_T0_E_clISt17integral_constantIbLb0EES17_IbLb1EEEEDaS13_S14_EUlS13_E_NS1_11comp_targetILNS1_3genE9ELNS1_11target_archE1100ELNS1_3gpuE3ELNS1_3repE0EEENS1_30default_config_static_selectorELNS0_4arch9wavefront6targetE0EEEvT1_
    .private_segment_fixed_size: 0
    .sgpr_count:     0
    .sgpr_spill_count: 0
    .symbol:         _ZN7rocprim17ROCPRIM_400000_NS6detail17trampoline_kernelINS0_14default_configENS1_25partition_config_selectorILNS1_17partition_subalgoE6EiNS0_10empty_typeEbEEZZNS1_14partition_implILS5_6ELb0ES3_mN6thrust23THRUST_200600_302600_NS6detail15normal_iteratorINSA_10device_ptrIiEEEEPS6_SG_NS0_5tupleIJSF_S6_EEENSH_IJSG_SG_EEES6_PlJNSB_9not_fun_tI6is_oddIiEEEEEE10hipError_tPvRmT3_T4_T5_T6_T7_T9_mT8_P12ihipStream_tbDpT10_ENKUlT_T0_E_clISt17integral_constantIbLb0EES17_IbLb1EEEEDaS13_S14_EUlS13_E_NS1_11comp_targetILNS1_3genE9ELNS1_11target_archE1100ELNS1_3gpuE3ELNS1_3repE0EEENS1_30default_config_static_selectorELNS0_4arch9wavefront6targetE0EEEvT1_.kd
    .uniform_work_group_size: 1
    .uses_dynamic_stack: false
    .vgpr_count:     0
    .vgpr_spill_count: 0
    .wavefront_size: 32
    .workgroup_processor_mode: 1
  - .args:
      - .offset:         0
        .size:           128
        .value_kind:     by_value
    .group_segment_fixed_size: 0
    .kernarg_segment_align: 8
    .kernarg_segment_size: 128
    .language:       OpenCL C
    .language_version:
      - 2
      - 0
    .max_flat_workgroup_size: 512
    .name:           _ZN7rocprim17ROCPRIM_400000_NS6detail17trampoline_kernelINS0_14default_configENS1_25partition_config_selectorILNS1_17partition_subalgoE6EiNS0_10empty_typeEbEEZZNS1_14partition_implILS5_6ELb0ES3_mN6thrust23THRUST_200600_302600_NS6detail15normal_iteratorINSA_10device_ptrIiEEEEPS6_SG_NS0_5tupleIJSF_S6_EEENSH_IJSG_SG_EEES6_PlJNSB_9not_fun_tI6is_oddIiEEEEEE10hipError_tPvRmT3_T4_T5_T6_T7_T9_mT8_P12ihipStream_tbDpT10_ENKUlT_T0_E_clISt17integral_constantIbLb0EES17_IbLb1EEEEDaS13_S14_EUlS13_E_NS1_11comp_targetILNS1_3genE8ELNS1_11target_archE1030ELNS1_3gpuE2ELNS1_3repE0EEENS1_30default_config_static_selectorELNS0_4arch9wavefront6targetE0EEEvT1_
    .private_segment_fixed_size: 0
    .sgpr_count:     0
    .sgpr_spill_count: 0
    .symbol:         _ZN7rocprim17ROCPRIM_400000_NS6detail17trampoline_kernelINS0_14default_configENS1_25partition_config_selectorILNS1_17partition_subalgoE6EiNS0_10empty_typeEbEEZZNS1_14partition_implILS5_6ELb0ES3_mN6thrust23THRUST_200600_302600_NS6detail15normal_iteratorINSA_10device_ptrIiEEEEPS6_SG_NS0_5tupleIJSF_S6_EEENSH_IJSG_SG_EEES6_PlJNSB_9not_fun_tI6is_oddIiEEEEEE10hipError_tPvRmT3_T4_T5_T6_T7_T9_mT8_P12ihipStream_tbDpT10_ENKUlT_T0_E_clISt17integral_constantIbLb0EES17_IbLb1EEEEDaS13_S14_EUlS13_E_NS1_11comp_targetILNS1_3genE8ELNS1_11target_archE1030ELNS1_3gpuE2ELNS1_3repE0EEENS1_30default_config_static_selectorELNS0_4arch9wavefront6targetE0EEEvT1_.kd
    .uniform_work_group_size: 1
    .uses_dynamic_stack: false
    .vgpr_count:     0
    .vgpr_spill_count: 0
    .wavefront_size: 32
    .workgroup_processor_mode: 1
amdhsa.target:   amdgcn-amd-amdhsa--gfx1201
amdhsa.version:
  - 1
  - 2
...

	.end_amdgpu_metadata
